;; amdgpu-corpus repo=ROCm/rocThrust kind=compiled arch=gfx90a opt=O3
	.text
	.amdgcn_target "amdgcn-amd-amdhsa--gfx90a"
	.amdhsa_code_object_version 6
	.section	.text._ZN6thrust23THRUST_200600_302600_NS11hip_rocprim14__parallel_for6kernelILj256ENS1_20__uninitialized_fill7functorINS0_10device_ptrIiEEiEEmLj1EEEvT0_T1_SA_,"axG",@progbits,_ZN6thrust23THRUST_200600_302600_NS11hip_rocprim14__parallel_for6kernelILj256ENS1_20__uninitialized_fill7functorINS0_10device_ptrIiEEiEEmLj1EEEvT0_T1_SA_,comdat
	.protected	_ZN6thrust23THRUST_200600_302600_NS11hip_rocprim14__parallel_for6kernelILj256ENS1_20__uninitialized_fill7functorINS0_10device_ptrIiEEiEEmLj1EEEvT0_T1_SA_ ; -- Begin function _ZN6thrust23THRUST_200600_302600_NS11hip_rocprim14__parallel_for6kernelILj256ENS1_20__uninitialized_fill7functorINS0_10device_ptrIiEEiEEmLj1EEEvT0_T1_SA_
	.globl	_ZN6thrust23THRUST_200600_302600_NS11hip_rocprim14__parallel_for6kernelILj256ENS1_20__uninitialized_fill7functorINS0_10device_ptrIiEEiEEmLj1EEEvT0_T1_SA_
	.p2align	8
	.type	_ZN6thrust23THRUST_200600_302600_NS11hip_rocprim14__parallel_for6kernelILj256ENS1_20__uninitialized_fill7functorINS0_10device_ptrIiEEiEEmLj1EEEvT0_T1_SA_,@function
_ZN6thrust23THRUST_200600_302600_NS11hip_rocprim14__parallel_for6kernelILj256ENS1_20__uninitialized_fill7functorINS0_10device_ptrIiEEiEEmLj1EEEvT0_T1_SA_: ; @_ZN6thrust23THRUST_200600_302600_NS11hip_rocprim14__parallel_for6kernelILj256ENS1_20__uninitialized_fill7functorINS0_10device_ptrIiEEiEEmLj1EEEvT0_T1_SA_
; %bb.0:
	s_load_dwordx4 s[8:11], s[4:5], 0x10
	s_lshl_b32 s0, s6, 8
	v_mov_b32_e32 v2, 0x100
	v_mov_b32_e32 v3, 0
	s_waitcnt lgkmcnt(0)
	s_add_u32 s0, s0, s10
	s_addc_u32 s1, 0, s11
	s_sub_u32 s2, s8, s0
	s_subb_u32 s3, s9, s1
	v_cmp_lt_u64_e32 vcc, s[2:3], v[2:3]
	s_cbranch_vccz .LBB0_2
; %bb.1:
	v_cmp_gt_u32_e32 vcc, s2, v0
	s_and_b64 s[2:3], vcc, exec
	s_cbranch_execz .LBB0_3
	s_branch .LBB0_4
.LBB0_2:
	s_mov_b64 s[2:3], 0
.LBB0_3:
	s_or_b64 s[2:3], s[2:3], exec
.LBB0_4:
	s_and_saveexec_b64 s[6:7], s[2:3]
	s_cbranch_execnz .LBB0_6
; %bb.5:
	s_endpgm
.LBB0_6:
	s_load_dwordx2 s[2:3], s[4:5], 0x0
	s_load_dword s6, s[4:5], 0x8
	s_lshl_b64 s[0:1], s[0:1], 2
	v_mov_b32_e32 v1, 0
	v_lshlrev_b64 v[0:1], 2, v[0:1]
	s_waitcnt lgkmcnt(0)
	s_add_u32 s0, s2, s0
	s_addc_u32 s1, s3, s1
	v_mov_b32_e32 v2, s1
	v_add_co_u32_e32 v0, vcc, s0, v0
	v_addc_co_u32_e32 v1, vcc, v2, v1, vcc
	v_mov_b32_e32 v2, s6
	flat_store_dword v[0:1], v2
	s_endpgm
	.section	.rodata,"a",@progbits
	.p2align	6, 0x0
	.amdhsa_kernel _ZN6thrust23THRUST_200600_302600_NS11hip_rocprim14__parallel_for6kernelILj256ENS1_20__uninitialized_fill7functorINS0_10device_ptrIiEEiEEmLj1EEEvT0_T1_SA_
		.amdhsa_group_segment_fixed_size 0
		.amdhsa_private_segment_fixed_size 0
		.amdhsa_kernarg_size 32
		.amdhsa_user_sgpr_count 6
		.amdhsa_user_sgpr_private_segment_buffer 1
		.amdhsa_user_sgpr_dispatch_ptr 0
		.amdhsa_user_sgpr_queue_ptr 0
		.amdhsa_user_sgpr_kernarg_segment_ptr 1
		.amdhsa_user_sgpr_dispatch_id 0
		.amdhsa_user_sgpr_flat_scratch_init 0
		.amdhsa_user_sgpr_kernarg_preload_length 0
		.amdhsa_user_sgpr_kernarg_preload_offset 0
		.amdhsa_user_sgpr_private_segment_size 0
		.amdhsa_uses_dynamic_stack 0
		.amdhsa_system_sgpr_private_segment_wavefront_offset 0
		.amdhsa_system_sgpr_workgroup_id_x 1
		.amdhsa_system_sgpr_workgroup_id_y 0
		.amdhsa_system_sgpr_workgroup_id_z 0
		.amdhsa_system_sgpr_workgroup_info 0
		.amdhsa_system_vgpr_workitem_id 0
		.amdhsa_next_free_vgpr 4
		.amdhsa_next_free_sgpr 12
		.amdhsa_accum_offset 4
		.amdhsa_reserve_vcc 1
		.amdhsa_reserve_flat_scratch 0
		.amdhsa_float_round_mode_32 0
		.amdhsa_float_round_mode_16_64 0
		.amdhsa_float_denorm_mode_32 3
		.amdhsa_float_denorm_mode_16_64 3
		.amdhsa_dx10_clamp 1
		.amdhsa_ieee_mode 1
		.amdhsa_fp16_overflow 0
		.amdhsa_tg_split 0
		.amdhsa_exception_fp_ieee_invalid_op 0
		.amdhsa_exception_fp_denorm_src 0
		.amdhsa_exception_fp_ieee_div_zero 0
		.amdhsa_exception_fp_ieee_overflow 0
		.amdhsa_exception_fp_ieee_underflow 0
		.amdhsa_exception_fp_ieee_inexact 0
		.amdhsa_exception_int_div_zero 0
	.end_amdhsa_kernel
	.section	.text._ZN6thrust23THRUST_200600_302600_NS11hip_rocprim14__parallel_for6kernelILj256ENS1_20__uninitialized_fill7functorINS0_10device_ptrIiEEiEEmLj1EEEvT0_T1_SA_,"axG",@progbits,_ZN6thrust23THRUST_200600_302600_NS11hip_rocprim14__parallel_for6kernelILj256ENS1_20__uninitialized_fill7functorINS0_10device_ptrIiEEiEEmLj1EEEvT0_T1_SA_,comdat
.Lfunc_end0:
	.size	_ZN6thrust23THRUST_200600_302600_NS11hip_rocprim14__parallel_for6kernelILj256ENS1_20__uninitialized_fill7functorINS0_10device_ptrIiEEiEEmLj1EEEvT0_T1_SA_, .Lfunc_end0-_ZN6thrust23THRUST_200600_302600_NS11hip_rocprim14__parallel_for6kernelILj256ENS1_20__uninitialized_fill7functorINS0_10device_ptrIiEEiEEmLj1EEEvT0_T1_SA_
                                        ; -- End function
	.section	.AMDGPU.csdata,"",@progbits
; Kernel info:
; codeLenInByte = 160
; NumSgprs: 16
; NumVgprs: 4
; NumAgprs: 0
; TotalNumVgprs: 4
; ScratchSize: 0
; MemoryBound: 0
; FloatMode: 240
; IeeeMode: 1
; LDSByteSize: 0 bytes/workgroup (compile time only)
; SGPRBlocks: 1
; VGPRBlocks: 0
; NumSGPRsForWavesPerEU: 16
; NumVGPRsForWavesPerEU: 4
; AccumOffset: 4
; Occupancy: 8
; WaveLimiterHint : 0
; COMPUTE_PGM_RSRC2:SCRATCH_EN: 0
; COMPUTE_PGM_RSRC2:USER_SGPR: 6
; COMPUTE_PGM_RSRC2:TRAP_HANDLER: 0
; COMPUTE_PGM_RSRC2:TGID_X_EN: 1
; COMPUTE_PGM_RSRC2:TGID_Y_EN: 0
; COMPUTE_PGM_RSRC2:TGID_Z_EN: 0
; COMPUTE_PGM_RSRC2:TIDIG_COMP_CNT: 0
; COMPUTE_PGM_RSRC3_GFX90A:ACCUM_OFFSET: 0
; COMPUTE_PGM_RSRC3_GFX90A:TG_SPLIT: 0
	.section	.text._ZN7rocprim17ROCPRIM_400000_NS6detail30init_device_scan_by_key_kernelINS1_19lookback_scan_stateINS0_5tupleIJibEEELb0ELb1EEEN6thrust23THRUST_200600_302600_NS6detail15normal_iteratorINS8_10device_ptrIiEEEEjNS1_16block_id_wrapperIjLb0EEEEEvT_jjPNSG_10value_typeET0_PNSt15iterator_traitsISJ_E10value_typeEmT1_T2_,"axG",@progbits,_ZN7rocprim17ROCPRIM_400000_NS6detail30init_device_scan_by_key_kernelINS1_19lookback_scan_stateINS0_5tupleIJibEEELb0ELb1EEEN6thrust23THRUST_200600_302600_NS6detail15normal_iteratorINS8_10device_ptrIiEEEEjNS1_16block_id_wrapperIjLb0EEEEEvT_jjPNSG_10value_typeET0_PNSt15iterator_traitsISJ_E10value_typeEmT1_T2_,comdat
	.protected	_ZN7rocprim17ROCPRIM_400000_NS6detail30init_device_scan_by_key_kernelINS1_19lookback_scan_stateINS0_5tupleIJibEEELb0ELb1EEEN6thrust23THRUST_200600_302600_NS6detail15normal_iteratorINS8_10device_ptrIiEEEEjNS1_16block_id_wrapperIjLb0EEEEEvT_jjPNSG_10value_typeET0_PNSt15iterator_traitsISJ_E10value_typeEmT1_T2_ ; -- Begin function _ZN7rocprim17ROCPRIM_400000_NS6detail30init_device_scan_by_key_kernelINS1_19lookback_scan_stateINS0_5tupleIJibEEELb0ELb1EEEN6thrust23THRUST_200600_302600_NS6detail15normal_iteratorINS8_10device_ptrIiEEEEjNS1_16block_id_wrapperIjLb0EEEEEvT_jjPNSG_10value_typeET0_PNSt15iterator_traitsISJ_E10value_typeEmT1_T2_
	.globl	_ZN7rocprim17ROCPRIM_400000_NS6detail30init_device_scan_by_key_kernelINS1_19lookback_scan_stateINS0_5tupleIJibEEELb0ELb1EEEN6thrust23THRUST_200600_302600_NS6detail15normal_iteratorINS8_10device_ptrIiEEEEjNS1_16block_id_wrapperIjLb0EEEEEvT_jjPNSG_10value_typeET0_PNSt15iterator_traitsISJ_E10value_typeEmT1_T2_
	.p2align	8
	.type	_ZN7rocprim17ROCPRIM_400000_NS6detail30init_device_scan_by_key_kernelINS1_19lookback_scan_stateINS0_5tupleIJibEEELb0ELb1EEEN6thrust23THRUST_200600_302600_NS6detail15normal_iteratorINS8_10device_ptrIiEEEEjNS1_16block_id_wrapperIjLb0EEEEEvT_jjPNSG_10value_typeET0_PNSt15iterator_traitsISJ_E10value_typeEmT1_T2_,@function
_ZN7rocprim17ROCPRIM_400000_NS6detail30init_device_scan_by_key_kernelINS1_19lookback_scan_stateINS0_5tupleIJibEEELb0ELb1EEEN6thrust23THRUST_200600_302600_NS6detail15normal_iteratorINS8_10device_ptrIiEEEEjNS1_16block_id_wrapperIjLb0EEEEEvT_jjPNSG_10value_typeET0_PNSt15iterator_traitsISJ_E10value_typeEmT1_T2_: ; @_ZN7rocprim17ROCPRIM_400000_NS6detail30init_device_scan_by_key_kernelINS1_19lookback_scan_stateINS0_5tupleIJibEEELb0ELb1EEEN6thrust23THRUST_200600_302600_NS6detail15normal_iteratorINS8_10device_ptrIiEEEEjNS1_16block_id_wrapperIjLb0EEEEEvT_jjPNSG_10value_typeET0_PNSt15iterator_traitsISJ_E10value_typeEmT1_T2_
; %bb.0:
	s_load_dword s0, s[4:5], 0x44
	s_load_dwordx8 s[8:15], s[4:5], 0x0
	s_load_dword s18, s[4:5], 0x38
	s_waitcnt lgkmcnt(0)
	s_and_b32 s19, s0, 0xffff
	s_mul_i32 s6, s6, s19
	s_cmp_eq_u64 s[12:13], 0
	v_add_u32_e32 v4, s6, v0
	s_cbranch_scc1 .LBB1_8
; %bb.1:
	s_cmp_lt_u32 s11, s10
	s_cselect_b32 s0, s11, 0
	s_mov_b32 s3, 0
	v_cmp_eq_u32_e32 vcc, s0, v4
	s_and_saveexec_b64 s[0:1], vcc
	s_cbranch_execz .LBB1_7
; %bb.2:
	s_add_i32 s2, s11, 64
	s_lshl_b64 s[2:3], s[2:3], 4
	s_add_u32 s16, s8, s2
	s_addc_u32 s17, s9, s3
	v_pk_mov_b32 v[0:1], s[16:17], s[16:17] op_sel:[0,1]
	;;#ASMSTART
	global_load_dwordx4 v[0:3], v[0:1] off glc	
s_waitcnt vmcnt(0)
	;;#ASMEND
	v_mov_b32_e32 v7, 0
	v_and_b32_e32 v6, 0xff, v2
	s_mov_b64 s[6:7], 0
	v_cmp_eq_u64_e32 vcc, 0, v[6:7]
	s_and_saveexec_b64 s[2:3], vcc
	s_cbranch_execz .LBB1_6
; %bb.3:
	v_pk_mov_b32 v[8:9], s[16:17], s[16:17] op_sel:[0,1]
.LBB1_4:                                ; =>This Inner Loop Header: Depth=1
	;;#ASMSTART
	global_load_dwordx4 v[0:3], v[8:9] off glc	
s_waitcnt vmcnt(0)
	;;#ASMEND
	v_and_b32_e32 v6, 0xff, v2
	v_cmp_ne_u64_e32 vcc, 0, v[6:7]
	s_or_b64 s[6:7], vcc, s[6:7]
	s_andn2_b64 exec, exec, s[6:7]
	s_cbranch_execnz .LBB1_4
; %bb.5:
	s_or_b64 exec, exec, s[6:7]
.LBB1_6:
	s_or_b64 exec, exec, s[2:3]
	v_mov_b32_e32 v2, 0
	global_store_dword v2, v0, s[12:13]
	global_store_byte v2, v1, s[12:13] offset:4
.LBB1_7:
	s_or_b64 exec, exec, s[0:1]
.LBB1_8:
	v_cmp_gt_u32_e32 vcc, s10, v4
	s_and_saveexec_b64 s[0:1], vcc
	s_cbranch_execz .LBB1_10
; %bb.9:
	v_add_u32_e32 v0, 64, v4
	v_mov_b32_e32 v1, 0
	v_lshlrev_b64 v[2:3], 4, v[0:1]
	v_mov_b32_e32 v0, s9
	v_add_co_u32_e32 v6, vcc, s8, v2
	v_addc_co_u32_e32 v7, vcc, v0, v3, vcc
	v_mov_b32_e32 v0, v1
	v_mov_b32_e32 v2, v1
	;; [unrolled: 1-line block ×3, first 2 shown]
	global_store_dwordx4 v[6:7], v[0:3], off
.LBB1_10:
	s_or_b64 exec, exec, s[0:1]
	v_cmp_gt_u32_e32 vcc, 64, v4
	v_mov_b32_e32 v5, 0
	s_and_saveexec_b64 s[0:1], vcc
	s_cbranch_execz .LBB1_12
; %bb.11:
	v_lshlrev_b64 v[0:1], 4, v[4:5]
	v_mov_b32_e32 v2, s9
	v_add_co_u32_e32 v6, vcc, s8, v0
	v_addc_co_u32_e32 v7, vcc, v2, v1, vcc
	v_mov_b32_e32 v2, 0xff
	v_mov_b32_e32 v0, v5
	;; [unrolled: 1-line block ×4, first 2 shown]
	global_store_dwordx4 v[6:7], v[0:3], off
.LBB1_12:
	s_or_b64 exec, exec, s[0:1]
	s_load_dwordx2 s[0:1], s[4:5], 0x28
	s_waitcnt lgkmcnt(0)
	v_cmp_gt_u64_e32 vcc, s[0:1], v[4:5]
	s_and_saveexec_b64 s[2:3], vcc
	s_cbranch_execz .LBB1_15
; %bb.13:
	s_load_dword s10, s[4:5], 0x30
	s_load_dwordx2 s[6:7], s[4:5], 0x20
	s_mov_b32 s5, 0
	s_mov_b32 s3, s5
	s_mul_i32 s2, s18, s19
	s_waitcnt lgkmcnt(0)
	s_add_i32 s4, s10, -1
	s_lshl_b64 s[4:5], s[4:5], 2
	v_mad_u64_u32 v[0:1], s[8:9], s10, v4, 0
	s_add_u32 s4, s14, s4
	v_lshlrev_b64 v[0:1], 2, v[0:1]
	s_addc_u32 s5, s15, s5
	v_mov_b32_e32 v2, s5
	v_add_co_u32_e32 v0, vcc, s4, v0
	v_addc_co_u32_e32 v1, vcc, v2, v1, vcc
	s_mul_hi_u32 s5, s10, s2
	s_mul_i32 s4, s10, s2
	v_lshlrev_b64 v[2:3], 2, v[4:5]
	s_lshl_b64 s[4:5], s[4:5], 2
	v_mov_b32_e32 v6, s7
	v_add_co_u32_e32 v2, vcc, s6, v2
	s_lshl_b64 s[6:7], s[2:3], 2
	v_addc_co_u32_e32 v3, vcc, v6, v3, vcc
	s_mov_b64 s[8:9], 0
	v_mov_b32_e32 v6, s3
	v_mov_b32_e32 v7, s5
	;; [unrolled: 1-line block ×3, first 2 shown]
.LBB1_14:                               ; =>This Inner Loop Header: Depth=1
	global_load_dword v9, v[0:1], off
	v_add_co_u32_e32 v4, vcc, s2, v4
	v_addc_co_u32_e32 v5, vcc, v5, v6, vcc
	v_add_co_u32_e32 v0, vcc, s4, v0
	v_addc_co_u32_e32 v1, vcc, v1, v7, vcc
	v_cmp_le_u64_e32 vcc, s[0:1], v[4:5]
	s_or_b64 s[8:9], vcc, s[8:9]
	s_waitcnt vmcnt(0)
	global_store_dword v[2:3], v9, off
	v_add_co_u32_e32 v2, vcc, s6, v2
	v_addc_co_u32_e32 v3, vcc, v3, v8, vcc
	s_andn2_b64 exec, exec, s[8:9]
	s_cbranch_execnz .LBB1_14
.LBB1_15:
	s_endpgm
	.section	.rodata,"a",@progbits
	.p2align	6, 0x0
	.amdhsa_kernel _ZN7rocprim17ROCPRIM_400000_NS6detail30init_device_scan_by_key_kernelINS1_19lookback_scan_stateINS0_5tupleIJibEEELb0ELb1EEEN6thrust23THRUST_200600_302600_NS6detail15normal_iteratorINS8_10device_ptrIiEEEEjNS1_16block_id_wrapperIjLb0EEEEEvT_jjPNSG_10value_typeET0_PNSt15iterator_traitsISJ_E10value_typeEmT1_T2_
		.amdhsa_group_segment_fixed_size 0
		.amdhsa_private_segment_fixed_size 0
		.amdhsa_kernarg_size 312
		.amdhsa_user_sgpr_count 6
		.amdhsa_user_sgpr_private_segment_buffer 1
		.amdhsa_user_sgpr_dispatch_ptr 0
		.amdhsa_user_sgpr_queue_ptr 0
		.amdhsa_user_sgpr_kernarg_segment_ptr 1
		.amdhsa_user_sgpr_dispatch_id 0
		.amdhsa_user_sgpr_flat_scratch_init 0
		.amdhsa_user_sgpr_kernarg_preload_length 0
		.amdhsa_user_sgpr_kernarg_preload_offset 0
		.amdhsa_user_sgpr_private_segment_size 0
		.amdhsa_uses_dynamic_stack 0
		.amdhsa_system_sgpr_private_segment_wavefront_offset 0
		.amdhsa_system_sgpr_workgroup_id_x 1
		.amdhsa_system_sgpr_workgroup_id_y 0
		.amdhsa_system_sgpr_workgroup_id_z 0
		.amdhsa_system_sgpr_workgroup_info 0
		.amdhsa_system_vgpr_workitem_id 0
		.amdhsa_next_free_vgpr 10
		.amdhsa_next_free_sgpr 20
		.amdhsa_accum_offset 12
		.amdhsa_reserve_vcc 1
		.amdhsa_reserve_flat_scratch 0
		.amdhsa_float_round_mode_32 0
		.amdhsa_float_round_mode_16_64 0
		.amdhsa_float_denorm_mode_32 3
		.amdhsa_float_denorm_mode_16_64 3
		.amdhsa_dx10_clamp 1
		.amdhsa_ieee_mode 1
		.amdhsa_fp16_overflow 0
		.amdhsa_tg_split 0
		.amdhsa_exception_fp_ieee_invalid_op 0
		.amdhsa_exception_fp_denorm_src 0
		.amdhsa_exception_fp_ieee_div_zero 0
		.amdhsa_exception_fp_ieee_overflow 0
		.amdhsa_exception_fp_ieee_underflow 0
		.amdhsa_exception_fp_ieee_inexact 0
		.amdhsa_exception_int_div_zero 0
	.end_amdhsa_kernel
	.section	.text._ZN7rocprim17ROCPRIM_400000_NS6detail30init_device_scan_by_key_kernelINS1_19lookback_scan_stateINS0_5tupleIJibEEELb0ELb1EEEN6thrust23THRUST_200600_302600_NS6detail15normal_iteratorINS8_10device_ptrIiEEEEjNS1_16block_id_wrapperIjLb0EEEEEvT_jjPNSG_10value_typeET0_PNSt15iterator_traitsISJ_E10value_typeEmT1_T2_,"axG",@progbits,_ZN7rocprim17ROCPRIM_400000_NS6detail30init_device_scan_by_key_kernelINS1_19lookback_scan_stateINS0_5tupleIJibEEELb0ELb1EEEN6thrust23THRUST_200600_302600_NS6detail15normal_iteratorINS8_10device_ptrIiEEEEjNS1_16block_id_wrapperIjLb0EEEEEvT_jjPNSG_10value_typeET0_PNSt15iterator_traitsISJ_E10value_typeEmT1_T2_,comdat
.Lfunc_end1:
	.size	_ZN7rocprim17ROCPRIM_400000_NS6detail30init_device_scan_by_key_kernelINS1_19lookback_scan_stateINS0_5tupleIJibEEELb0ELb1EEEN6thrust23THRUST_200600_302600_NS6detail15normal_iteratorINS8_10device_ptrIiEEEEjNS1_16block_id_wrapperIjLb0EEEEEvT_jjPNSG_10value_typeET0_PNSt15iterator_traitsISJ_E10value_typeEmT1_T2_, .Lfunc_end1-_ZN7rocprim17ROCPRIM_400000_NS6detail30init_device_scan_by_key_kernelINS1_19lookback_scan_stateINS0_5tupleIJibEEELb0ELb1EEEN6thrust23THRUST_200600_302600_NS6detail15normal_iteratorINS8_10device_ptrIiEEEEjNS1_16block_id_wrapperIjLb0EEEEEvT_jjPNSG_10value_typeET0_PNSt15iterator_traitsISJ_E10value_typeEmT1_T2_
                                        ; -- End function
	.section	.AMDGPU.csdata,"",@progbits
; Kernel info:
; codeLenInByte = 572
; NumSgprs: 24
; NumVgprs: 10
; NumAgprs: 0
; TotalNumVgprs: 10
; ScratchSize: 0
; MemoryBound: 0
; FloatMode: 240
; IeeeMode: 1
; LDSByteSize: 0 bytes/workgroup (compile time only)
; SGPRBlocks: 2
; VGPRBlocks: 1
; NumSGPRsForWavesPerEU: 24
; NumVGPRsForWavesPerEU: 10
; AccumOffset: 12
; Occupancy: 8
; WaveLimiterHint : 0
; COMPUTE_PGM_RSRC2:SCRATCH_EN: 0
; COMPUTE_PGM_RSRC2:USER_SGPR: 6
; COMPUTE_PGM_RSRC2:TRAP_HANDLER: 0
; COMPUTE_PGM_RSRC2:TGID_X_EN: 1
; COMPUTE_PGM_RSRC2:TGID_Y_EN: 0
; COMPUTE_PGM_RSRC2:TGID_Z_EN: 0
; COMPUTE_PGM_RSRC2:TIDIG_COMP_CNT: 0
; COMPUTE_PGM_RSRC3_GFX90A:ACCUM_OFFSET: 2
; COMPUTE_PGM_RSRC3_GFX90A:TG_SPLIT: 0
	.section	.text._ZN7rocprim17ROCPRIM_400000_NS6detail30init_device_scan_by_key_kernelINS1_19lookback_scan_stateINS0_5tupleIJibEEELb0ELb1EEENS1_16block_id_wrapperIjLb0EEEEEvT_jjPNS9_10value_typeET0_,"axG",@progbits,_ZN7rocprim17ROCPRIM_400000_NS6detail30init_device_scan_by_key_kernelINS1_19lookback_scan_stateINS0_5tupleIJibEEELb0ELb1EEENS1_16block_id_wrapperIjLb0EEEEEvT_jjPNS9_10value_typeET0_,comdat
	.protected	_ZN7rocprim17ROCPRIM_400000_NS6detail30init_device_scan_by_key_kernelINS1_19lookback_scan_stateINS0_5tupleIJibEEELb0ELb1EEENS1_16block_id_wrapperIjLb0EEEEEvT_jjPNS9_10value_typeET0_ ; -- Begin function _ZN7rocprim17ROCPRIM_400000_NS6detail30init_device_scan_by_key_kernelINS1_19lookback_scan_stateINS0_5tupleIJibEEELb0ELb1EEENS1_16block_id_wrapperIjLb0EEEEEvT_jjPNS9_10value_typeET0_
	.globl	_ZN7rocprim17ROCPRIM_400000_NS6detail30init_device_scan_by_key_kernelINS1_19lookback_scan_stateINS0_5tupleIJibEEELb0ELb1EEENS1_16block_id_wrapperIjLb0EEEEEvT_jjPNS9_10value_typeET0_
	.p2align	8
	.type	_ZN7rocprim17ROCPRIM_400000_NS6detail30init_device_scan_by_key_kernelINS1_19lookback_scan_stateINS0_5tupleIJibEEELb0ELb1EEENS1_16block_id_wrapperIjLb0EEEEEvT_jjPNS9_10value_typeET0_,@function
_ZN7rocprim17ROCPRIM_400000_NS6detail30init_device_scan_by_key_kernelINS1_19lookback_scan_stateINS0_5tupleIJibEEELb0ELb1EEENS1_16block_id_wrapperIjLb0EEEEEvT_jjPNS9_10value_typeET0_: ; @_ZN7rocprim17ROCPRIM_400000_NS6detail30init_device_scan_by_key_kernelINS1_19lookback_scan_stateINS0_5tupleIJibEEELb0ELb1EEENS1_16block_id_wrapperIjLb0EEEEEvT_jjPNS9_10value_typeET0_
; %bb.0:
	s_load_dword s7, s[4:5], 0x2c
	s_load_dwordx2 s[8:9], s[4:5], 0x10
	s_load_dwordx4 s[0:3], s[4:5], 0x0
	s_waitcnt lgkmcnt(0)
	s_and_b32 s4, s7, 0xffff
	s_mul_i32 s6, s6, s4
	s_cmp_eq_u64 s[8:9], 0
	v_add_u32_e32 v0, s6, v0
	s_cbranch_scc1 .LBB2_8
; %bb.1:
	s_cmp_lt_u32 s3, s2
	s_cselect_b32 s4, s3, 0
	s_mov_b32 s7, 0
	v_cmp_eq_u32_e32 vcc, s4, v0
	s_and_saveexec_b64 s[4:5], vcc
	s_cbranch_execz .LBB2_7
; %bb.2:
	s_add_i32 s6, s3, 64
	s_lshl_b64 s[6:7], s[6:7], 4
	s_add_u32 s12, s0, s6
	s_addc_u32 s13, s1, s7
	v_pk_mov_b32 v[2:3], s[12:13], s[12:13] op_sel:[0,1]
	;;#ASMSTART
	global_load_dwordx4 v[2:5], v[2:3] off glc	
s_waitcnt vmcnt(0)
	;;#ASMEND
	v_mov_b32_e32 v7, 0
	v_and_b32_e32 v6, 0xff, v4
	s_mov_b64 s[10:11], 0
	v_cmp_eq_u64_e32 vcc, 0, v[6:7]
	s_and_saveexec_b64 s[6:7], vcc
	s_cbranch_execz .LBB2_6
; %bb.3:
	v_pk_mov_b32 v[8:9], s[12:13], s[12:13] op_sel:[0,1]
.LBB2_4:                                ; =>This Inner Loop Header: Depth=1
	;;#ASMSTART
	global_load_dwordx4 v[2:5], v[8:9] off glc	
s_waitcnt vmcnt(0)
	;;#ASMEND
	v_and_b32_e32 v6, 0xff, v4
	v_cmp_ne_u64_e32 vcc, 0, v[6:7]
	s_or_b64 s[10:11], vcc, s[10:11]
	s_andn2_b64 exec, exec, s[10:11]
	s_cbranch_execnz .LBB2_4
; %bb.5:
	s_or_b64 exec, exec, s[10:11]
.LBB2_6:
	s_or_b64 exec, exec, s[6:7]
	v_mov_b32_e32 v1, 0
	global_store_dword v1, v2, s[8:9]
	global_store_byte v1, v3, s[8:9] offset:4
.LBB2_7:
	s_or_b64 exec, exec, s[4:5]
.LBB2_8:
	v_cmp_gt_u32_e32 vcc, s2, v0
	s_and_saveexec_b64 s[2:3], vcc
	s_cbranch_execnz .LBB2_11
; %bb.9:
	s_or_b64 exec, exec, s[2:3]
	v_cmp_gt_u32_e32 vcc, 64, v0
	s_and_saveexec_b64 s[2:3], vcc
	s_cbranch_execnz .LBB2_12
.LBB2_10:
	s_endpgm
.LBB2_11:
	v_add_u32_e32 v2, 64, v0
	v_mov_b32_e32 v3, 0
	v_lshlrev_b64 v[4:5], 4, v[2:3]
	v_mov_b32_e32 v1, s1
	v_add_co_u32_e32 v6, vcc, s0, v4
	v_addc_co_u32_e32 v7, vcc, v1, v5, vcc
	v_mov_b32_e32 v2, v3
	v_mov_b32_e32 v4, v3
	;; [unrolled: 1-line block ×3, first 2 shown]
	global_store_dwordx4 v[6:7], v[2:5], off
	s_or_b64 exec, exec, s[2:3]
	v_cmp_gt_u32_e32 vcc, 64, v0
	s_and_saveexec_b64 s[2:3], vcc
	s_cbranch_execz .LBB2_10
.LBB2_12:
	v_mov_b32_e32 v1, 0
	v_lshlrev_b64 v[2:3], 4, v[0:1]
	v_mov_b32_e32 v0, s1
	v_add_co_u32_e32 v4, vcc, s0, v2
	v_addc_co_u32_e32 v5, vcc, v0, v3, vcc
	v_mov_b32_e32 v2, 0xff
	v_mov_b32_e32 v0, v1
	;; [unrolled: 1-line block ×3, first 2 shown]
	global_store_dwordx4 v[4:5], v[0:3], off
	s_endpgm
	.section	.rodata,"a",@progbits
	.p2align	6, 0x0
	.amdhsa_kernel _ZN7rocprim17ROCPRIM_400000_NS6detail30init_device_scan_by_key_kernelINS1_19lookback_scan_stateINS0_5tupleIJibEEELb0ELb1EEENS1_16block_id_wrapperIjLb0EEEEEvT_jjPNS9_10value_typeET0_
		.amdhsa_group_segment_fixed_size 0
		.amdhsa_private_segment_fixed_size 0
		.amdhsa_kernarg_size 288
		.amdhsa_user_sgpr_count 6
		.amdhsa_user_sgpr_private_segment_buffer 1
		.amdhsa_user_sgpr_dispatch_ptr 0
		.amdhsa_user_sgpr_queue_ptr 0
		.amdhsa_user_sgpr_kernarg_segment_ptr 1
		.amdhsa_user_sgpr_dispatch_id 0
		.amdhsa_user_sgpr_flat_scratch_init 0
		.amdhsa_user_sgpr_kernarg_preload_length 0
		.amdhsa_user_sgpr_kernarg_preload_offset 0
		.amdhsa_user_sgpr_private_segment_size 0
		.amdhsa_uses_dynamic_stack 0
		.amdhsa_system_sgpr_private_segment_wavefront_offset 0
		.amdhsa_system_sgpr_workgroup_id_x 1
		.amdhsa_system_sgpr_workgroup_id_y 0
		.amdhsa_system_sgpr_workgroup_id_z 0
		.amdhsa_system_sgpr_workgroup_info 0
		.amdhsa_system_vgpr_workitem_id 0
		.amdhsa_next_free_vgpr 10
		.amdhsa_next_free_sgpr 14
		.amdhsa_accum_offset 12
		.amdhsa_reserve_vcc 1
		.amdhsa_reserve_flat_scratch 0
		.amdhsa_float_round_mode_32 0
		.amdhsa_float_round_mode_16_64 0
		.amdhsa_float_denorm_mode_32 3
		.amdhsa_float_denorm_mode_16_64 3
		.amdhsa_dx10_clamp 1
		.amdhsa_ieee_mode 1
		.amdhsa_fp16_overflow 0
		.amdhsa_tg_split 0
		.amdhsa_exception_fp_ieee_invalid_op 0
		.amdhsa_exception_fp_denorm_src 0
		.amdhsa_exception_fp_ieee_div_zero 0
		.amdhsa_exception_fp_ieee_overflow 0
		.amdhsa_exception_fp_ieee_underflow 0
		.amdhsa_exception_fp_ieee_inexact 0
		.amdhsa_exception_int_div_zero 0
	.end_amdhsa_kernel
	.section	.text._ZN7rocprim17ROCPRIM_400000_NS6detail30init_device_scan_by_key_kernelINS1_19lookback_scan_stateINS0_5tupleIJibEEELb0ELb1EEENS1_16block_id_wrapperIjLb0EEEEEvT_jjPNS9_10value_typeET0_,"axG",@progbits,_ZN7rocprim17ROCPRIM_400000_NS6detail30init_device_scan_by_key_kernelINS1_19lookback_scan_stateINS0_5tupleIJibEEELb0ELb1EEENS1_16block_id_wrapperIjLb0EEEEEvT_jjPNS9_10value_typeET0_,comdat
.Lfunc_end2:
	.size	_ZN7rocprim17ROCPRIM_400000_NS6detail30init_device_scan_by_key_kernelINS1_19lookback_scan_stateINS0_5tupleIJibEEELb0ELb1EEENS1_16block_id_wrapperIjLb0EEEEEvT_jjPNS9_10value_typeET0_, .Lfunc_end2-_ZN7rocprim17ROCPRIM_400000_NS6detail30init_device_scan_by_key_kernelINS1_19lookback_scan_stateINS0_5tupleIJibEEELb0ELb1EEENS1_16block_id_wrapperIjLb0EEEEEvT_jjPNS9_10value_typeET0_
                                        ; -- End function
	.section	.AMDGPU.csdata,"",@progbits
; Kernel info:
; codeLenInByte = 372
; NumSgprs: 18
; NumVgprs: 10
; NumAgprs: 0
; TotalNumVgprs: 10
; ScratchSize: 0
; MemoryBound: 0
; FloatMode: 240
; IeeeMode: 1
; LDSByteSize: 0 bytes/workgroup (compile time only)
; SGPRBlocks: 2
; VGPRBlocks: 1
; NumSGPRsForWavesPerEU: 18
; NumVGPRsForWavesPerEU: 10
; AccumOffset: 12
; Occupancy: 8
; WaveLimiterHint : 0
; COMPUTE_PGM_RSRC2:SCRATCH_EN: 0
; COMPUTE_PGM_RSRC2:USER_SGPR: 6
; COMPUTE_PGM_RSRC2:TRAP_HANDLER: 0
; COMPUTE_PGM_RSRC2:TGID_X_EN: 1
; COMPUTE_PGM_RSRC2:TGID_Y_EN: 0
; COMPUTE_PGM_RSRC2:TGID_Z_EN: 0
; COMPUTE_PGM_RSRC2:TIDIG_COMP_CNT: 0
; COMPUTE_PGM_RSRC3_GFX90A:ACCUM_OFFSET: 2
; COMPUTE_PGM_RSRC3_GFX90A:TG_SPLIT: 0
	.section	.text._ZN7rocprim17ROCPRIM_400000_NS6detail17trampoline_kernelINS0_14default_configENS1_27scan_by_key_config_selectorIiiEEZZNS1_16scan_by_key_implILNS1_25lookback_scan_determinismE0ELb0ES3_N6thrust23THRUST_200600_302600_NS6detail15normal_iteratorINS9_10device_ptrIiEEEESE_SE_iNS9_4plusIvEENS9_8equal_toIvEEiEE10hipError_tPvRmT2_T3_T4_T5_mT6_T7_P12ihipStream_tbENKUlT_T0_E_clISt17integral_constantIbLb0EESZ_EEDaSU_SV_EUlSU_E_NS1_11comp_targetILNS1_3genE0ELNS1_11target_archE4294967295ELNS1_3gpuE0ELNS1_3repE0EEENS1_30default_config_static_selectorELNS0_4arch9wavefront6targetE1EEEvT1_,"axG",@progbits,_ZN7rocprim17ROCPRIM_400000_NS6detail17trampoline_kernelINS0_14default_configENS1_27scan_by_key_config_selectorIiiEEZZNS1_16scan_by_key_implILNS1_25lookback_scan_determinismE0ELb0ES3_N6thrust23THRUST_200600_302600_NS6detail15normal_iteratorINS9_10device_ptrIiEEEESE_SE_iNS9_4plusIvEENS9_8equal_toIvEEiEE10hipError_tPvRmT2_T3_T4_T5_mT6_T7_P12ihipStream_tbENKUlT_T0_E_clISt17integral_constantIbLb0EESZ_EEDaSU_SV_EUlSU_E_NS1_11comp_targetILNS1_3genE0ELNS1_11target_archE4294967295ELNS1_3gpuE0ELNS1_3repE0EEENS1_30default_config_static_selectorELNS0_4arch9wavefront6targetE1EEEvT1_,comdat
	.protected	_ZN7rocprim17ROCPRIM_400000_NS6detail17trampoline_kernelINS0_14default_configENS1_27scan_by_key_config_selectorIiiEEZZNS1_16scan_by_key_implILNS1_25lookback_scan_determinismE0ELb0ES3_N6thrust23THRUST_200600_302600_NS6detail15normal_iteratorINS9_10device_ptrIiEEEESE_SE_iNS9_4plusIvEENS9_8equal_toIvEEiEE10hipError_tPvRmT2_T3_T4_T5_mT6_T7_P12ihipStream_tbENKUlT_T0_E_clISt17integral_constantIbLb0EESZ_EEDaSU_SV_EUlSU_E_NS1_11comp_targetILNS1_3genE0ELNS1_11target_archE4294967295ELNS1_3gpuE0ELNS1_3repE0EEENS1_30default_config_static_selectorELNS0_4arch9wavefront6targetE1EEEvT1_ ; -- Begin function _ZN7rocprim17ROCPRIM_400000_NS6detail17trampoline_kernelINS0_14default_configENS1_27scan_by_key_config_selectorIiiEEZZNS1_16scan_by_key_implILNS1_25lookback_scan_determinismE0ELb0ES3_N6thrust23THRUST_200600_302600_NS6detail15normal_iteratorINS9_10device_ptrIiEEEESE_SE_iNS9_4plusIvEENS9_8equal_toIvEEiEE10hipError_tPvRmT2_T3_T4_T5_mT6_T7_P12ihipStream_tbENKUlT_T0_E_clISt17integral_constantIbLb0EESZ_EEDaSU_SV_EUlSU_E_NS1_11comp_targetILNS1_3genE0ELNS1_11target_archE4294967295ELNS1_3gpuE0ELNS1_3repE0EEENS1_30default_config_static_selectorELNS0_4arch9wavefront6targetE1EEEvT1_
	.globl	_ZN7rocprim17ROCPRIM_400000_NS6detail17trampoline_kernelINS0_14default_configENS1_27scan_by_key_config_selectorIiiEEZZNS1_16scan_by_key_implILNS1_25lookback_scan_determinismE0ELb0ES3_N6thrust23THRUST_200600_302600_NS6detail15normal_iteratorINS9_10device_ptrIiEEEESE_SE_iNS9_4plusIvEENS9_8equal_toIvEEiEE10hipError_tPvRmT2_T3_T4_T5_mT6_T7_P12ihipStream_tbENKUlT_T0_E_clISt17integral_constantIbLb0EESZ_EEDaSU_SV_EUlSU_E_NS1_11comp_targetILNS1_3genE0ELNS1_11target_archE4294967295ELNS1_3gpuE0ELNS1_3repE0EEENS1_30default_config_static_selectorELNS0_4arch9wavefront6targetE1EEEvT1_
	.p2align	8
	.type	_ZN7rocprim17ROCPRIM_400000_NS6detail17trampoline_kernelINS0_14default_configENS1_27scan_by_key_config_selectorIiiEEZZNS1_16scan_by_key_implILNS1_25lookback_scan_determinismE0ELb0ES3_N6thrust23THRUST_200600_302600_NS6detail15normal_iteratorINS9_10device_ptrIiEEEESE_SE_iNS9_4plusIvEENS9_8equal_toIvEEiEE10hipError_tPvRmT2_T3_T4_T5_mT6_T7_P12ihipStream_tbENKUlT_T0_E_clISt17integral_constantIbLb0EESZ_EEDaSU_SV_EUlSU_E_NS1_11comp_targetILNS1_3genE0ELNS1_11target_archE4294967295ELNS1_3gpuE0ELNS1_3repE0EEENS1_30default_config_static_selectorELNS0_4arch9wavefront6targetE1EEEvT1_,@function
_ZN7rocprim17ROCPRIM_400000_NS6detail17trampoline_kernelINS0_14default_configENS1_27scan_by_key_config_selectorIiiEEZZNS1_16scan_by_key_implILNS1_25lookback_scan_determinismE0ELb0ES3_N6thrust23THRUST_200600_302600_NS6detail15normal_iteratorINS9_10device_ptrIiEEEESE_SE_iNS9_4plusIvEENS9_8equal_toIvEEiEE10hipError_tPvRmT2_T3_T4_T5_mT6_T7_P12ihipStream_tbENKUlT_T0_E_clISt17integral_constantIbLb0EESZ_EEDaSU_SV_EUlSU_E_NS1_11comp_targetILNS1_3genE0ELNS1_11target_archE4294967295ELNS1_3gpuE0ELNS1_3repE0EEENS1_30default_config_static_selectorELNS0_4arch9wavefront6targetE1EEEvT1_: ; @_ZN7rocprim17ROCPRIM_400000_NS6detail17trampoline_kernelINS0_14default_configENS1_27scan_by_key_config_selectorIiiEEZZNS1_16scan_by_key_implILNS1_25lookback_scan_determinismE0ELb0ES3_N6thrust23THRUST_200600_302600_NS6detail15normal_iteratorINS9_10device_ptrIiEEEESE_SE_iNS9_4plusIvEENS9_8equal_toIvEEiEE10hipError_tPvRmT2_T3_T4_T5_mT6_T7_P12ihipStream_tbENKUlT_T0_E_clISt17integral_constantIbLb0EESZ_EEDaSU_SV_EUlSU_E_NS1_11comp_targetILNS1_3genE0ELNS1_11target_archE4294967295ELNS1_3gpuE0ELNS1_3repE0EEENS1_30default_config_static_selectorELNS0_4arch9wavefront6targetE1EEEvT1_
; %bb.0:
	.section	.rodata,"a",@progbits
	.p2align	6, 0x0
	.amdhsa_kernel _ZN7rocprim17ROCPRIM_400000_NS6detail17trampoline_kernelINS0_14default_configENS1_27scan_by_key_config_selectorIiiEEZZNS1_16scan_by_key_implILNS1_25lookback_scan_determinismE0ELb0ES3_N6thrust23THRUST_200600_302600_NS6detail15normal_iteratorINS9_10device_ptrIiEEEESE_SE_iNS9_4plusIvEENS9_8equal_toIvEEiEE10hipError_tPvRmT2_T3_T4_T5_mT6_T7_P12ihipStream_tbENKUlT_T0_E_clISt17integral_constantIbLb0EESZ_EEDaSU_SV_EUlSU_E_NS1_11comp_targetILNS1_3genE0ELNS1_11target_archE4294967295ELNS1_3gpuE0ELNS1_3repE0EEENS1_30default_config_static_selectorELNS0_4arch9wavefront6targetE1EEEvT1_
		.amdhsa_group_segment_fixed_size 0
		.amdhsa_private_segment_fixed_size 0
		.amdhsa_kernarg_size 112
		.amdhsa_user_sgpr_count 6
		.amdhsa_user_sgpr_private_segment_buffer 1
		.amdhsa_user_sgpr_dispatch_ptr 0
		.amdhsa_user_sgpr_queue_ptr 0
		.amdhsa_user_sgpr_kernarg_segment_ptr 1
		.amdhsa_user_sgpr_dispatch_id 0
		.amdhsa_user_sgpr_flat_scratch_init 0
		.amdhsa_user_sgpr_kernarg_preload_length 0
		.amdhsa_user_sgpr_kernarg_preload_offset 0
		.amdhsa_user_sgpr_private_segment_size 0
		.amdhsa_uses_dynamic_stack 0
		.amdhsa_system_sgpr_private_segment_wavefront_offset 0
		.amdhsa_system_sgpr_workgroup_id_x 1
		.amdhsa_system_sgpr_workgroup_id_y 0
		.amdhsa_system_sgpr_workgroup_id_z 0
		.amdhsa_system_sgpr_workgroup_info 0
		.amdhsa_system_vgpr_workitem_id 0
		.amdhsa_next_free_vgpr 1
		.amdhsa_next_free_sgpr 0
		.amdhsa_accum_offset 4
		.amdhsa_reserve_vcc 0
		.amdhsa_reserve_flat_scratch 0
		.amdhsa_float_round_mode_32 0
		.amdhsa_float_round_mode_16_64 0
		.amdhsa_float_denorm_mode_32 3
		.amdhsa_float_denorm_mode_16_64 3
		.amdhsa_dx10_clamp 1
		.amdhsa_ieee_mode 1
		.amdhsa_fp16_overflow 0
		.amdhsa_tg_split 0
		.amdhsa_exception_fp_ieee_invalid_op 0
		.amdhsa_exception_fp_denorm_src 0
		.amdhsa_exception_fp_ieee_div_zero 0
		.amdhsa_exception_fp_ieee_overflow 0
		.amdhsa_exception_fp_ieee_underflow 0
		.amdhsa_exception_fp_ieee_inexact 0
		.amdhsa_exception_int_div_zero 0
	.end_amdhsa_kernel
	.section	.text._ZN7rocprim17ROCPRIM_400000_NS6detail17trampoline_kernelINS0_14default_configENS1_27scan_by_key_config_selectorIiiEEZZNS1_16scan_by_key_implILNS1_25lookback_scan_determinismE0ELb0ES3_N6thrust23THRUST_200600_302600_NS6detail15normal_iteratorINS9_10device_ptrIiEEEESE_SE_iNS9_4plusIvEENS9_8equal_toIvEEiEE10hipError_tPvRmT2_T3_T4_T5_mT6_T7_P12ihipStream_tbENKUlT_T0_E_clISt17integral_constantIbLb0EESZ_EEDaSU_SV_EUlSU_E_NS1_11comp_targetILNS1_3genE0ELNS1_11target_archE4294967295ELNS1_3gpuE0ELNS1_3repE0EEENS1_30default_config_static_selectorELNS0_4arch9wavefront6targetE1EEEvT1_,"axG",@progbits,_ZN7rocprim17ROCPRIM_400000_NS6detail17trampoline_kernelINS0_14default_configENS1_27scan_by_key_config_selectorIiiEEZZNS1_16scan_by_key_implILNS1_25lookback_scan_determinismE0ELb0ES3_N6thrust23THRUST_200600_302600_NS6detail15normal_iteratorINS9_10device_ptrIiEEEESE_SE_iNS9_4plusIvEENS9_8equal_toIvEEiEE10hipError_tPvRmT2_T3_T4_T5_mT6_T7_P12ihipStream_tbENKUlT_T0_E_clISt17integral_constantIbLb0EESZ_EEDaSU_SV_EUlSU_E_NS1_11comp_targetILNS1_3genE0ELNS1_11target_archE4294967295ELNS1_3gpuE0ELNS1_3repE0EEENS1_30default_config_static_selectorELNS0_4arch9wavefront6targetE1EEEvT1_,comdat
.Lfunc_end3:
	.size	_ZN7rocprim17ROCPRIM_400000_NS6detail17trampoline_kernelINS0_14default_configENS1_27scan_by_key_config_selectorIiiEEZZNS1_16scan_by_key_implILNS1_25lookback_scan_determinismE0ELb0ES3_N6thrust23THRUST_200600_302600_NS6detail15normal_iteratorINS9_10device_ptrIiEEEESE_SE_iNS9_4plusIvEENS9_8equal_toIvEEiEE10hipError_tPvRmT2_T3_T4_T5_mT6_T7_P12ihipStream_tbENKUlT_T0_E_clISt17integral_constantIbLb0EESZ_EEDaSU_SV_EUlSU_E_NS1_11comp_targetILNS1_3genE0ELNS1_11target_archE4294967295ELNS1_3gpuE0ELNS1_3repE0EEENS1_30default_config_static_selectorELNS0_4arch9wavefront6targetE1EEEvT1_, .Lfunc_end3-_ZN7rocprim17ROCPRIM_400000_NS6detail17trampoline_kernelINS0_14default_configENS1_27scan_by_key_config_selectorIiiEEZZNS1_16scan_by_key_implILNS1_25lookback_scan_determinismE0ELb0ES3_N6thrust23THRUST_200600_302600_NS6detail15normal_iteratorINS9_10device_ptrIiEEEESE_SE_iNS9_4plusIvEENS9_8equal_toIvEEiEE10hipError_tPvRmT2_T3_T4_T5_mT6_T7_P12ihipStream_tbENKUlT_T0_E_clISt17integral_constantIbLb0EESZ_EEDaSU_SV_EUlSU_E_NS1_11comp_targetILNS1_3genE0ELNS1_11target_archE4294967295ELNS1_3gpuE0ELNS1_3repE0EEENS1_30default_config_static_selectorELNS0_4arch9wavefront6targetE1EEEvT1_
                                        ; -- End function
	.section	.AMDGPU.csdata,"",@progbits
; Kernel info:
; codeLenInByte = 0
; NumSgprs: 4
; NumVgprs: 0
; NumAgprs: 0
; TotalNumVgprs: 0
; ScratchSize: 0
; MemoryBound: 0
; FloatMode: 240
; IeeeMode: 1
; LDSByteSize: 0 bytes/workgroup (compile time only)
; SGPRBlocks: 0
; VGPRBlocks: 0
; NumSGPRsForWavesPerEU: 4
; NumVGPRsForWavesPerEU: 1
; AccumOffset: 4
; Occupancy: 8
; WaveLimiterHint : 0
; COMPUTE_PGM_RSRC2:SCRATCH_EN: 0
; COMPUTE_PGM_RSRC2:USER_SGPR: 6
; COMPUTE_PGM_RSRC2:TRAP_HANDLER: 0
; COMPUTE_PGM_RSRC2:TGID_X_EN: 1
; COMPUTE_PGM_RSRC2:TGID_Y_EN: 0
; COMPUTE_PGM_RSRC2:TGID_Z_EN: 0
; COMPUTE_PGM_RSRC2:TIDIG_COMP_CNT: 0
; COMPUTE_PGM_RSRC3_GFX90A:ACCUM_OFFSET: 0
; COMPUTE_PGM_RSRC3_GFX90A:TG_SPLIT: 0
	.section	.text._ZN7rocprim17ROCPRIM_400000_NS6detail17trampoline_kernelINS0_14default_configENS1_27scan_by_key_config_selectorIiiEEZZNS1_16scan_by_key_implILNS1_25lookback_scan_determinismE0ELb0ES3_N6thrust23THRUST_200600_302600_NS6detail15normal_iteratorINS9_10device_ptrIiEEEESE_SE_iNS9_4plusIvEENS9_8equal_toIvEEiEE10hipError_tPvRmT2_T3_T4_T5_mT6_T7_P12ihipStream_tbENKUlT_T0_E_clISt17integral_constantIbLb0EESZ_EEDaSU_SV_EUlSU_E_NS1_11comp_targetILNS1_3genE10ELNS1_11target_archE1201ELNS1_3gpuE5ELNS1_3repE0EEENS1_30default_config_static_selectorELNS0_4arch9wavefront6targetE1EEEvT1_,"axG",@progbits,_ZN7rocprim17ROCPRIM_400000_NS6detail17trampoline_kernelINS0_14default_configENS1_27scan_by_key_config_selectorIiiEEZZNS1_16scan_by_key_implILNS1_25lookback_scan_determinismE0ELb0ES3_N6thrust23THRUST_200600_302600_NS6detail15normal_iteratorINS9_10device_ptrIiEEEESE_SE_iNS9_4plusIvEENS9_8equal_toIvEEiEE10hipError_tPvRmT2_T3_T4_T5_mT6_T7_P12ihipStream_tbENKUlT_T0_E_clISt17integral_constantIbLb0EESZ_EEDaSU_SV_EUlSU_E_NS1_11comp_targetILNS1_3genE10ELNS1_11target_archE1201ELNS1_3gpuE5ELNS1_3repE0EEENS1_30default_config_static_selectorELNS0_4arch9wavefront6targetE1EEEvT1_,comdat
	.protected	_ZN7rocprim17ROCPRIM_400000_NS6detail17trampoline_kernelINS0_14default_configENS1_27scan_by_key_config_selectorIiiEEZZNS1_16scan_by_key_implILNS1_25lookback_scan_determinismE0ELb0ES3_N6thrust23THRUST_200600_302600_NS6detail15normal_iteratorINS9_10device_ptrIiEEEESE_SE_iNS9_4plusIvEENS9_8equal_toIvEEiEE10hipError_tPvRmT2_T3_T4_T5_mT6_T7_P12ihipStream_tbENKUlT_T0_E_clISt17integral_constantIbLb0EESZ_EEDaSU_SV_EUlSU_E_NS1_11comp_targetILNS1_3genE10ELNS1_11target_archE1201ELNS1_3gpuE5ELNS1_3repE0EEENS1_30default_config_static_selectorELNS0_4arch9wavefront6targetE1EEEvT1_ ; -- Begin function _ZN7rocprim17ROCPRIM_400000_NS6detail17trampoline_kernelINS0_14default_configENS1_27scan_by_key_config_selectorIiiEEZZNS1_16scan_by_key_implILNS1_25lookback_scan_determinismE0ELb0ES3_N6thrust23THRUST_200600_302600_NS6detail15normal_iteratorINS9_10device_ptrIiEEEESE_SE_iNS9_4plusIvEENS9_8equal_toIvEEiEE10hipError_tPvRmT2_T3_T4_T5_mT6_T7_P12ihipStream_tbENKUlT_T0_E_clISt17integral_constantIbLb0EESZ_EEDaSU_SV_EUlSU_E_NS1_11comp_targetILNS1_3genE10ELNS1_11target_archE1201ELNS1_3gpuE5ELNS1_3repE0EEENS1_30default_config_static_selectorELNS0_4arch9wavefront6targetE1EEEvT1_
	.globl	_ZN7rocprim17ROCPRIM_400000_NS6detail17trampoline_kernelINS0_14default_configENS1_27scan_by_key_config_selectorIiiEEZZNS1_16scan_by_key_implILNS1_25lookback_scan_determinismE0ELb0ES3_N6thrust23THRUST_200600_302600_NS6detail15normal_iteratorINS9_10device_ptrIiEEEESE_SE_iNS9_4plusIvEENS9_8equal_toIvEEiEE10hipError_tPvRmT2_T3_T4_T5_mT6_T7_P12ihipStream_tbENKUlT_T0_E_clISt17integral_constantIbLb0EESZ_EEDaSU_SV_EUlSU_E_NS1_11comp_targetILNS1_3genE10ELNS1_11target_archE1201ELNS1_3gpuE5ELNS1_3repE0EEENS1_30default_config_static_selectorELNS0_4arch9wavefront6targetE1EEEvT1_
	.p2align	8
	.type	_ZN7rocprim17ROCPRIM_400000_NS6detail17trampoline_kernelINS0_14default_configENS1_27scan_by_key_config_selectorIiiEEZZNS1_16scan_by_key_implILNS1_25lookback_scan_determinismE0ELb0ES3_N6thrust23THRUST_200600_302600_NS6detail15normal_iteratorINS9_10device_ptrIiEEEESE_SE_iNS9_4plusIvEENS9_8equal_toIvEEiEE10hipError_tPvRmT2_T3_T4_T5_mT6_T7_P12ihipStream_tbENKUlT_T0_E_clISt17integral_constantIbLb0EESZ_EEDaSU_SV_EUlSU_E_NS1_11comp_targetILNS1_3genE10ELNS1_11target_archE1201ELNS1_3gpuE5ELNS1_3repE0EEENS1_30default_config_static_selectorELNS0_4arch9wavefront6targetE1EEEvT1_,@function
_ZN7rocprim17ROCPRIM_400000_NS6detail17trampoline_kernelINS0_14default_configENS1_27scan_by_key_config_selectorIiiEEZZNS1_16scan_by_key_implILNS1_25lookback_scan_determinismE0ELb0ES3_N6thrust23THRUST_200600_302600_NS6detail15normal_iteratorINS9_10device_ptrIiEEEESE_SE_iNS9_4plusIvEENS9_8equal_toIvEEiEE10hipError_tPvRmT2_T3_T4_T5_mT6_T7_P12ihipStream_tbENKUlT_T0_E_clISt17integral_constantIbLb0EESZ_EEDaSU_SV_EUlSU_E_NS1_11comp_targetILNS1_3genE10ELNS1_11target_archE1201ELNS1_3gpuE5ELNS1_3repE0EEENS1_30default_config_static_selectorELNS0_4arch9wavefront6targetE1EEEvT1_: ; @_ZN7rocprim17ROCPRIM_400000_NS6detail17trampoline_kernelINS0_14default_configENS1_27scan_by_key_config_selectorIiiEEZZNS1_16scan_by_key_implILNS1_25lookback_scan_determinismE0ELb0ES3_N6thrust23THRUST_200600_302600_NS6detail15normal_iteratorINS9_10device_ptrIiEEEESE_SE_iNS9_4plusIvEENS9_8equal_toIvEEiEE10hipError_tPvRmT2_T3_T4_T5_mT6_T7_P12ihipStream_tbENKUlT_T0_E_clISt17integral_constantIbLb0EESZ_EEDaSU_SV_EUlSU_E_NS1_11comp_targetILNS1_3genE10ELNS1_11target_archE1201ELNS1_3gpuE5ELNS1_3repE0EEENS1_30default_config_static_selectorELNS0_4arch9wavefront6targetE1EEEvT1_
; %bb.0:
	.section	.rodata,"a",@progbits
	.p2align	6, 0x0
	.amdhsa_kernel _ZN7rocprim17ROCPRIM_400000_NS6detail17trampoline_kernelINS0_14default_configENS1_27scan_by_key_config_selectorIiiEEZZNS1_16scan_by_key_implILNS1_25lookback_scan_determinismE0ELb0ES3_N6thrust23THRUST_200600_302600_NS6detail15normal_iteratorINS9_10device_ptrIiEEEESE_SE_iNS9_4plusIvEENS9_8equal_toIvEEiEE10hipError_tPvRmT2_T3_T4_T5_mT6_T7_P12ihipStream_tbENKUlT_T0_E_clISt17integral_constantIbLb0EESZ_EEDaSU_SV_EUlSU_E_NS1_11comp_targetILNS1_3genE10ELNS1_11target_archE1201ELNS1_3gpuE5ELNS1_3repE0EEENS1_30default_config_static_selectorELNS0_4arch9wavefront6targetE1EEEvT1_
		.amdhsa_group_segment_fixed_size 0
		.amdhsa_private_segment_fixed_size 0
		.amdhsa_kernarg_size 112
		.amdhsa_user_sgpr_count 6
		.amdhsa_user_sgpr_private_segment_buffer 1
		.amdhsa_user_sgpr_dispatch_ptr 0
		.amdhsa_user_sgpr_queue_ptr 0
		.amdhsa_user_sgpr_kernarg_segment_ptr 1
		.amdhsa_user_sgpr_dispatch_id 0
		.amdhsa_user_sgpr_flat_scratch_init 0
		.amdhsa_user_sgpr_kernarg_preload_length 0
		.amdhsa_user_sgpr_kernarg_preload_offset 0
		.amdhsa_user_sgpr_private_segment_size 0
		.amdhsa_uses_dynamic_stack 0
		.amdhsa_system_sgpr_private_segment_wavefront_offset 0
		.amdhsa_system_sgpr_workgroup_id_x 1
		.amdhsa_system_sgpr_workgroup_id_y 0
		.amdhsa_system_sgpr_workgroup_id_z 0
		.amdhsa_system_sgpr_workgroup_info 0
		.amdhsa_system_vgpr_workitem_id 0
		.amdhsa_next_free_vgpr 1
		.amdhsa_next_free_sgpr 0
		.amdhsa_accum_offset 4
		.amdhsa_reserve_vcc 0
		.amdhsa_reserve_flat_scratch 0
		.amdhsa_float_round_mode_32 0
		.amdhsa_float_round_mode_16_64 0
		.amdhsa_float_denorm_mode_32 3
		.amdhsa_float_denorm_mode_16_64 3
		.amdhsa_dx10_clamp 1
		.amdhsa_ieee_mode 1
		.amdhsa_fp16_overflow 0
		.amdhsa_tg_split 0
		.amdhsa_exception_fp_ieee_invalid_op 0
		.amdhsa_exception_fp_denorm_src 0
		.amdhsa_exception_fp_ieee_div_zero 0
		.amdhsa_exception_fp_ieee_overflow 0
		.amdhsa_exception_fp_ieee_underflow 0
		.amdhsa_exception_fp_ieee_inexact 0
		.amdhsa_exception_int_div_zero 0
	.end_amdhsa_kernel
	.section	.text._ZN7rocprim17ROCPRIM_400000_NS6detail17trampoline_kernelINS0_14default_configENS1_27scan_by_key_config_selectorIiiEEZZNS1_16scan_by_key_implILNS1_25lookback_scan_determinismE0ELb0ES3_N6thrust23THRUST_200600_302600_NS6detail15normal_iteratorINS9_10device_ptrIiEEEESE_SE_iNS9_4plusIvEENS9_8equal_toIvEEiEE10hipError_tPvRmT2_T3_T4_T5_mT6_T7_P12ihipStream_tbENKUlT_T0_E_clISt17integral_constantIbLb0EESZ_EEDaSU_SV_EUlSU_E_NS1_11comp_targetILNS1_3genE10ELNS1_11target_archE1201ELNS1_3gpuE5ELNS1_3repE0EEENS1_30default_config_static_selectorELNS0_4arch9wavefront6targetE1EEEvT1_,"axG",@progbits,_ZN7rocprim17ROCPRIM_400000_NS6detail17trampoline_kernelINS0_14default_configENS1_27scan_by_key_config_selectorIiiEEZZNS1_16scan_by_key_implILNS1_25lookback_scan_determinismE0ELb0ES3_N6thrust23THRUST_200600_302600_NS6detail15normal_iteratorINS9_10device_ptrIiEEEESE_SE_iNS9_4plusIvEENS9_8equal_toIvEEiEE10hipError_tPvRmT2_T3_T4_T5_mT6_T7_P12ihipStream_tbENKUlT_T0_E_clISt17integral_constantIbLb0EESZ_EEDaSU_SV_EUlSU_E_NS1_11comp_targetILNS1_3genE10ELNS1_11target_archE1201ELNS1_3gpuE5ELNS1_3repE0EEENS1_30default_config_static_selectorELNS0_4arch9wavefront6targetE1EEEvT1_,comdat
.Lfunc_end4:
	.size	_ZN7rocprim17ROCPRIM_400000_NS6detail17trampoline_kernelINS0_14default_configENS1_27scan_by_key_config_selectorIiiEEZZNS1_16scan_by_key_implILNS1_25lookback_scan_determinismE0ELb0ES3_N6thrust23THRUST_200600_302600_NS6detail15normal_iteratorINS9_10device_ptrIiEEEESE_SE_iNS9_4plusIvEENS9_8equal_toIvEEiEE10hipError_tPvRmT2_T3_T4_T5_mT6_T7_P12ihipStream_tbENKUlT_T0_E_clISt17integral_constantIbLb0EESZ_EEDaSU_SV_EUlSU_E_NS1_11comp_targetILNS1_3genE10ELNS1_11target_archE1201ELNS1_3gpuE5ELNS1_3repE0EEENS1_30default_config_static_selectorELNS0_4arch9wavefront6targetE1EEEvT1_, .Lfunc_end4-_ZN7rocprim17ROCPRIM_400000_NS6detail17trampoline_kernelINS0_14default_configENS1_27scan_by_key_config_selectorIiiEEZZNS1_16scan_by_key_implILNS1_25lookback_scan_determinismE0ELb0ES3_N6thrust23THRUST_200600_302600_NS6detail15normal_iteratorINS9_10device_ptrIiEEEESE_SE_iNS9_4plusIvEENS9_8equal_toIvEEiEE10hipError_tPvRmT2_T3_T4_T5_mT6_T7_P12ihipStream_tbENKUlT_T0_E_clISt17integral_constantIbLb0EESZ_EEDaSU_SV_EUlSU_E_NS1_11comp_targetILNS1_3genE10ELNS1_11target_archE1201ELNS1_3gpuE5ELNS1_3repE0EEENS1_30default_config_static_selectorELNS0_4arch9wavefront6targetE1EEEvT1_
                                        ; -- End function
	.section	.AMDGPU.csdata,"",@progbits
; Kernel info:
; codeLenInByte = 0
; NumSgprs: 4
; NumVgprs: 0
; NumAgprs: 0
; TotalNumVgprs: 0
; ScratchSize: 0
; MemoryBound: 0
; FloatMode: 240
; IeeeMode: 1
; LDSByteSize: 0 bytes/workgroup (compile time only)
; SGPRBlocks: 0
; VGPRBlocks: 0
; NumSGPRsForWavesPerEU: 4
; NumVGPRsForWavesPerEU: 1
; AccumOffset: 4
; Occupancy: 8
; WaveLimiterHint : 0
; COMPUTE_PGM_RSRC2:SCRATCH_EN: 0
; COMPUTE_PGM_RSRC2:USER_SGPR: 6
; COMPUTE_PGM_RSRC2:TRAP_HANDLER: 0
; COMPUTE_PGM_RSRC2:TGID_X_EN: 1
; COMPUTE_PGM_RSRC2:TGID_Y_EN: 0
; COMPUTE_PGM_RSRC2:TGID_Z_EN: 0
; COMPUTE_PGM_RSRC2:TIDIG_COMP_CNT: 0
; COMPUTE_PGM_RSRC3_GFX90A:ACCUM_OFFSET: 0
; COMPUTE_PGM_RSRC3_GFX90A:TG_SPLIT: 0
	.section	.text._ZN7rocprim17ROCPRIM_400000_NS6detail17trampoline_kernelINS0_14default_configENS1_27scan_by_key_config_selectorIiiEEZZNS1_16scan_by_key_implILNS1_25lookback_scan_determinismE0ELb0ES3_N6thrust23THRUST_200600_302600_NS6detail15normal_iteratorINS9_10device_ptrIiEEEESE_SE_iNS9_4plusIvEENS9_8equal_toIvEEiEE10hipError_tPvRmT2_T3_T4_T5_mT6_T7_P12ihipStream_tbENKUlT_T0_E_clISt17integral_constantIbLb0EESZ_EEDaSU_SV_EUlSU_E_NS1_11comp_targetILNS1_3genE5ELNS1_11target_archE942ELNS1_3gpuE9ELNS1_3repE0EEENS1_30default_config_static_selectorELNS0_4arch9wavefront6targetE1EEEvT1_,"axG",@progbits,_ZN7rocprim17ROCPRIM_400000_NS6detail17trampoline_kernelINS0_14default_configENS1_27scan_by_key_config_selectorIiiEEZZNS1_16scan_by_key_implILNS1_25lookback_scan_determinismE0ELb0ES3_N6thrust23THRUST_200600_302600_NS6detail15normal_iteratorINS9_10device_ptrIiEEEESE_SE_iNS9_4plusIvEENS9_8equal_toIvEEiEE10hipError_tPvRmT2_T3_T4_T5_mT6_T7_P12ihipStream_tbENKUlT_T0_E_clISt17integral_constantIbLb0EESZ_EEDaSU_SV_EUlSU_E_NS1_11comp_targetILNS1_3genE5ELNS1_11target_archE942ELNS1_3gpuE9ELNS1_3repE0EEENS1_30default_config_static_selectorELNS0_4arch9wavefront6targetE1EEEvT1_,comdat
	.protected	_ZN7rocprim17ROCPRIM_400000_NS6detail17trampoline_kernelINS0_14default_configENS1_27scan_by_key_config_selectorIiiEEZZNS1_16scan_by_key_implILNS1_25lookback_scan_determinismE0ELb0ES3_N6thrust23THRUST_200600_302600_NS6detail15normal_iteratorINS9_10device_ptrIiEEEESE_SE_iNS9_4plusIvEENS9_8equal_toIvEEiEE10hipError_tPvRmT2_T3_T4_T5_mT6_T7_P12ihipStream_tbENKUlT_T0_E_clISt17integral_constantIbLb0EESZ_EEDaSU_SV_EUlSU_E_NS1_11comp_targetILNS1_3genE5ELNS1_11target_archE942ELNS1_3gpuE9ELNS1_3repE0EEENS1_30default_config_static_selectorELNS0_4arch9wavefront6targetE1EEEvT1_ ; -- Begin function _ZN7rocprim17ROCPRIM_400000_NS6detail17trampoline_kernelINS0_14default_configENS1_27scan_by_key_config_selectorIiiEEZZNS1_16scan_by_key_implILNS1_25lookback_scan_determinismE0ELb0ES3_N6thrust23THRUST_200600_302600_NS6detail15normal_iteratorINS9_10device_ptrIiEEEESE_SE_iNS9_4plusIvEENS9_8equal_toIvEEiEE10hipError_tPvRmT2_T3_T4_T5_mT6_T7_P12ihipStream_tbENKUlT_T0_E_clISt17integral_constantIbLb0EESZ_EEDaSU_SV_EUlSU_E_NS1_11comp_targetILNS1_3genE5ELNS1_11target_archE942ELNS1_3gpuE9ELNS1_3repE0EEENS1_30default_config_static_selectorELNS0_4arch9wavefront6targetE1EEEvT1_
	.globl	_ZN7rocprim17ROCPRIM_400000_NS6detail17trampoline_kernelINS0_14default_configENS1_27scan_by_key_config_selectorIiiEEZZNS1_16scan_by_key_implILNS1_25lookback_scan_determinismE0ELb0ES3_N6thrust23THRUST_200600_302600_NS6detail15normal_iteratorINS9_10device_ptrIiEEEESE_SE_iNS9_4plusIvEENS9_8equal_toIvEEiEE10hipError_tPvRmT2_T3_T4_T5_mT6_T7_P12ihipStream_tbENKUlT_T0_E_clISt17integral_constantIbLb0EESZ_EEDaSU_SV_EUlSU_E_NS1_11comp_targetILNS1_3genE5ELNS1_11target_archE942ELNS1_3gpuE9ELNS1_3repE0EEENS1_30default_config_static_selectorELNS0_4arch9wavefront6targetE1EEEvT1_
	.p2align	8
	.type	_ZN7rocprim17ROCPRIM_400000_NS6detail17trampoline_kernelINS0_14default_configENS1_27scan_by_key_config_selectorIiiEEZZNS1_16scan_by_key_implILNS1_25lookback_scan_determinismE0ELb0ES3_N6thrust23THRUST_200600_302600_NS6detail15normal_iteratorINS9_10device_ptrIiEEEESE_SE_iNS9_4plusIvEENS9_8equal_toIvEEiEE10hipError_tPvRmT2_T3_T4_T5_mT6_T7_P12ihipStream_tbENKUlT_T0_E_clISt17integral_constantIbLb0EESZ_EEDaSU_SV_EUlSU_E_NS1_11comp_targetILNS1_3genE5ELNS1_11target_archE942ELNS1_3gpuE9ELNS1_3repE0EEENS1_30default_config_static_selectorELNS0_4arch9wavefront6targetE1EEEvT1_,@function
_ZN7rocprim17ROCPRIM_400000_NS6detail17trampoline_kernelINS0_14default_configENS1_27scan_by_key_config_selectorIiiEEZZNS1_16scan_by_key_implILNS1_25lookback_scan_determinismE0ELb0ES3_N6thrust23THRUST_200600_302600_NS6detail15normal_iteratorINS9_10device_ptrIiEEEESE_SE_iNS9_4plusIvEENS9_8equal_toIvEEiEE10hipError_tPvRmT2_T3_T4_T5_mT6_T7_P12ihipStream_tbENKUlT_T0_E_clISt17integral_constantIbLb0EESZ_EEDaSU_SV_EUlSU_E_NS1_11comp_targetILNS1_3genE5ELNS1_11target_archE942ELNS1_3gpuE9ELNS1_3repE0EEENS1_30default_config_static_selectorELNS0_4arch9wavefront6targetE1EEEvT1_: ; @_ZN7rocprim17ROCPRIM_400000_NS6detail17trampoline_kernelINS0_14default_configENS1_27scan_by_key_config_selectorIiiEEZZNS1_16scan_by_key_implILNS1_25lookback_scan_determinismE0ELb0ES3_N6thrust23THRUST_200600_302600_NS6detail15normal_iteratorINS9_10device_ptrIiEEEESE_SE_iNS9_4plusIvEENS9_8equal_toIvEEiEE10hipError_tPvRmT2_T3_T4_T5_mT6_T7_P12ihipStream_tbENKUlT_T0_E_clISt17integral_constantIbLb0EESZ_EEDaSU_SV_EUlSU_E_NS1_11comp_targetILNS1_3genE5ELNS1_11target_archE942ELNS1_3gpuE9ELNS1_3repE0EEENS1_30default_config_static_selectorELNS0_4arch9wavefront6targetE1EEEvT1_
; %bb.0:
	.section	.rodata,"a",@progbits
	.p2align	6, 0x0
	.amdhsa_kernel _ZN7rocprim17ROCPRIM_400000_NS6detail17trampoline_kernelINS0_14default_configENS1_27scan_by_key_config_selectorIiiEEZZNS1_16scan_by_key_implILNS1_25lookback_scan_determinismE0ELb0ES3_N6thrust23THRUST_200600_302600_NS6detail15normal_iteratorINS9_10device_ptrIiEEEESE_SE_iNS9_4plusIvEENS9_8equal_toIvEEiEE10hipError_tPvRmT2_T3_T4_T5_mT6_T7_P12ihipStream_tbENKUlT_T0_E_clISt17integral_constantIbLb0EESZ_EEDaSU_SV_EUlSU_E_NS1_11comp_targetILNS1_3genE5ELNS1_11target_archE942ELNS1_3gpuE9ELNS1_3repE0EEENS1_30default_config_static_selectorELNS0_4arch9wavefront6targetE1EEEvT1_
		.amdhsa_group_segment_fixed_size 0
		.amdhsa_private_segment_fixed_size 0
		.amdhsa_kernarg_size 112
		.amdhsa_user_sgpr_count 6
		.amdhsa_user_sgpr_private_segment_buffer 1
		.amdhsa_user_sgpr_dispatch_ptr 0
		.amdhsa_user_sgpr_queue_ptr 0
		.amdhsa_user_sgpr_kernarg_segment_ptr 1
		.amdhsa_user_sgpr_dispatch_id 0
		.amdhsa_user_sgpr_flat_scratch_init 0
		.amdhsa_user_sgpr_kernarg_preload_length 0
		.amdhsa_user_sgpr_kernarg_preload_offset 0
		.amdhsa_user_sgpr_private_segment_size 0
		.amdhsa_uses_dynamic_stack 0
		.amdhsa_system_sgpr_private_segment_wavefront_offset 0
		.amdhsa_system_sgpr_workgroup_id_x 1
		.amdhsa_system_sgpr_workgroup_id_y 0
		.amdhsa_system_sgpr_workgroup_id_z 0
		.amdhsa_system_sgpr_workgroup_info 0
		.amdhsa_system_vgpr_workitem_id 0
		.amdhsa_next_free_vgpr 1
		.amdhsa_next_free_sgpr 0
		.amdhsa_accum_offset 4
		.amdhsa_reserve_vcc 0
		.amdhsa_reserve_flat_scratch 0
		.amdhsa_float_round_mode_32 0
		.amdhsa_float_round_mode_16_64 0
		.amdhsa_float_denorm_mode_32 3
		.amdhsa_float_denorm_mode_16_64 3
		.amdhsa_dx10_clamp 1
		.amdhsa_ieee_mode 1
		.amdhsa_fp16_overflow 0
		.amdhsa_tg_split 0
		.amdhsa_exception_fp_ieee_invalid_op 0
		.amdhsa_exception_fp_denorm_src 0
		.amdhsa_exception_fp_ieee_div_zero 0
		.amdhsa_exception_fp_ieee_overflow 0
		.amdhsa_exception_fp_ieee_underflow 0
		.amdhsa_exception_fp_ieee_inexact 0
		.amdhsa_exception_int_div_zero 0
	.end_amdhsa_kernel
	.section	.text._ZN7rocprim17ROCPRIM_400000_NS6detail17trampoline_kernelINS0_14default_configENS1_27scan_by_key_config_selectorIiiEEZZNS1_16scan_by_key_implILNS1_25lookback_scan_determinismE0ELb0ES3_N6thrust23THRUST_200600_302600_NS6detail15normal_iteratorINS9_10device_ptrIiEEEESE_SE_iNS9_4plusIvEENS9_8equal_toIvEEiEE10hipError_tPvRmT2_T3_T4_T5_mT6_T7_P12ihipStream_tbENKUlT_T0_E_clISt17integral_constantIbLb0EESZ_EEDaSU_SV_EUlSU_E_NS1_11comp_targetILNS1_3genE5ELNS1_11target_archE942ELNS1_3gpuE9ELNS1_3repE0EEENS1_30default_config_static_selectorELNS0_4arch9wavefront6targetE1EEEvT1_,"axG",@progbits,_ZN7rocprim17ROCPRIM_400000_NS6detail17trampoline_kernelINS0_14default_configENS1_27scan_by_key_config_selectorIiiEEZZNS1_16scan_by_key_implILNS1_25lookback_scan_determinismE0ELb0ES3_N6thrust23THRUST_200600_302600_NS6detail15normal_iteratorINS9_10device_ptrIiEEEESE_SE_iNS9_4plusIvEENS9_8equal_toIvEEiEE10hipError_tPvRmT2_T3_T4_T5_mT6_T7_P12ihipStream_tbENKUlT_T0_E_clISt17integral_constantIbLb0EESZ_EEDaSU_SV_EUlSU_E_NS1_11comp_targetILNS1_3genE5ELNS1_11target_archE942ELNS1_3gpuE9ELNS1_3repE0EEENS1_30default_config_static_selectorELNS0_4arch9wavefront6targetE1EEEvT1_,comdat
.Lfunc_end5:
	.size	_ZN7rocprim17ROCPRIM_400000_NS6detail17trampoline_kernelINS0_14default_configENS1_27scan_by_key_config_selectorIiiEEZZNS1_16scan_by_key_implILNS1_25lookback_scan_determinismE0ELb0ES3_N6thrust23THRUST_200600_302600_NS6detail15normal_iteratorINS9_10device_ptrIiEEEESE_SE_iNS9_4plusIvEENS9_8equal_toIvEEiEE10hipError_tPvRmT2_T3_T4_T5_mT6_T7_P12ihipStream_tbENKUlT_T0_E_clISt17integral_constantIbLb0EESZ_EEDaSU_SV_EUlSU_E_NS1_11comp_targetILNS1_3genE5ELNS1_11target_archE942ELNS1_3gpuE9ELNS1_3repE0EEENS1_30default_config_static_selectorELNS0_4arch9wavefront6targetE1EEEvT1_, .Lfunc_end5-_ZN7rocprim17ROCPRIM_400000_NS6detail17trampoline_kernelINS0_14default_configENS1_27scan_by_key_config_selectorIiiEEZZNS1_16scan_by_key_implILNS1_25lookback_scan_determinismE0ELb0ES3_N6thrust23THRUST_200600_302600_NS6detail15normal_iteratorINS9_10device_ptrIiEEEESE_SE_iNS9_4plusIvEENS9_8equal_toIvEEiEE10hipError_tPvRmT2_T3_T4_T5_mT6_T7_P12ihipStream_tbENKUlT_T0_E_clISt17integral_constantIbLb0EESZ_EEDaSU_SV_EUlSU_E_NS1_11comp_targetILNS1_3genE5ELNS1_11target_archE942ELNS1_3gpuE9ELNS1_3repE0EEENS1_30default_config_static_selectorELNS0_4arch9wavefront6targetE1EEEvT1_
                                        ; -- End function
	.section	.AMDGPU.csdata,"",@progbits
; Kernel info:
; codeLenInByte = 0
; NumSgprs: 4
; NumVgprs: 0
; NumAgprs: 0
; TotalNumVgprs: 0
; ScratchSize: 0
; MemoryBound: 0
; FloatMode: 240
; IeeeMode: 1
; LDSByteSize: 0 bytes/workgroup (compile time only)
; SGPRBlocks: 0
; VGPRBlocks: 0
; NumSGPRsForWavesPerEU: 4
; NumVGPRsForWavesPerEU: 1
; AccumOffset: 4
; Occupancy: 8
; WaveLimiterHint : 0
; COMPUTE_PGM_RSRC2:SCRATCH_EN: 0
; COMPUTE_PGM_RSRC2:USER_SGPR: 6
; COMPUTE_PGM_RSRC2:TRAP_HANDLER: 0
; COMPUTE_PGM_RSRC2:TGID_X_EN: 1
; COMPUTE_PGM_RSRC2:TGID_Y_EN: 0
; COMPUTE_PGM_RSRC2:TGID_Z_EN: 0
; COMPUTE_PGM_RSRC2:TIDIG_COMP_CNT: 0
; COMPUTE_PGM_RSRC3_GFX90A:ACCUM_OFFSET: 0
; COMPUTE_PGM_RSRC3_GFX90A:TG_SPLIT: 0
	.section	.text._ZN7rocprim17ROCPRIM_400000_NS6detail17trampoline_kernelINS0_14default_configENS1_27scan_by_key_config_selectorIiiEEZZNS1_16scan_by_key_implILNS1_25lookback_scan_determinismE0ELb0ES3_N6thrust23THRUST_200600_302600_NS6detail15normal_iteratorINS9_10device_ptrIiEEEESE_SE_iNS9_4plusIvEENS9_8equal_toIvEEiEE10hipError_tPvRmT2_T3_T4_T5_mT6_T7_P12ihipStream_tbENKUlT_T0_E_clISt17integral_constantIbLb0EESZ_EEDaSU_SV_EUlSU_E_NS1_11comp_targetILNS1_3genE4ELNS1_11target_archE910ELNS1_3gpuE8ELNS1_3repE0EEENS1_30default_config_static_selectorELNS0_4arch9wavefront6targetE1EEEvT1_,"axG",@progbits,_ZN7rocprim17ROCPRIM_400000_NS6detail17trampoline_kernelINS0_14default_configENS1_27scan_by_key_config_selectorIiiEEZZNS1_16scan_by_key_implILNS1_25lookback_scan_determinismE0ELb0ES3_N6thrust23THRUST_200600_302600_NS6detail15normal_iteratorINS9_10device_ptrIiEEEESE_SE_iNS9_4plusIvEENS9_8equal_toIvEEiEE10hipError_tPvRmT2_T3_T4_T5_mT6_T7_P12ihipStream_tbENKUlT_T0_E_clISt17integral_constantIbLb0EESZ_EEDaSU_SV_EUlSU_E_NS1_11comp_targetILNS1_3genE4ELNS1_11target_archE910ELNS1_3gpuE8ELNS1_3repE0EEENS1_30default_config_static_selectorELNS0_4arch9wavefront6targetE1EEEvT1_,comdat
	.protected	_ZN7rocprim17ROCPRIM_400000_NS6detail17trampoline_kernelINS0_14default_configENS1_27scan_by_key_config_selectorIiiEEZZNS1_16scan_by_key_implILNS1_25lookback_scan_determinismE0ELb0ES3_N6thrust23THRUST_200600_302600_NS6detail15normal_iteratorINS9_10device_ptrIiEEEESE_SE_iNS9_4plusIvEENS9_8equal_toIvEEiEE10hipError_tPvRmT2_T3_T4_T5_mT6_T7_P12ihipStream_tbENKUlT_T0_E_clISt17integral_constantIbLb0EESZ_EEDaSU_SV_EUlSU_E_NS1_11comp_targetILNS1_3genE4ELNS1_11target_archE910ELNS1_3gpuE8ELNS1_3repE0EEENS1_30default_config_static_selectorELNS0_4arch9wavefront6targetE1EEEvT1_ ; -- Begin function _ZN7rocprim17ROCPRIM_400000_NS6detail17trampoline_kernelINS0_14default_configENS1_27scan_by_key_config_selectorIiiEEZZNS1_16scan_by_key_implILNS1_25lookback_scan_determinismE0ELb0ES3_N6thrust23THRUST_200600_302600_NS6detail15normal_iteratorINS9_10device_ptrIiEEEESE_SE_iNS9_4plusIvEENS9_8equal_toIvEEiEE10hipError_tPvRmT2_T3_T4_T5_mT6_T7_P12ihipStream_tbENKUlT_T0_E_clISt17integral_constantIbLb0EESZ_EEDaSU_SV_EUlSU_E_NS1_11comp_targetILNS1_3genE4ELNS1_11target_archE910ELNS1_3gpuE8ELNS1_3repE0EEENS1_30default_config_static_selectorELNS0_4arch9wavefront6targetE1EEEvT1_
	.globl	_ZN7rocprim17ROCPRIM_400000_NS6detail17trampoline_kernelINS0_14default_configENS1_27scan_by_key_config_selectorIiiEEZZNS1_16scan_by_key_implILNS1_25lookback_scan_determinismE0ELb0ES3_N6thrust23THRUST_200600_302600_NS6detail15normal_iteratorINS9_10device_ptrIiEEEESE_SE_iNS9_4plusIvEENS9_8equal_toIvEEiEE10hipError_tPvRmT2_T3_T4_T5_mT6_T7_P12ihipStream_tbENKUlT_T0_E_clISt17integral_constantIbLb0EESZ_EEDaSU_SV_EUlSU_E_NS1_11comp_targetILNS1_3genE4ELNS1_11target_archE910ELNS1_3gpuE8ELNS1_3repE0EEENS1_30default_config_static_selectorELNS0_4arch9wavefront6targetE1EEEvT1_
	.p2align	8
	.type	_ZN7rocprim17ROCPRIM_400000_NS6detail17trampoline_kernelINS0_14default_configENS1_27scan_by_key_config_selectorIiiEEZZNS1_16scan_by_key_implILNS1_25lookback_scan_determinismE0ELb0ES3_N6thrust23THRUST_200600_302600_NS6detail15normal_iteratorINS9_10device_ptrIiEEEESE_SE_iNS9_4plusIvEENS9_8equal_toIvEEiEE10hipError_tPvRmT2_T3_T4_T5_mT6_T7_P12ihipStream_tbENKUlT_T0_E_clISt17integral_constantIbLb0EESZ_EEDaSU_SV_EUlSU_E_NS1_11comp_targetILNS1_3genE4ELNS1_11target_archE910ELNS1_3gpuE8ELNS1_3repE0EEENS1_30default_config_static_selectorELNS0_4arch9wavefront6targetE1EEEvT1_,@function
_ZN7rocprim17ROCPRIM_400000_NS6detail17trampoline_kernelINS0_14default_configENS1_27scan_by_key_config_selectorIiiEEZZNS1_16scan_by_key_implILNS1_25lookback_scan_determinismE0ELb0ES3_N6thrust23THRUST_200600_302600_NS6detail15normal_iteratorINS9_10device_ptrIiEEEESE_SE_iNS9_4plusIvEENS9_8equal_toIvEEiEE10hipError_tPvRmT2_T3_T4_T5_mT6_T7_P12ihipStream_tbENKUlT_T0_E_clISt17integral_constantIbLb0EESZ_EEDaSU_SV_EUlSU_E_NS1_11comp_targetILNS1_3genE4ELNS1_11target_archE910ELNS1_3gpuE8ELNS1_3repE0EEENS1_30default_config_static_selectorELNS0_4arch9wavefront6targetE1EEEvT1_: ; @_ZN7rocprim17ROCPRIM_400000_NS6detail17trampoline_kernelINS0_14default_configENS1_27scan_by_key_config_selectorIiiEEZZNS1_16scan_by_key_implILNS1_25lookback_scan_determinismE0ELb0ES3_N6thrust23THRUST_200600_302600_NS6detail15normal_iteratorINS9_10device_ptrIiEEEESE_SE_iNS9_4plusIvEENS9_8equal_toIvEEiEE10hipError_tPvRmT2_T3_T4_T5_mT6_T7_P12ihipStream_tbENKUlT_T0_E_clISt17integral_constantIbLb0EESZ_EEDaSU_SV_EUlSU_E_NS1_11comp_targetILNS1_3genE4ELNS1_11target_archE910ELNS1_3gpuE8ELNS1_3repE0EEENS1_30default_config_static_selectorELNS0_4arch9wavefront6targetE1EEEvT1_
; %bb.0:
	s_load_dwordx8 s[36:43], s[4:5], 0x0
	s_load_dwordx4 s[52:55], s[4:5], 0x28
	s_load_dwordx2 s[56:57], s[4:5], 0x38
	s_load_dword s0, s[4:5], 0x40
	s_load_dwordx8 s[44:51], s[4:5], 0x48
	s_waitcnt lgkmcnt(0)
	s_lshl_b64 s[38:39], s[38:39], 2
	s_add_u32 s2, s36, s38
	s_addc_u32 s3, s37, s39
	s_add_u32 s4, s40, s38
	s_mul_i32 s1, s57, s0
	s_mul_hi_u32 s7, s56, s0
	s_addc_u32 s5, s41, s39
	s_add_i32 s8, s7, s1
	s_mul_i32 s9, s56, s0
	s_cmp_lg_u64 s[48:49], 0
	s_mul_i32 s0, s6, 0xe00
	s_mov_b32 s1, 0
	s_cselect_b64 s[40:41], -1, 0
	s_lshl_b64 s[36:37], s[0:1], 2
	s_add_u32 s34, s2, s36
	s_addc_u32 s35, s3, s37
	s_add_u32 s7, s4, s36
	s_addc_u32 s55, s5, s37
	;; [unrolled: 2-line block ×3, first 2 shown]
	s_add_u32 s2, s44, -1
	s_addc_u32 s3, s45, -1
	v_pk_mov_b32 v[2:3], s[2:3], s[2:3] op_sel:[0,1]
	v_cmp_ge_u64_e64 s[0:1], s[48:49], v[2:3]
	s_mov_b64 s[18:19], 0
	s_mov_b64 s[4:5], -1
	s_and_b64 vcc, exec, s[0:1]
	s_mul_i32 s33, s2, 0xfffff200
	s_barrier
	s_cbranch_vccz .LBB6_77
; %bb.1:
	v_pk_mov_b32 v[2:3], s[34:35], s[34:35] op_sel:[0,1]
	flat_load_dword v1, v[2:3]
	s_add_i32 s60, s33, s54
	v_cmp_gt_u32_e64 s[2:3], s60, v0
	s_waitcnt vmcnt(0) lgkmcnt(0)
	v_mov_b32_e32 v13, v1
	s_and_saveexec_b64 s[4:5], s[2:3]
	s_cbranch_execz .LBB6_3
; %bb.2:
	v_lshlrev_b32_e32 v2, 2, v0
	v_mov_b32_e32 v3, s35
	v_add_co_u32_e32 v2, vcc, s34, v2
	v_addc_co_u32_e32 v3, vcc, 0, v3, vcc
	flat_load_dword v13, v[2:3]
.LBB6_3:
	s_or_b64 exec, exec, s[4:5]
	v_or_b32_e32 v2, 0x100, v0
	v_cmp_gt_u32_e64 s[4:5], s60, v2
	v_mov_b32_e32 v14, v1
	s_and_saveexec_b64 s[8:9], s[4:5]
	s_cbranch_execz .LBB6_5
; %bb.4:
	v_lshlrev_b32_e32 v2, 2, v0
	v_mov_b32_e32 v3, s35
	v_add_co_u32_e32 v2, vcc, s34, v2
	v_addc_co_u32_e32 v3, vcc, 0, v3, vcc
	flat_load_dword v14, v[2:3] offset:1024
.LBB6_5:
	s_or_b64 exec, exec, s[8:9]
	v_or_b32_e32 v2, 0x200, v0
	v_cmp_gt_u32_e64 s[30:31], s60, v2
	v_mov_b32_e32 v15, v1
	s_and_saveexec_b64 s[8:9], s[30:31]
	s_cbranch_execz .LBB6_7
; %bb.6:
	v_lshlrev_b32_e32 v2, 2, v0
	v_mov_b32_e32 v3, s35
	v_add_co_u32_e32 v2, vcc, s34, v2
	v_addc_co_u32_e32 v3, vcc, 0, v3, vcc
	flat_load_dword v15, v[2:3] offset:2048
.LBB6_7:
	;; [unrolled: 13-line block ×3, first 2 shown]
	s_or_b64 exec, exec, s[10:11]
	v_or_b32_e32 v2, 0x400, v0
	v_cmp_gt_u32_e64 s[10:11], s60, v2
	v_lshlrev_b32_e32 v2, 2, v2
	v_mov_b32_e32 v17, v1
	s_and_saveexec_b64 s[12:13], s[10:11]
	s_cbranch_execz .LBB6_11
; %bb.10:
	v_mov_b32_e32 v3, s35
	v_add_co_u32_e32 v4, vcc, s34, v2
	v_addc_co_u32_e32 v5, vcc, 0, v3, vcc
	flat_load_dword v17, v[4:5]
.LBB6_11:
	s_or_b64 exec, exec, s[12:13]
	v_or_b32_e32 v3, 0x500, v0
	v_cmp_gt_u32_e64 s[12:13], s60, v3
	v_lshlrev_b32_e32 v3, 2, v3
	v_mov_b32_e32 v18, v1
	s_and_saveexec_b64 s[14:15], s[12:13]
	s_cbranch_execz .LBB6_13
; %bb.12:
	v_mov_b32_e32 v5, s35
	v_add_co_u32_e32 v4, vcc, s34, v3
	v_addc_co_u32_e32 v5, vcc, 0, v5, vcc
	flat_load_dword v18, v[4:5]
.LBB6_13:
	;; [unrolled: 13-line block ×9, first 2 shown]
	s_or_b64 exec, exec, s[28:29]
	v_or_b32_e32 v11, 0xd00, v0
	v_cmp_gt_u32_e64 s[28:29], s60, v11
	v_lshlrev_b32_e32 v11, 2, v11
	s_and_saveexec_b64 s[44:45], s[28:29]
	s_cbranch_execz .LBB6_29
; %bb.28:
	v_mov_b32_e32 v1, s35
	v_add_co_u32_e32 v26, vcc, s34, v11
	v_addc_co_u32_e32 v27, vcc, 0, v1, vcc
	flat_load_dword v1, v[26:27]
.LBB6_29:
	s_or_b64 exec, exec, s[44:45]
	v_lshlrev_b32_e32 v12, 2, v0
	s_waitcnt vmcnt(0) lgkmcnt(0)
	ds_write2st64_b32 v12, v13, v14 offset1:4
	ds_write2st64_b32 v12, v15, v16 offset0:8 offset1:12
	ds_write2st64_b32 v12, v17, v18 offset0:16 offset1:20
	;; [unrolled: 1-line block ×6, first 2 shown]
	v_mad_u32_u24 v1, v0, 52, v12
	s_waitcnt lgkmcnt(0)
	s_barrier
	ds_read2_b64 v[34:37], v1 offset1:1
	ds_read2_b64 v[30:33], v1 offset0:2 offset1:3
	ds_read2_b64 v[26:29], v1 offset0:4 offset1:5
	ds_read_b64 v[40:41], v1 offset:48
	s_cmp_eq_u64 s[48:49], 0
	s_mov_b64 s[44:45], s[34:35]
	s_cbranch_scc1 .LBB6_33
; %bb.30:
	s_andn2_b64 vcc, exec, s[40:41]
	s_cbranch_vccnz .LBB6_179
; %bb.31:
	s_lshl_b64 s[44:45], s[48:49], 2
	s_add_u32 s44, s50, s44
	s_addc_u32 s45, s51, s45
	s_add_u32 s44, s44, -4
	s_addc_u32 s45, s45, -1
	s_cbranch_execnz .LBB6_33
.LBB6_32:
	s_add_u32 s44, s34, -4
	s_addc_u32 s45, s35, -1
.LBB6_33:
	v_pk_mov_b32 v[14:15], s[44:45], s[44:45] op_sel:[0,1]
	flat_load_dword v44, v[14:15]
	s_movk_i32 s44, 0xffcc
	v_mad_i32_i24 v13, v0, s44, v1
	v_cmp_ne_u32_e32 vcc, 0, v0
	s_waitcnt lgkmcnt(0)
	ds_write_b32 v13, v41 offset:14336
	s_waitcnt lgkmcnt(0)
	s_barrier
	s_and_saveexec_b64 s[44:45], vcc
	s_cbranch_execz .LBB6_35
; %bb.34:
	v_mul_i32_i24_e32 v13, 0xffffffcc, v0
	v_add_u32_e32 v13, v1, v13
	s_waitcnt vmcnt(0)
	ds_read_b32 v44, v13 offset:14332
.LBB6_35:
	s_or_b64 exec, exec, s[44:45]
	s_waitcnt lgkmcnt(0)
	s_barrier
	s_waitcnt lgkmcnt(0)
                                        ; implicit-def: $vgpr13
	s_and_saveexec_b64 s[44:45], s[2:3]
	s_cbranch_execnz .LBB6_166
; %bb.36:
	s_or_b64 exec, exec, s[44:45]
                                        ; implicit-def: $vgpr14
	s_and_saveexec_b64 s[2:3], s[4:5]
	s_cbranch_execnz .LBB6_167
.LBB6_37:
	s_or_b64 exec, exec, s[2:3]
                                        ; implicit-def: $vgpr15
	s_and_saveexec_b64 s[2:3], s[30:31]
	s_cbranch_execnz .LBB6_168
.LBB6_38:
	s_or_b64 exec, exec, s[2:3]
                                        ; implicit-def: $vgpr16
	s_and_saveexec_b64 s[2:3], s[8:9]
	s_cbranch_execnz .LBB6_169
.LBB6_39:
	s_or_b64 exec, exec, s[2:3]
                                        ; implicit-def: $vgpr17
	s_and_saveexec_b64 s[2:3], s[10:11]
	s_cbranch_execnz .LBB6_170
.LBB6_40:
	s_or_b64 exec, exec, s[2:3]
                                        ; implicit-def: $vgpr2
	s_and_saveexec_b64 s[2:3], s[12:13]
	s_cbranch_execnz .LBB6_171
.LBB6_41:
	s_or_b64 exec, exec, s[2:3]
                                        ; implicit-def: $vgpr3
	s_and_saveexec_b64 s[2:3], s[14:15]
	s_cbranch_execnz .LBB6_172
.LBB6_42:
	s_or_b64 exec, exec, s[2:3]
                                        ; implicit-def: $vgpr4
	s_and_saveexec_b64 s[2:3], s[16:17]
	s_cbranch_execnz .LBB6_173
.LBB6_43:
	s_or_b64 exec, exec, s[2:3]
                                        ; implicit-def: $vgpr5
	s_and_saveexec_b64 s[2:3], s[18:19]
	s_cbranch_execnz .LBB6_174
.LBB6_44:
	s_or_b64 exec, exec, s[2:3]
                                        ; implicit-def: $vgpr6
	s_and_saveexec_b64 s[2:3], s[20:21]
	s_cbranch_execnz .LBB6_175
.LBB6_45:
	s_or_b64 exec, exec, s[2:3]
                                        ; implicit-def: $vgpr7
	s_and_saveexec_b64 s[2:3], s[22:23]
	s_cbranch_execnz .LBB6_176
.LBB6_46:
	s_or_b64 exec, exec, s[2:3]
                                        ; implicit-def: $vgpr8
	s_and_saveexec_b64 s[2:3], s[24:25]
	s_cbranch_execnz .LBB6_177
.LBB6_47:
	s_or_b64 exec, exec, s[2:3]
                                        ; implicit-def: $vgpr9
	s_and_saveexec_b64 s[2:3], s[26:27]
	s_cbranch_execnz .LBB6_178
.LBB6_48:
	s_or_b64 exec, exec, s[2:3]
                                        ; implicit-def: $vgpr10
	s_and_saveexec_b64 s[2:3], s[28:29]
	s_cbranch_execz .LBB6_50
.LBB6_49:
	v_mov_b32_e32 v18, s55
	v_add_co_u32_e32 v10, vcc, s7, v11
	v_addc_co_u32_e32 v11, vcc, 0, v18, vcc
	flat_load_dword v10, v[10:11]
.LBB6_50:
	s_or_b64 exec, exec, s[2:3]
	s_mov_b32 s8, 0
	s_mov_b32 s9, s8
	s_waitcnt vmcnt(0) lgkmcnt(0)
	ds_write2st64_b32 v12, v13, v14 offset1:4
	ds_write2st64_b32 v12, v15, v16 offset0:8 offset1:12
	ds_write2st64_b32 v12, v17, v2 offset0:16 offset1:20
	;; [unrolled: 1-line block ×6, first 2 shown]
	s_mov_b32 s10, s8
	s_mov_b32 s11, s8
	;; [unrolled: 1-line block ×6, first 2 shown]
	v_pk_mov_b32 v[2:3], s[8:9], s[8:9] op_sel:[0,1]
	v_pk_mov_b32 v[8:9], s[14:15], s[14:15] op_sel:[0,1]
	v_mul_u32_u24_e32 v42, 14, v0
	v_pk_mov_b32 v[4:5], s[10:11], s[10:11] op_sel:[0,1]
	v_pk_mov_b32 v[6:7], s[12:13], s[12:13] op_sel:[0,1]
	;; [unrolled: 1-line block ×4, first 2 shown]
	v_cmp_gt_u32_e32 vcc, s60, v42
	s_mov_b64 s[4:5], 0
	v_pk_mov_b32 v[38:39], 0, 0
	s_mov_b64 s[18:19], 0
	v_pk_mov_b32 v[14:15], v[6:7], v[6:7] op_sel:[0,1]
	v_pk_mov_b32 v[12:13], v[4:5], v[4:5] op_sel:[0,1]
	;; [unrolled: 1-line block ×6, first 2 shown]
	s_waitcnt lgkmcnt(0)
	s_barrier
	s_waitcnt lgkmcnt(0)
                                        ; implicit-def: $sgpr2_sgpr3
                                        ; implicit-def: $vgpr43
	s_and_saveexec_b64 s[16:17], vcc
	s_cbranch_execz .LBB6_76
; %bb.51:
	v_or_b32_e32 v2, 1, v42
	ds_read_b32 v38, v1
	v_cmp_ne_u32_e32 vcc, v44, v34
	v_cndmask_b32_e64 v39, 0, 1, vcc
	v_cmp_gt_u32_e32 vcc, s60, v2
	v_pk_mov_b32 v[2:3], s[8:9], s[8:9] op_sel:[0,1]
	v_pk_mov_b32 v[8:9], s[14:15], s[14:15] op_sel:[0,1]
	v_pk_mov_b32 v[4:5], s[10:11], s[10:11] op_sel:[0,1]
	v_pk_mov_b32 v[6:7], s[12:13], s[12:13] op_sel:[0,1]
	v_pk_mov_b32 v[16:17], v[8:9], v[8:9] op_sel:[0,1]
	v_pk_mov_b32 v[24:25], v[8:9], v[8:9] op_sel:[0,1]
	s_mov_b64 s[20:21], 0
	v_pk_mov_b32 v[14:15], v[6:7], v[6:7] op_sel:[0,1]
	v_pk_mov_b32 v[12:13], v[4:5], v[4:5] op_sel:[0,1]
	;; [unrolled: 1-line block ×6, first 2 shown]
                                        ; implicit-def: $sgpr8_sgpr9
                                        ; implicit-def: $vgpr43
	s_and_saveexec_b64 s[18:19], vcc
	s_cbranch_execz .LBB6_75
; %bb.52:
	ds_read2_b32 v[44:45], v1 offset0:1 offset1:2
	s_mov_b32 s8, 0
	s_mov_b32 s14, s8
	;; [unrolled: 1-line block ×8, first 2 shown]
	v_pk_mov_b32 v[16:17], s[14:15], s[14:15] op_sel:[0,1]
	v_add_u32_e32 v2, 2, v42
	v_cmp_ne_u32_e32 vcc, v34, v35
	v_mov_b32_e32 v6, 0
	v_pk_mov_b32 v[14:15], s[12:13], s[12:13] op_sel:[0,1]
	v_pk_mov_b32 v[12:13], s[10:11], s[10:11] op_sel:[0,1]
	;; [unrolled: 1-line block ×4, first 2 shown]
	v_cndmask_b32_e64 v3, 0, 1, vcc
	v_cmp_gt_u32_e32 vcc, s60, v2
	s_waitcnt lgkmcnt(0)
	v_mov_b32_e32 v2, v44
	v_mov_b32_e32 v4, v6
	;; [unrolled: 1-line block ×6, first 2 shown]
	s_mov_b64 s[2:3], 0
	v_pk_mov_b32 v[22:23], v[14:15], v[14:15] op_sel:[0,1]
	v_pk_mov_b32 v[20:21], v[12:13], v[12:13] op_sel:[0,1]
	;; [unrolled: 1-line block ×3, first 2 shown]
                                        ; implicit-def: $sgpr22_sgpr23
                                        ; implicit-def: $vgpr43
	s_and_saveexec_b64 s[20:21], vcc
	s_cbranch_execz .LBB6_74
; %bb.53:
	v_pk_mov_b32 v[16:17], s[14:15], s[14:15] op_sel:[0,1]
	v_add_u32_e32 v2, 3, v42
	v_cmp_ne_u32_e32 vcc, v35, v36
	v_pk_mov_b32 v[14:15], s[12:13], s[12:13] op_sel:[0,1]
	v_pk_mov_b32 v[12:13], s[10:11], s[10:11] op_sel:[0,1]
	;; [unrolled: 1-line block ×4, first 2 shown]
	v_cndmask_b32_e64 v5, 0, 1, vcc
	v_cmp_gt_u32_e32 vcc, s60, v2
	v_mov_b32_e32 v2, v44
	v_mov_b32_e32 v4, v45
	v_mov_b32_e32 v7, v6
	v_mov_b32_e32 v8, v6
	v_mov_b32_e32 v9, v6
	v_pk_mov_b32 v[22:23], v[14:15], v[14:15] op_sel:[0,1]
	v_pk_mov_b32 v[20:21], v[12:13], v[12:13] op_sel:[0,1]
	;; [unrolled: 1-line block ×3, first 2 shown]
                                        ; implicit-def: $sgpr8_sgpr9
                                        ; implicit-def: $vgpr43
	s_and_saveexec_b64 s[22:23], vcc
	s_cbranch_execz .LBB6_73
; %bb.54:
	ds_read2_b32 v[34:35], v1 offset0:3 offset1:4
	s_mov_b32 s8, 0
	s_mov_b32 s14, s8
	;; [unrolled: 1-line block ×8, first 2 shown]
	v_pk_mov_b32 v[16:17], s[14:15], s[14:15] op_sel:[0,1]
	v_add_u32_e32 v6, 4, v42
	v_cmp_ne_u32_e32 vcc, v36, v37
	v_pk_mov_b32 v[14:15], s[12:13], s[12:13] op_sel:[0,1]
	v_pk_mov_b32 v[12:13], s[10:11], s[10:11] op_sel:[0,1]
	;; [unrolled: 1-line block ×4, first 2 shown]
	v_cndmask_b32_e64 v7, 0, 1, vcc
	v_cmp_gt_u32_e32 vcc, s60, v6
	s_waitcnt lgkmcnt(0)
	v_mov_b32_e32 v6, v34
	v_mov_b32_e32 v8, s8
	v_mov_b32_e32 v9, s8
	v_pk_mov_b32 v[22:23], v[14:15], v[14:15] op_sel:[0,1]
	v_pk_mov_b32 v[20:21], v[12:13], v[12:13] op_sel:[0,1]
	;; [unrolled: 1-line block ×3, first 2 shown]
                                        ; implicit-def: $sgpr26_sgpr27
                                        ; implicit-def: $vgpr43
	s_and_saveexec_b64 s[24:25], vcc
	s_cbranch_execz .LBB6_72
; %bb.55:
	v_pk_mov_b32 v[16:17], s[14:15], s[14:15] op_sel:[0,1]
	v_add_u32_e32 v8, 5, v42
	v_cmp_ne_u32_e32 vcc, v37, v30
	v_pk_mov_b32 v[14:15], s[12:13], s[12:13] op_sel:[0,1]
	v_pk_mov_b32 v[12:13], s[10:11], s[10:11] op_sel:[0,1]
	;; [unrolled: 1-line block ×4, first 2 shown]
	v_cndmask_b32_e64 v9, 0, 1, vcc
	v_cmp_gt_u32_e32 vcc, s60, v8
	v_mov_b32_e32 v8, v35
	v_pk_mov_b32 v[22:23], v[14:15], v[14:15] op_sel:[0,1]
	v_pk_mov_b32 v[20:21], v[12:13], v[12:13] op_sel:[0,1]
	;; [unrolled: 1-line block ×3, first 2 shown]
                                        ; implicit-def: $sgpr8_sgpr9
                                        ; implicit-def: $vgpr43
	s_and_saveexec_b64 s[26:27], vcc
	s_cbranch_execz .LBB6_71
; %bb.56:
	ds_read2_b32 v[34:35], v1 offset0:5 offset1:6
	s_mov_b32 s8, 0
	s_mov_b32 s14, s8
	;; [unrolled: 1-line block ×3, first 2 shown]
	v_add_u32_e32 v10, 6, v42
	v_cmp_ne_u32_e32 vcc, v30, v31
	v_mov_b32_e32 v14, 0
	s_mov_b32 s9, s8
	s_mov_b32 s10, s8
	;; [unrolled: 1-line block ×5, first 2 shown]
	v_pk_mov_b32 v[24:25], s[14:15], s[14:15] op_sel:[0,1]
	v_cndmask_b32_e64 v11, 0, 1, vcc
	v_cmp_gt_u32_e32 vcc, s60, v10
	s_waitcnt lgkmcnt(0)
	v_mov_b32_e32 v10, v34
	v_mov_b32_e32 v12, v14
	;; [unrolled: 1-line block ×6, first 2 shown]
	v_pk_mov_b32 v[22:23], s[12:13], s[12:13] op_sel:[0,1]
	v_pk_mov_b32 v[20:21], s[10:11], s[10:11] op_sel:[0,1]
	;; [unrolled: 1-line block ×3, first 2 shown]
                                        ; implicit-def: $sgpr30_sgpr31
                                        ; implicit-def: $vgpr43
	s_and_saveexec_b64 s[28:29], vcc
	s_cbranch_execz .LBB6_70
; %bb.57:
	v_add_u32_e32 v10, 7, v42
	v_cmp_ne_u32_e32 vcc, v31, v32
	v_pk_mov_b32 v[24:25], s[14:15], s[14:15] op_sel:[0,1]
	v_cndmask_b32_e64 v13, 0, 1, vcc
	v_cmp_gt_u32_e32 vcc, s60, v10
	v_mov_b32_e32 v10, v34
	v_mov_b32_e32 v12, v35
	;; [unrolled: 1-line block ×5, first 2 shown]
	v_pk_mov_b32 v[22:23], s[12:13], s[12:13] op_sel:[0,1]
	v_pk_mov_b32 v[20:21], s[10:11], s[10:11] op_sel:[0,1]
	;; [unrolled: 1-line block ×3, first 2 shown]
                                        ; implicit-def: $sgpr8_sgpr9
                                        ; implicit-def: $vgpr43
	s_and_saveexec_b64 s[30:31], vcc
	s_cbranch_execz .LBB6_69
; %bb.58:
	ds_read2_b32 v[30:31], v1 offset0:7 offset1:8
	s_mov_b32 s8, 0
	s_mov_b32 s14, s8
	;; [unrolled: 1-line block ×3, first 2 shown]
	v_add_u32_e32 v14, 8, v42
	v_cmp_ne_u32_e32 vcc, v32, v33
	s_mov_b32 s9, s8
	s_mov_b32 s10, s8
	;; [unrolled: 1-line block ×5, first 2 shown]
	v_pk_mov_b32 v[24:25], s[14:15], s[14:15] op_sel:[0,1]
	v_cndmask_b32_e64 v15, 0, 1, vcc
	v_cmp_gt_u32_e32 vcc, s60, v14
	s_waitcnt lgkmcnt(0)
	v_mov_b32_e32 v14, v30
	v_mov_b32_e32 v16, s8
	;; [unrolled: 1-line block ×3, first 2 shown]
	v_pk_mov_b32 v[22:23], s[12:13], s[12:13] op_sel:[0,1]
	v_pk_mov_b32 v[20:21], s[10:11], s[10:11] op_sel:[0,1]
	;; [unrolled: 1-line block ×3, first 2 shown]
                                        ; implicit-def: $sgpr58_sgpr59
                                        ; implicit-def: $vgpr43
	s_and_saveexec_b64 s[44:45], vcc
	s_cbranch_execz .LBB6_68
; %bb.59:
	v_add_u32_e32 v16, 9, v42
	v_cmp_ne_u32_e32 vcc, v33, v26
	v_pk_mov_b32 v[24:25], s[14:15], s[14:15] op_sel:[0,1]
	v_cndmask_b32_e64 v17, 0, 1, vcc
	v_cmp_gt_u32_e32 vcc, s60, v16
	v_mov_b32_e32 v16, v31
	v_pk_mov_b32 v[22:23], s[12:13], s[12:13] op_sel:[0,1]
	v_pk_mov_b32 v[20:21], s[10:11], s[10:11] op_sel:[0,1]
	;; [unrolled: 1-line block ×3, first 2 shown]
                                        ; implicit-def: $sgpr10_sgpr11
                                        ; implicit-def: $vgpr43
	s_and_saveexec_b64 s[8:9], vcc
	s_cbranch_execz .LBB6_67
; %bb.60:
	ds_read2_b32 v[30:31], v1 offset0:9 offset1:10
	v_add_u32_e32 v18, 10, v42
	v_cmp_ne_u32_e32 vcc, v26, v27
	v_mov_b32_e32 v22, 0
	v_cndmask_b32_e64 v19, 0, 1, vcc
	v_cmp_gt_u32_e32 vcc, s60, v18
	s_waitcnt lgkmcnt(0)
	v_mov_b32_e32 v18, v30
	v_mov_b32_e32 v20, v22
	;; [unrolled: 1-line block ×6, first 2 shown]
                                        ; implicit-def: $sgpr12_sgpr13
                                        ; implicit-def: $vgpr43
	s_and_saveexec_b64 s[10:11], vcc
	s_cbranch_execz .LBB6_66
; %bb.61:
	v_add_u32_e32 v18, 11, v42
	v_cmp_ne_u32_e32 vcc, v27, v28
	v_cndmask_b32_e64 v21, 0, 1, vcc
	v_cmp_gt_u32_e32 vcc, s60, v18
	s_mov_b32 s58, 0
	v_mov_b32_e32 v18, v30
	v_mov_b32_e32 v20, v31
	v_mov_b32_e32 v23, v22
	v_mov_b32_e32 v24, v22
	v_mov_b32_e32 v25, v22
                                        ; implicit-def: $sgpr14_sgpr15
                                        ; implicit-def: $vgpr43
	s_and_saveexec_b64 s[12:13], vcc
	s_cbranch_execz .LBB6_65
; %bb.62:
	ds_read2_b32 v[26:27], v1 offset0:11 offset1:12
	v_add_u32_e32 v22, 12, v42
	v_cmp_ne_u32_e32 vcc, v28, v29
	v_cndmask_b32_e64 v23, 0, 1, vcc
	v_cmp_gt_u32_e32 vcc, s60, v22
	s_waitcnt lgkmcnt(0)
	v_mov_b32_e32 v22, v26
	v_mov_b32_e32 v24, s58
	;; [unrolled: 1-line block ×3, first 2 shown]
                                        ; implicit-def: $sgpr14_sgpr15
                                        ; implicit-def: $vgpr43
	s_and_saveexec_b64 s[58:59], vcc
	s_xor_b64 s[58:59], exec, s[58:59]
	s_cbranch_execz .LBB6_64
; %bb.63:
	ds_read_b32 v43, v1 offset:52
	v_add_u32_e32 v1, 13, v42
	v_cmp_ne_u32_e64 s[2:3], v29, v40
	v_cmp_ne_u32_e32 vcc, v40, v41
	v_cndmask_b32_e64 v25, 0, 1, s[2:3]
	v_cmp_gt_u32_e64 s[2:3], s60, v1
	v_mov_b32_e32 v24, v27
	s_and_b64 s[14:15], vcc, exec
	s_and_b64 s[2:3], s[2:3], exec
.LBB6_64:
	s_or_b64 exec, exec, s[58:59]
	s_and_b64 s[14:15], s[14:15], exec
	s_and_b64 s[2:3], s[2:3], exec
.LBB6_65:
	s_or_b64 exec, exec, s[12:13]
	s_and_b64 s[12:13], s[14:15], exec
	s_and_b64 s[2:3], s[2:3], exec
.LBB6_66:
	s_or_b64 exec, exec, s[10:11]
	s_and_b64 s[10:11], s[12:13], exec
	s_and_b64 s[2:3], s[2:3], exec
.LBB6_67:
	s_or_b64 exec, exec, s[8:9]
	s_and_b64 s[58:59], s[10:11], exec
	s_and_b64 s[2:3], s[2:3], exec
.LBB6_68:
	s_or_b64 exec, exec, s[44:45]
	s_and_b64 s[8:9], s[58:59], exec
	s_and_b64 s[2:3], s[2:3], exec
.LBB6_69:
	s_or_b64 exec, exec, s[30:31]
	s_and_b64 s[30:31], s[8:9], exec
	s_and_b64 s[2:3], s[2:3], exec
.LBB6_70:
	s_or_b64 exec, exec, s[28:29]
	s_and_b64 s[8:9], s[30:31], exec
	s_and_b64 s[2:3], s[2:3], exec
.LBB6_71:
	s_or_b64 exec, exec, s[26:27]
	s_and_b64 s[26:27], s[8:9], exec
	s_and_b64 s[2:3], s[2:3], exec
.LBB6_72:
	s_or_b64 exec, exec, s[24:25]
	s_and_b64 s[8:9], s[26:27], exec
	s_and_b64 s[2:3], s[2:3], exec
.LBB6_73:
	s_or_b64 exec, exec, s[22:23]
	s_and_b64 s[22:23], s[8:9], exec
	s_and_b64 s[2:3], s[2:3], exec
.LBB6_74:
	s_or_b64 exec, exec, s[20:21]
	s_and_b64 s[8:9], s[22:23], exec
	s_and_b64 s[20:21], s[2:3], exec
.LBB6_75:
	s_or_b64 exec, exec, s[18:19]
	s_and_b64 s[2:3], s[8:9], exec
	s_and_b64 s[18:19], s[20:21], exec
.LBB6_76:
	s_or_b64 exec, exec, s[16:17]
	s_and_b64 vcc, exec, s[4:5]
	v_lshlrev_b32_e32 v50, 2, v0
	s_cbranch_vccnz .LBB6_78
	s_branch .LBB6_86
.LBB6_77:
                                        ; implicit-def: $sgpr2_sgpr3
                                        ; implicit-def: $vgpr2_vgpr3_vgpr4_vgpr5_vgpr6_vgpr7_vgpr8_vgpr9
                                        ; implicit-def: $vgpr10_vgpr11_vgpr12_vgpr13_vgpr14_vgpr15_vgpr16_vgpr17
                                        ; implicit-def: $vgpr18_vgpr19_vgpr20_vgpr21_vgpr22_vgpr23_vgpr24_vgpr25
                                        ; implicit-def: $vgpr43
                                        ; implicit-def: $vgpr38_vgpr39
	s_and_b64 vcc, exec, s[4:5]
	v_lshlrev_b32_e32 v50, 2, v0
	s_cbranch_vccz .LBB6_86
.LBB6_78:
	v_mov_b32_e32 v1, s35
	v_add_co_u32_e32 v2, vcc, s34, v50
	v_addc_co_u32_e32 v3, vcc, 0, v1, vcc
	v_add_co_u32_e32 v4, vcc, 0x1000, v2
	v_addc_co_u32_e32 v5, vcc, 0, v3, vcc
	flat_load_dword v6, v[2:3]
	flat_load_dword v7, v[2:3] offset:1024
	flat_load_dword v8, v[2:3] offset:2048
	;; [unrolled: 1-line block ×3, first 2 shown]
	flat_load_dword v10, v[4:5]
	flat_load_dword v11, v[4:5] offset:1024
	flat_load_dword v12, v[4:5] offset:2048
	;; [unrolled: 1-line block ×3, first 2 shown]
	v_add_co_u32_e32 v4, vcc, 0x2000, v2
	v_addc_co_u32_e32 v5, vcc, 0, v3, vcc
	v_add_co_u32_e32 v2, vcc, 0x3000, v2
	v_addc_co_u32_e32 v3, vcc, 0, v3, vcc
	flat_load_dword v14, v[4:5]
	flat_load_dword v15, v[4:5] offset:1024
	flat_load_dword v16, v[4:5] offset:2048
	;; [unrolled: 1-line block ×3, first 2 shown]
	flat_load_dword v18, v[2:3]
	flat_load_dword v19, v[2:3] offset:1024
	v_mad_u32_u24 v1, v0, 52, v50
	s_cmp_eq_u64 s[48:49], 0
	s_waitcnt vmcnt(0) lgkmcnt(0)
	ds_write2st64_b32 v50, v6, v7 offset1:4
	ds_write2st64_b32 v50, v8, v9 offset0:8 offset1:12
	ds_write2st64_b32 v50, v10, v11 offset0:16 offset1:20
	;; [unrolled: 1-line block ×6, first 2 shown]
	s_waitcnt lgkmcnt(0)
	s_barrier
	ds_read2_b64 v[2:5], v1 offset1:1
	ds_read2_b64 v[10:13], v1 offset0:2 offset1:3
	ds_read2_b64 v[18:21], v1 offset0:4 offset1:5
	ds_read_b64 v[6:7], v1 offset:48
	s_cbranch_scc1 .LBB6_83
; %bb.79:
	s_andn2_b64 vcc, exec, s[40:41]
	s_cbranch_vccnz .LBB6_180
; %bb.80:
	s_lshl_b64 s[2:3], s[48:49], 2
	s_add_u32 s2, s50, s2
	s_addc_u32 s3, s51, s3
	s_add_u32 s2, s2, -4
	s_addc_u32 s3, s3, -1
	s_cbranch_execnz .LBB6_82
.LBB6_81:
	s_add_u32 s2, s34, -4
	s_addc_u32 s3, s35, -1
.LBB6_82:
	s_mov_b64 s[34:35], s[2:3]
.LBB6_83:
	v_pk_mov_b32 v[8:9], s[34:35], s[34:35] op_sel:[0,1]
	flat_load_dword v8, v[8:9]
	s_movk_i32 s2, 0xffcc
	v_mad_i32_i24 v9, v0, s2, v1
	v_cmp_ne_u32_e32 vcc, 0, v0
	s_waitcnt lgkmcnt(0)
	ds_write_b32 v9, v7 offset:14336
	s_waitcnt lgkmcnt(0)
	s_barrier
	s_and_saveexec_b64 s[2:3], vcc
	s_cbranch_execz .LBB6_85
; %bb.84:
	s_waitcnt vmcnt(0)
	v_mul_i32_i24_e32 v8, 0xffffffcc, v0
	v_add_u32_e32 v8, v1, v8
	ds_read_b32 v8, v8 offset:14332
.LBB6_85:
	s_or_b64 exec, exec, s[2:3]
	v_mov_b32_e32 v9, s55
	v_add_co_u32_e32 v14, vcc, s7, v50
	v_addc_co_u32_e32 v15, vcc, 0, v9, vcc
	s_movk_i32 s2, 0x1000
	v_add_co_u32_e32 v16, vcc, s2, v14
	v_addc_co_u32_e32 v17, vcc, 0, v15, vcc
	s_movk_i32 s2, 0x2000
	s_waitcnt lgkmcnt(0)
	s_barrier
	flat_load_dword v22, v[14:15]
	flat_load_dword v24, v[14:15] offset:1024
	flat_load_dword v26, v[14:15] offset:2048
	;; [unrolled: 1-line block ×3, first 2 shown]
	flat_load_dword v28, v[16:17]
	flat_load_dword v29, v[16:17] offset:1024
	flat_load_dword v30, v[16:17] offset:2048
	;; [unrolled: 1-line block ×3, first 2 shown]
	v_add_co_u32_e32 v16, vcc, s2, v14
	v_addc_co_u32_e32 v17, vcc, 0, v15, vcc
	s_movk_i32 s2, 0x3000
	v_add_co_u32_e32 v14, vcc, s2, v14
	v_addc_co_u32_e32 v15, vcc, 0, v15, vcc
	flat_load_dword v32, v[16:17]
	flat_load_dword v33, v[16:17] offset:1024
	flat_load_dword v34, v[16:17] offset:2048
	;; [unrolled: 1-line block ×3, first 2 shown]
	flat_load_dword v36, v[14:15]
	flat_load_dword v37, v[14:15] offset:1024
	s_waitcnt vmcnt(0)
	v_cmp_ne_u32_e32 vcc, v8, v2
	v_cndmask_b32_e64 v39, 0, 1, vcc
	v_cmp_ne_u32_e32 vcc, v5, v10
	v_cndmask_b32_e64 v9, 0, 1, vcc
	v_cmp_ne_u32_e32 vcc, v4, v5
	v_cmp_ne_u32_e64 s[2:3], v6, v7
	v_cndmask_b32_e64 v7, 0, 1, vcc
	v_cmp_ne_u32_e32 vcc, v3, v4
	v_cndmask_b32_e64 v5, 0, 1, vcc
	v_cmp_ne_u32_e32 vcc, v2, v3
	;; [unrolled: 2-line block ×10, first 2 shown]
	v_cndmask_b32_e64 v19, 0, 1, vcc
	s_mov_b64 s[18:19], -1
                                        ; implicit-def: $sgpr4_sgpr5
	s_waitcnt lgkmcnt(0)
	ds_write2st64_b32 v50, v22, v24 offset1:4
	ds_write2st64_b32 v50, v26, v27 offset0:8 offset1:12
	ds_write2st64_b32 v50, v28, v29 offset0:16 offset1:20
	;; [unrolled: 1-line block ×6, first 2 shown]
	s_waitcnt lgkmcnt(0)
	s_barrier
	ds_read2_b32 v[42:43], v1 offset1:13
	ds_read2_b32 v[26:27], v1 offset0:7 offset1:8
	ds_read2_b32 v[28:29], v1 offset0:5 offset1:6
	;; [unrolled: 1-line block ×6, first 2 shown]
	s_waitcnt lgkmcnt(6)
	v_mov_b32_e32 v38, v42
	s_waitcnt lgkmcnt(4)
	v_mov_b32_e32 v10, v28
	;; [unrolled: 2-line block ×4, first 2 shown]
	v_mov_b32_e32 v4, v33
	v_mov_b32_e32 v8, v31
	;; [unrolled: 1-line block ×5, first 2 shown]
	s_waitcnt lgkmcnt(0)
	v_mov_b32_e32 v18, v36
	v_mov_b32_e32 v20, v37
	;; [unrolled: 1-line block ×4, first 2 shown]
.LBB6_86:
	v_pk_mov_b32 v[40:41], s[4:5], s[4:5] op_sel:[0,1]
	s_and_saveexec_b64 s[4:5], s[18:19]
	s_cbranch_execz .LBB6_88
; %bb.87:
	v_cndmask_b32_e64 v41, 0, 1, s[2:3]
	s_waitcnt lgkmcnt(0)
	v_mov_b32_e32 v40, v43
.LBB6_88:
	s_or_b64 exec, exec, s[4:5]
	s_mov_b32 s26, 0
	s_cmp_lg_u32 s6, 0
	v_mbcnt_lo_u32_b32 v52, -1, 0
	v_lshrrev_b32_e32 v1, 6, v0
	v_or_b32_e32 v51, 63, v0
	s_waitcnt lgkmcnt(0)
	s_barrier
	s_cbranch_scc0 .LBB6_117
; %bb.89:
	s_mov_b32 s27, 1
	v_cmp_gt_u64_e64 s[2:3], s[26:27], v[2:3]
	v_cndmask_b32_e64 v27, 0, v38, s[2:3]
	v_add_u32_e32 v27, v27, v2
	v_cmp_gt_u64_e64 s[4:5], s[26:27], v[4:5]
	v_cndmask_b32_e64 v27, 0, v27, s[4:5]
	v_add_u32_e32 v27, v27, v4
	;; [unrolled: 3-line block ×13, first 2 shown]
	v_or3_b32 v27, v41, v25, v23
	v_or3_b32 v27, v27, v21, v19
	;; [unrolled: 1-line block ×6, first 2 shown]
	v_mov_b32_e32 v26, 0
	v_and_b32_e32 v27, 1, v27
	v_cmp_eq_u64_e32 vcc, 0, v[26:27]
	v_cndmask_b32_e32 v26, 1, v39, vcc
	v_mbcnt_hi_u32_b32 v46, -1, v52
	v_mov_b32_dpp v29, v28 row_shr:1 row_mask:0xf bank_mask:0xf
	v_mov_b32_dpp v30, v26 row_shr:1 row_mask:0xf bank_mask:0xf
	v_cmp_eq_u32_e32 vcc, 0, v26
	v_and_b32_e32 v31, 1, v26
	v_and_b32_e32 v27, 15, v46
	v_cndmask_b32_e32 v29, 0, v29, vcc
	v_and_b32_e32 v30, 1, v30
	v_cmp_eq_u32_e32 vcc, 1, v31
	v_cndmask_b32_e64 v30, v30, 1, vcc
	v_cmp_eq_u32_e32 vcc, 0, v27
	v_cndmask_b32_e32 v26, v30, v26, vcc
	v_and_b32_e32 v31, 1, v26
	v_cmp_eq_u32_e64 s[28:29], 1, v31
	v_mov_b32_dpp v30, v26 row_shr:2 row_mask:0xf bank_mask:0xf
	v_and_b32_e32 v30, 1, v30
	v_cndmask_b32_e64 v30, v30, 1, s[28:29]
	v_cmp_lt_u32_e64 s[28:29], 1, v27
	v_cndmask_b32_e64 v29, v29, 0, vcc
	v_cmp_eq_u32_e32 vcc, 0, v26
	v_cndmask_b32_e64 v26, v26, v30, s[28:29]
	v_add_u32_e32 v28, v29, v28
	v_and_b32_e32 v31, 1, v26
	v_mov_b32_dpp v30, v26 row_shr:4 row_mask:0xf bank_mask:0xf
	v_mov_b32_dpp v29, v28 row_shr:2 row_mask:0xf bank_mask:0xf
	s_and_b64 vcc, s[28:29], vcc
	v_and_b32_e32 v30, 1, v30
	v_cmp_eq_u32_e64 s[28:29], 1, v31
	v_cndmask_b32_e32 v29, 0, v29, vcc
	v_cndmask_b32_e64 v30, v30, 1, s[28:29]
	v_cmp_lt_u32_e64 s[28:29], 3, v27
	v_add_u32_e32 v28, v29, v28
	v_cmp_eq_u32_e32 vcc, 0, v26
	v_cndmask_b32_e64 v26, v26, v30, s[28:29]
	v_mov_b32_dpp v29, v28 row_shr:4 row_mask:0xf bank_mask:0xf
	s_and_b64 vcc, s[28:29], vcc
	v_mov_b32_dpp v30, v26 row_shr:8 row_mask:0xf bank_mask:0xf
	v_and_b32_e32 v31, 1, v26
	v_cndmask_b32_e32 v29, 0, v29, vcc
	v_and_b32_e32 v30, 1, v30
	v_cmp_eq_u32_e64 s[28:29], 1, v31
	v_add_u32_e32 v28, v29, v28
	v_cmp_eq_u32_e32 vcc, 0, v26
	v_cndmask_b32_e64 v30, v30, 1, s[28:29]
	v_cmp_lt_u32_e64 s[28:29], 7, v27
	v_mov_b32_dpp v29, v28 row_shr:8 row_mask:0xf bank_mask:0xf
	s_and_b64 vcc, s[28:29], vcc
	v_cndmask_b32_e32 v27, 0, v29, vcc
	v_cndmask_b32_e64 v26, v26, v30, s[28:29]
	v_add_u32_e32 v27, v27, v28
	v_cmp_eq_u32_e32 vcc, 0, v26
	v_mov_b32_dpp v29, v26 row_bcast:15 row_mask:0xf bank_mask:0xf
	v_mov_b32_dpp v28, v27 row_bcast:15 row_mask:0xf bank_mask:0xf
	v_and_b32_e32 v32, 1, v26
	v_and_b32_e32 v31, 16, v46
	v_cndmask_b32_e32 v28, 0, v28, vcc
	v_and_b32_e32 v29, 1, v29
	v_cmp_eq_u32_e32 vcc, 1, v32
	v_bfe_i32 v30, v46, 4, 1
	v_cndmask_b32_e64 v29, v29, 1, vcc
	v_cmp_eq_u32_e32 vcc, 0, v31
	v_and_b32_e32 v28, v30, v28
	v_cndmask_b32_e32 v26, v29, v26, vcc
	v_add_u32_e32 v27, v28, v27
	v_and_b32_e32 v30, 1, v26
	v_mov_b32_dpp v28, v26 row_bcast:31 row_mask:0xf bank_mask:0xf
	v_and_b32_e32 v28, 1, v28
	v_cmp_eq_u32_e64 s[28:29], 1, v30
	v_cmp_eq_u32_e32 vcc, 0, v26
	v_cndmask_b32_e64 v28, v28, 1, s[28:29]
	v_cmp_lt_u32_e64 s[28:29], 31, v46
	v_mov_b32_dpp v29, v27 row_bcast:31 row_mask:0xf bank_mask:0xf
	s_and_b64 vcc, s[28:29], vcc
	v_cndmask_b32_e64 v28, v26, v28, s[28:29]
	v_cndmask_b32_e32 v26, 0, v29, vcc
	v_add_u32_e32 v29, v26, v27
	v_cmp_eq_u32_e32 vcc, v51, v0
	s_and_saveexec_b64 s[28:29], vcc
	s_cbranch_execz .LBB6_91
; %bb.90:
	v_lshlrev_b32_e32 v26, 3, v1
	ds_write_b32 v26, v29
	ds_write_b8 v26, v28 offset:4
.LBB6_91:
	s_or_b64 exec, exec, s[28:29]
	v_cmp_gt_u32_e32 vcc, 4, v0
	s_waitcnt lgkmcnt(0)
	s_barrier
	s_and_saveexec_b64 s[28:29], vcc
	s_cbranch_execz .LBB6_95
; %bb.92:
	v_lshlrev_b32_e32 v30, 3, v0
	ds_read_b64 v[26:27], v30
	v_and_b32_e32 v31, 3, v46
	v_cmp_ne_u32_e32 vcc, 0, v31
	s_waitcnt lgkmcnt(0)
	v_mov_b32_dpp v32, v26 row_shr:1 row_mask:0xf bank_mask:0xf
	v_mov_b32_dpp v34, v27 row_shr:1 row_mask:0xf bank_mask:0xf
	v_mov_b32_e32 v33, v27
	s_and_saveexec_b64 s[34:35], vcc
	s_cbranch_execz .LBB6_94
; %bb.93:
	v_and_b32_e32 v33, 1, v27
	v_and_b32_e32 v34, 1, v34
	v_cmp_eq_u32_e32 vcc, 1, v33
	v_mov_b32_e32 v33, 0
	v_cndmask_b32_e64 v34, v34, 1, vcc
	v_cmp_eq_u16_sdwa vcc, v27, v33 src0_sel:BYTE_0 src1_sel:DWORD
	v_cndmask_b32_e32 v32, 0, v32, vcc
	v_add_u32_e32 v26, v32, v26
	v_and_b32_e32 v32, 0xffff, v34
	s_movk_i32 s7, 0xff00
	v_and_or_b32 v33, v27, s7, v32
	v_mov_b32_e32 v27, v34
.LBB6_94:
	s_or_b64 exec, exec, s[34:35]
	v_mov_b32_dpp v33, v33 row_shr:2 row_mask:0xf bank_mask:0xf
	v_and_b32_e32 v34, 1, v27
	v_and_b32_e32 v33, 1, v33
	v_cmp_eq_u32_e32 vcc, 1, v34
	v_mov_b32_e32 v34, 0
	v_cndmask_b32_e64 v33, v33, 1, vcc
	v_cmp_eq_u16_sdwa s[34:35], v27, v34 src0_sel:BYTE_0 src1_sel:DWORD
	v_cmp_lt_u32_e32 vcc, 1, v31
	v_mov_b32_dpp v32, v26 row_shr:2 row_mask:0xf bank_mask:0xf
	v_cndmask_b32_e32 v27, v27, v33, vcc
	s_and_b64 vcc, vcc, s[34:35]
	v_cndmask_b32_e32 v31, 0, v32, vcc
	v_add_u32_e32 v26, v31, v26
	ds_write_b32 v30, v26
	ds_write_b8 v30, v27 offset:4
.LBB6_95:
	s_or_b64 exec, exec, s[28:29]
	v_cmp_gt_u32_e32 vcc, 64, v0
	v_cmp_lt_u32_e64 s[28:29], 63, v0
	v_mov_b32_e32 v42, 0
	v_mov_b32_e32 v43, 0
	s_waitcnt lgkmcnt(0)
	s_barrier
	s_and_saveexec_b64 s[34:35], s[28:29]
	s_cbranch_execz .LBB6_97
; %bb.96:
	v_lshl_add_u32 v26, v1, 3, -8
	ds_read_b32 v42, v26
	ds_read_u8 v43, v26 offset:4
	v_and_b32_e32 v27, 1, v28
	v_cmp_eq_u32_e64 s[28:29], 0, v28
	s_waitcnt lgkmcnt(1)
	v_cndmask_b32_e64 v26, 0, v42, s[28:29]
	v_cmp_eq_u32_e64 s[28:29], 1, v27
	v_add_u32_e32 v29, v26, v29
	s_waitcnt lgkmcnt(0)
	v_cndmask_b32_e64 v28, v43, 1, s[28:29]
.LBB6_97:
	s_or_b64 exec, exec, s[34:35]
	v_add_u32_e32 v26, -1, v46
	v_and_b32_e32 v27, 64, v46
	v_cmp_lt_i32_e64 s[28:29], v26, v27
	v_cndmask_b32_e64 v26, v26, v46, s[28:29]
	v_lshlrev_b32_e32 v26, 2, v26
	ds_bpermute_b32 v44, v26, v29
	ds_bpermute_b32 v45, v26, v28
	v_cmp_eq_u32_e64 s[28:29], 0, v46
	s_and_saveexec_b64 s[40:41], vcc
	s_cbranch_execz .LBB6_116
; %bb.98:
	v_mov_b32_e32 v29, 0
	ds_read_b64 v[26:27], v29 offset:24
	s_waitcnt lgkmcnt(0)
	v_readfirstlane_b32 s7, v27
	s_and_saveexec_b64 s[34:35], s[28:29]
	s_cbranch_execz .LBB6_100
; %bb.99:
	s_add_i32 s44, s6, 64
	s_mov_b32 s45, 0
	s_lshl_b64 s[48:49], s[44:45], 4
	s_add_u32 s48, s52, s48
	s_addc_u32 s49, s53, s49
	s_and_b32 s51, s7, 0xff000000
	s_mov_b32 s50, s45
	s_and_b32 s59, s7, 0xff0000
	s_mov_b32 s58, s45
	s_or_b64 s[50:51], s[58:59], s[50:51]
	s_and_b32 s59, s7, 0xff00
	s_or_b64 s[50:51], s[50:51], s[58:59]
	s_and_b32 s59, s7, 0xff
	s_or_b64 s[44:45], s[50:51], s[58:59]
	v_mov_b32_e32 v27, s45
	v_mov_b32_e32 v28, 1
	v_pk_mov_b32 v[30:31], s[48:49], s[48:49] op_sel:[0,1]
	;;#ASMSTART
	global_store_dwordx4 v[30:31], v[26:29] off	
s_waitcnt vmcnt(0)
	;;#ASMEND
.LBB6_100:
	s_or_b64 exec, exec, s[34:35]
	v_xad_u32 v34, v46, -1, s6
	v_add_u32_e32 v28, 64, v34
	v_lshlrev_b64 v[30:31], 4, v[28:29]
	v_mov_b32_e32 v27, s53
	v_add_co_u32_e32 v36, vcc, s52, v30
	v_addc_co_u32_e32 v37, vcc, v27, v31, vcc
	;;#ASMSTART
	global_load_dwordx4 v[30:33], v[36:37] off glc	
s_waitcnt vmcnt(0)
	;;#ASMEND
	v_and_b32_e32 v27, 0xff0000, v30
	v_or_b32_sdwa v27, v30, v27 dst_sel:DWORD dst_unused:UNUSED_PAD src0_sel:WORD_0 src1_sel:DWORD
	v_and_b32_e32 v28, 0xff000000, v30
	v_and_b32_e32 v30, 0xff, v31
	v_or3_b32 v31, 0, 0, v30
	v_or3_b32 v30, v27, v28, 0
	v_cmp_eq_u16_sdwa s[44:45], v32, v29 src0_sel:BYTE_0 src1_sel:DWORD
	s_and_saveexec_b64 s[34:35], s[44:45]
	s_cbranch_execz .LBB6_104
; %bb.101:
	s_mov_b64 s[44:45], 0
	v_mov_b32_e32 v27, 0
.LBB6_102:                              ; =>This Inner Loop Header: Depth=1
	;;#ASMSTART
	global_load_dwordx4 v[30:33], v[36:37] off glc	
s_waitcnt vmcnt(0)
	;;#ASMEND
	v_cmp_ne_u16_sdwa s[48:49], v32, v27 src0_sel:BYTE_0 src1_sel:DWORD
	s_or_b64 s[44:45], s[48:49], s[44:45]
	s_andn2_b64 exec, exec, s[44:45]
	s_cbranch_execnz .LBB6_102
; %bb.103:
	s_or_b64 exec, exec, s[44:45]
	v_and_b32_e32 v31, 0xff, v31
.LBB6_104:
	s_or_b64 exec, exec, s[34:35]
	v_mov_b32_e32 v27, 2
	v_cmp_eq_u16_sdwa s[34:35], v32, v27 src0_sel:BYTE_0 src1_sel:DWORD
	v_lshlrev_b64 v[28:29], v46, -1
	v_and_b32_e32 v33, s35, v29
	v_or_b32_e32 v33, 0x80000000, v33
	v_and_b32_e32 v35, s34, v28
	v_ffbl_b32_e32 v33, v33
	v_and_b32_e32 v47, 63, v46
	v_add_u32_e32 v33, 32, v33
	v_ffbl_b32_e32 v35, v35
	v_cmp_ne_u32_e32 vcc, 63, v47
	v_min_u32_e32 v33, v35, v33
	v_addc_co_u32_e32 v35, vcc, 0, v46, vcc
	v_lshlrev_b32_e32 v48, 2, v35
	ds_bpermute_b32 v35, v48, v31
	ds_bpermute_b32 v36, v48, v30
	s_mov_b32 s44, 0
	v_and_b32_e32 v37, 1, v31
	s_mov_b32 s45, 1
	s_waitcnt lgkmcnt(1)
	v_and_b32_e32 v35, 1, v35
	v_cmp_eq_u32_e32 vcc, 1, v37
	v_cndmask_b32_e64 v35, v35, 1, vcc
	v_cmp_gt_u64_e32 vcc, s[44:45], v[30:31]
	v_cmp_lt_u32_e64 s[34:35], v47, v33
	s_and_b64 vcc, s[34:35], vcc
	v_and_b32_e32 v37, 0xffff, v35
	v_cndmask_b32_e64 v54, v31, v35, s[34:35]
	s_waitcnt lgkmcnt(0)
	v_cndmask_b32_e32 v35, 0, v36, vcc
	v_cmp_gt_u32_e32 vcc, 62, v47
	v_cndmask_b32_e64 v36, 0, 1, vcc
	v_lshlrev_b32_e32 v36, 1, v36
	v_cndmask_b32_e64 v31, v31, v37, s[34:35]
	v_add_lshl_u32 v49, v36, v46, 2
	ds_bpermute_b32 v36, v49, v31
	v_add_u32_e32 v30, v35, v30
	ds_bpermute_b32 v37, v49, v30
	v_and_b32_e32 v35, 1, v54
	v_cmp_eq_u32_e32 vcc, 1, v35
	s_waitcnt lgkmcnt(1)
	v_and_b32_e32 v36, 1, v36
	v_mov_b32_e32 v35, 0
	v_add_u32_e32 v53, 2, v47
	v_cndmask_b32_e64 v36, v36, 1, vcc
	v_cmp_eq_u16_sdwa vcc, v54, v35 src0_sel:BYTE_0 src1_sel:DWORD
	v_and_b32_e32 v55, 0xffff, v36
	s_waitcnt lgkmcnt(0)
	v_cndmask_b32_e32 v37, 0, v37, vcc
	v_cmp_gt_u32_e32 vcc, v53, v33
	v_cndmask_b32_e32 v36, v36, v54, vcc
	v_cndmask_b32_e64 v37, v37, 0, vcc
	v_cndmask_b32_e32 v31, v55, v31, vcc
	v_cmp_gt_u32_e32 vcc, 60, v47
	v_cndmask_b32_e64 v54, 0, 1, vcc
	v_lshlrev_b32_e32 v54, 2, v54
	v_add_lshl_u32 v54, v54, v46, 2
	ds_bpermute_b32 v56, v54, v31
	v_add_u32_e32 v30, v37, v30
	ds_bpermute_b32 v37, v54, v30
	v_and_b32_e32 v57, 1, v36
	v_cmp_eq_u32_e32 vcc, 1, v57
	s_waitcnt lgkmcnt(1)
	v_and_b32_e32 v56, 1, v56
	v_add_u32_e32 v55, 4, v47
	v_cndmask_b32_e64 v56, v56, 1, vcc
	v_cmp_eq_u16_sdwa vcc, v36, v35 src0_sel:BYTE_0 src1_sel:DWORD
	v_and_b32_e32 v57, 0xffff, v56
	s_waitcnt lgkmcnt(0)
	v_cndmask_b32_e32 v37, 0, v37, vcc
	v_cmp_gt_u32_e32 vcc, v55, v33
	v_cndmask_b32_e32 v36, v56, v36, vcc
	v_cndmask_b32_e64 v37, v37, 0, vcc
	v_cndmask_b32_e32 v31, v57, v31, vcc
	v_cmp_gt_u32_e32 vcc, 56, v47
	v_cndmask_b32_e64 v56, 0, 1, vcc
	v_lshlrev_b32_e32 v56, 3, v56
	v_add_lshl_u32 v56, v56, v46, 2
	ds_bpermute_b32 v58, v56, v31
	v_add_u32_e32 v30, v37, v30
	ds_bpermute_b32 v37, v56, v30
	v_and_b32_e32 v59, 1, v36
	v_cmp_eq_u32_e32 vcc, 1, v59
	s_waitcnt lgkmcnt(1)
	v_and_b32_e32 v58, 1, v58
	;; [unrolled: 21-line block ×4, first 2 shown]
	v_add_u32_e32 v62, 32, v47
	v_cndmask_b32_e64 v31, v31, 1, vcc
	v_cmp_eq_u16_sdwa vcc, v36, v35 src0_sel:BYTE_0 src1_sel:DWORD
	s_waitcnt lgkmcnt(0)
	v_cndmask_b32_e32 v37, 0, v37, vcc
	v_cmp_gt_u32_e32 vcc, v62, v33
	v_cndmask_b32_e64 v33, v37, 0, vcc
	v_cndmask_b32_e32 v31, v31, v36, vcc
	v_add_u32_e32 v30, v33, v30
	s_branch .LBB6_106
.LBB6_105:                              ;   in Loop: Header=BB6_106 Depth=1
	s_or_b64 exec, exec, s[34:35]
	v_cmp_eq_u16_sdwa s[34:35], v32, v27 src0_sel:BYTE_0 src1_sel:DWORD
	v_and_b32_e32 v33, s35, v29
	ds_bpermute_b32 v37, v48, v31
	v_or_b32_e32 v33, 0x80000000, v33
	v_and_b32_e32 v36, s34, v28
	v_ffbl_b32_e32 v33, v33
	v_add_u32_e32 v33, 32, v33
	v_ffbl_b32_e32 v36, v36
	v_min_u32_e32 v33, v36, v33
	ds_bpermute_b32 v36, v48, v30
	v_and_b32_e32 v63, 1, v31
	s_waitcnt lgkmcnt(1)
	v_and_b32_e32 v37, 1, v37
	v_cmp_eq_u32_e32 vcc, 1, v63
	v_cndmask_b32_e64 v37, v37, 1, vcc
	v_cmp_gt_u64_e32 vcc, s[44:45], v[30:31]
	v_and_b32_e32 v63, 0xffff, v37
	v_cmp_lt_u32_e64 s[34:35], v47, v33
	v_cndmask_b32_e64 v37, v31, v37, s[34:35]
	v_cndmask_b32_e64 v31, v31, v63, s[34:35]
	s_and_b64 vcc, s[34:35], vcc
	ds_bpermute_b32 v63, v49, v31
	s_waitcnt lgkmcnt(1)
	v_cndmask_b32_e32 v36, 0, v36, vcc
	v_add_u32_e32 v30, v36, v30
	ds_bpermute_b32 v36, v49, v30
	v_and_b32_e32 v64, 1, v37
	s_waitcnt lgkmcnt(1)
	v_and_b32_e32 v63, 1, v63
	v_cmp_eq_u32_e32 vcc, 1, v64
	v_cndmask_b32_e64 v63, v63, 1, vcc
	v_cmp_eq_u16_sdwa vcc, v37, v35 src0_sel:BYTE_0 src1_sel:DWORD
	v_and_b32_e32 v64, 0xffff, v63
	s_waitcnt lgkmcnt(0)
	v_cndmask_b32_e32 v36, 0, v36, vcc
	v_cmp_gt_u32_e32 vcc, v53, v33
	v_cndmask_b32_e32 v31, v64, v31, vcc
	v_cndmask_b32_e32 v37, v63, v37, vcc
	ds_bpermute_b32 v63, v54, v31
	v_cndmask_b32_e64 v36, v36, 0, vcc
	v_add_u32_e32 v30, v36, v30
	ds_bpermute_b32 v36, v54, v30
	v_and_b32_e32 v64, 1, v37
	s_waitcnt lgkmcnt(1)
	v_and_b32_e32 v63, 1, v63
	v_cmp_eq_u32_e32 vcc, 1, v64
	v_cndmask_b32_e64 v63, v63, 1, vcc
	v_cmp_eq_u16_sdwa vcc, v37, v35 src0_sel:BYTE_0 src1_sel:DWORD
	v_and_b32_e32 v64, 0xffff, v63
	s_waitcnt lgkmcnt(0)
	v_cndmask_b32_e32 v36, 0, v36, vcc
	v_cmp_gt_u32_e32 vcc, v55, v33
	v_cndmask_b32_e32 v31, v64, v31, vcc
	v_cndmask_b32_e32 v37, v63, v37, vcc
	ds_bpermute_b32 v63, v56, v31
	v_cndmask_b32_e64 v36, v36, 0, vcc
	;; [unrolled: 16-line block ×3, first 2 shown]
	v_add_u32_e32 v30, v36, v30
	ds_bpermute_b32 v36, v58, v30
	v_and_b32_e32 v64, 1, v37
	s_waitcnt lgkmcnt(1)
	v_and_b32_e32 v63, 1, v63
	v_cmp_eq_u32_e32 vcc, 1, v64
	v_cndmask_b32_e64 v63, v63, 1, vcc
	v_cmp_eq_u16_sdwa vcc, v37, v35 src0_sel:BYTE_0 src1_sel:DWORD
	v_and_b32_e32 v64, 0xffff, v63
	s_waitcnt lgkmcnt(0)
	v_cndmask_b32_e32 v36, 0, v36, vcc
	v_cmp_gt_u32_e32 vcc, v59, v33
	v_cndmask_b32_e64 v36, v36, 0, vcc
	v_cndmask_b32_e32 v31, v64, v31, vcc
	ds_bpermute_b32 v31, v61, v31
	v_add_u32_e32 v30, v36, v30
	ds_bpermute_b32 v36, v61, v30
	v_cndmask_b32_e32 v37, v63, v37, vcc
	v_and_b32_e32 v63, 1, v37
	v_cmp_eq_u32_e32 vcc, 1, v63
	s_waitcnt lgkmcnt(1)
	v_cndmask_b32_e64 v31, v31, 1, vcc
	v_cmp_eq_u16_sdwa vcc, v37, v35 src0_sel:BYTE_0 src1_sel:DWORD
	s_waitcnt lgkmcnt(0)
	v_cndmask_b32_e32 v36, 0, v36, vcc
	v_cmp_gt_u32_e32 vcc, v62, v33
	v_cndmask_b32_e64 v33, v36, 0, vcc
	v_cndmask_b32_e32 v31, v31, v37, vcc
	v_add_u32_e32 v30, v33, v30
	v_cmp_eq_u16_sdwa vcc, v46, v35 src0_sel:BYTE_0 src1_sel:DWORD
	v_and_b32_e32 v33, 1, v46
	v_cndmask_b32_e32 v30, 0, v30, vcc
	v_and_b32_e32 v31, 1, v31
	v_cmp_eq_u32_e32 vcc, 1, v33
	v_subrev_u32_e32 v34, 64, v34
	v_add_u32_e32 v30, v30, v60
	v_cndmask_b32_e64 v31, v31, 1, vcc
.LBB6_106:                              ; =>This Loop Header: Depth=1
                                        ;     Child Loop BB6_109 Depth 2
	v_cmp_ne_u16_sdwa s[34:35], v32, v27 src0_sel:BYTE_0 src1_sel:DWORD
	v_mov_b32_e32 v46, v31
	v_cndmask_b32_e64 v31, 0, 1, s[34:35]
	;;#ASMSTART
	;;#ASMEND
	v_cmp_ne_u32_e32 vcc, 0, v31
	s_cmp_lg_u64 vcc, exec
	v_mov_b32_e32 v60, v30
	s_cbranch_scc1 .LBB6_111
; %bb.107:                              ;   in Loop: Header=BB6_106 Depth=1
	v_lshlrev_b64 v[30:31], 4, v[34:35]
	v_mov_b32_e32 v32, s53
	v_add_co_u32_e32 v36, vcc, s52, v30
	v_addc_co_u32_e32 v37, vcc, v32, v31, vcc
	;;#ASMSTART
	global_load_dwordx4 v[30:33], v[36:37] off glc	
s_waitcnt vmcnt(0)
	;;#ASMEND
	v_and_b32_e32 v33, 0xff0000, v30
	v_or_b32_sdwa v33, v30, v33 dst_sel:DWORD dst_unused:UNUSED_PAD src0_sel:WORD_0 src1_sel:DWORD
	v_and_b32_e32 v30, 0xff000000, v30
	v_and_b32_e32 v31, 0xff, v31
	v_or3_b32 v31, 0, 0, v31
	v_or3_b32 v30, v33, v30, 0
	v_cmp_eq_u16_sdwa s[48:49], v32, v35 src0_sel:BYTE_0 src1_sel:DWORD
	s_and_saveexec_b64 s[34:35], s[48:49]
	s_cbranch_execz .LBB6_105
; %bb.108:                              ;   in Loop: Header=BB6_106 Depth=1
	s_mov_b64 s[48:49], 0
.LBB6_109:                              ;   Parent Loop BB6_106 Depth=1
                                        ; =>  This Inner Loop Header: Depth=2
	;;#ASMSTART
	global_load_dwordx4 v[30:33], v[36:37] off glc	
s_waitcnt vmcnt(0)
	;;#ASMEND
	v_cmp_ne_u16_sdwa s[50:51], v32, v35 src0_sel:BYTE_0 src1_sel:DWORD
	s_or_b64 s[48:49], s[50:51], s[48:49]
	s_andn2_b64 exec, exec, s[48:49]
	s_cbranch_execnz .LBB6_109
; %bb.110:                              ;   in Loop: Header=BB6_106 Depth=1
	s_or_b64 exec, exec, s[48:49]
	v_and_b32_e32 v31, 0xff, v31
	s_branch .LBB6_105
.LBB6_111:                              ;   in Loop: Header=BB6_106 Depth=1
                                        ; implicit-def: $vgpr31
                                        ; implicit-def: $vgpr30
                                        ; implicit-def: $vgpr32
	s_cbranch_execz .LBB6_106
; %bb.112:
	s_and_saveexec_b64 s[34:35], s[28:29]
	s_cbranch_execz .LBB6_114
; %bb.113:
	s_and_b32 s44, s7, 0xff
	s_cmp_eq_u32 s44, 0
	s_cselect_b64 vcc, -1, 0
	s_bitcmp1_b32 s7, 0
	s_mov_b32 s45, 0
	s_cselect_b64 s[48:49], -1, 0
	s_add_i32 s44, s6, 64
	s_lshl_b64 s[6:7], s[44:45], 4
	v_cndmask_b32_e32 v27, 0, v60, vcc
	s_add_u32 s6, s52, s6
	v_add_u32_e32 v26, v27, v26
	v_and_b32_e32 v27, 1, v46
	s_addc_u32 s7, s53, s7
	v_mov_b32_e32 v29, 0
	v_cndmask_b32_e64 v27, v27, 1, s[48:49]
	v_mov_b32_e32 v28, 2
	v_pk_mov_b32 v[30:31], s[6:7], s[6:7] op_sel:[0,1]
	;;#ASMSTART
	global_store_dwordx4 v[30:31], v[26:29] off	
s_waitcnt vmcnt(0)
	;;#ASMEND
.LBB6_114:
	s_or_b64 exec, exec, s[34:35]
	v_cmp_eq_u32_e32 vcc, 0, v0
	s_and_b64 exec, exec, vcc
	s_cbranch_execz .LBB6_116
; %bb.115:
	v_mov_b32_e32 v26, 0
	ds_write_b32 v26, v60 offset:24
	ds_write_b8 v26, v46 offset:28
.LBB6_116:
	s_or_b64 exec, exec, s[40:41]
	s_mov_b32 s6, 0
	v_mov_b32_e32 v28, 0
	s_mov_b32 s7, 1
	s_waitcnt lgkmcnt(0)
	v_cndmask_b32_e64 v26, v45, v43, s[28:29]
	v_cndmask_b32_e64 v27, v44, v42, s[28:29]
	s_barrier
	ds_read_b32 v29, v28 offset:24
	v_cmp_gt_u64_e32 vcc, s[6:7], v[38:39]
	v_and_b32_e32 v30, 1, v39
	v_cndmask_b32_e32 v27, 0, v27, vcc
	v_and_b32_e32 v26, 1, v26
	v_cmp_eq_u32_e32 vcc, 1, v30
	v_cndmask_b32_e64 v26, v26, 1, vcc
	v_cmp_eq_u32_e32 vcc, 0, v0
	v_cndmask_b32_e32 v26, v26, v39, vcc
	v_cndmask_b32_e64 v27, v27, 0, vcc
	v_cmp_eq_u16_sdwa vcc, v26, v28 src0_sel:BYTE_0 src1_sel:DWORD
	s_waitcnt lgkmcnt(0)
	v_cndmask_b32_e32 v26, 0, v29, vcc
	v_add3_u32 v26, v27, v38, v26
	v_cndmask_b32_e64 v27, 0, v26, s[2:3]
	v_add_u32_e32 v27, v27, v2
	v_cndmask_b32_e64 v28, 0, v27, s[4:5]
	v_add_u32_e32 v42, v28, v4
	;; [unrolled: 2-line block ×13, first 2 shown]
	s_branch .LBB6_133
.LBB6_117:
                                        ; implicit-def: $vgpr49
                                        ; implicit-def: $vgpr47
                                        ; implicit-def: $vgpr45
                                        ; implicit-def: $vgpr43
                                        ; implicit-def: $vgpr34_vgpr35_vgpr36_vgpr37
                                        ; implicit-def: $vgpr30_vgpr31_vgpr32_vgpr33
                                        ; implicit-def: $vgpr26_vgpr27_vgpr28_vgpr29
	s_cbranch_execz .LBB6_133
; %bb.118:
	s_cmp_lg_u64 s[56:57], 0
	s_cselect_b32 s5, s47, 0
	s_cselect_b32 s4, s46, 0
	s_cmp_lg_u64 s[4:5], 0
	s_cselect_b64 s[6:7], -1, 0
	v_cmp_eq_u32_e32 vcc, 0, v0
	s_mov_b32 s28, 0
	v_cmp_ne_u32_e64 s[2:3], 0, v0
	s_and_b64 s[8:9], vcc, s[6:7]
	s_and_saveexec_b64 s[6:7], s[8:9]
	s_cbranch_execz .LBB6_120
; %bb.119:
	v_mov_b32_e32 v26, 0
	global_load_dword v28, v26, s[4:5]
	global_load_ubyte v29, v26, s[4:5] offset:4
	s_mov_b32 s29, 1
	v_and_b32_e32 v27, 1, v39
	v_cmp_gt_u64_e64 s[4:5], s[28:29], v[38:39]
	s_waitcnt vmcnt(1)
	v_cndmask_b32_e64 v28, 0, v28, s[4:5]
	s_waitcnt vmcnt(0)
	v_and_b32_e32 v29, 1, v29
	v_cmp_eq_u64_e64 s[4:5], 0, v[26:27]
	v_add_u32_e32 v38, v28, v38
	v_cndmask_b32_e64 v39, 1, v29, s[4:5]
.LBB6_120:
	s_or_b64 exec, exec, s[6:7]
	s_mov_b32 s29, 1
	v_cmp_gt_u64_e64 s[4:5], s[28:29], v[2:3]
	v_cndmask_b32_e64 v26, 0, v38, s[4:5]
	v_add_u32_e32 v27, v26, v2
	v_cmp_gt_u64_e64 s[6:7], s[28:29], v[4:5]
	v_cndmask_b32_e64 v26, 0, v27, s[6:7]
	v_add_u32_e32 v42, v26, v4
	;; [unrolled: 3-line block ×7, first 2 shown]
	v_cmp_gt_u64_e64 s[18:19], s[28:29], v[16:17]
	v_mov_b32_e32 v28, 0
	v_cndmask_b32_e64 v26, 0, v45, s[18:19]
	v_or3_b32 v7, v23, v15, v7
	v_add_u32_e32 v34, v26, v16
	v_cmp_gt_u64_e64 s[20:21], s[28:29], v[18:19]
	v_or3_b32 v9, v25, v17, v9
	v_and_b32_e32 v55, 1, v7
	v_mov_b32_e32 v54, v28
	v_cndmask_b32_e64 v26, 0, v34, s[20:21]
	v_or3_b32 v3, v19, v11, v3
	v_and_b32_e32 v37, 1, v9
	v_mov_b32_e32 v36, v28
	v_cmp_ne_u64_e64 s[34:35], 0, v[54:55]
	v_add_u32_e32 v35, v26, v18
	v_cmp_gt_u64_e64 s[22:23], s[28:29], v[20:21]
	v_or3_b32 v5, v21, v13, v5
	v_and_b32_e32 v29, 1, v3
	v_cndmask_b32_e64 v3, 0, 1, s[34:35]
	v_cmp_ne_u64_e64 s[34:35], 0, v[36:37]
	v_cndmask_b32_e64 v26, 0, v35, s[22:23]
	v_and_b32_e32 v33, 1, v5
	v_mov_b32_e32 v32, v28
	v_cndmask_b32_e64 v5, 0, 1, s[34:35]
	v_add_u32_e32 v46, v26, v20
	v_cmp_gt_u64_e64 s[24:25], s[28:29], v[22:23]
	v_lshlrev_b16_e32 v3, 2, v3
	v_lshlrev_b16_e32 v5, 3, v5
	v_cmp_ne_u64_e64 s[34:35], 0, v[32:33]
	v_cndmask_b32_e64 v26, 0, v46, s[24:25]
	v_or_b32_e32 v3, v5, v3
	v_cndmask_b32_e64 v5, 0, 1, s[34:35]
	v_cmp_ne_u64_e64 s[34:35], 0, v[28:29]
	v_add_u32_e32 v47, v26, v22
	v_cmp_gt_u64_e64 s[26:27], s[28:29], v[24:25]
	v_lshlrev_b16_e32 v5, 1, v5
	v_cndmask_b32_e64 v7, 0, 1, s[34:35]
	v_cndmask_b32_e64 v26, 0, v47, s[26:27]
	v_or_b32_e32 v5, v7, v5
	v_add_u32_e32 v48, v26, v24
	v_cmp_gt_u64_e64 s[28:29], s[28:29], v[40:41]
	v_and_b32_e32 v5, 3, v5
	v_cndmask_b32_e64 v26, 0, v48, s[28:29]
	v_or_b32_e32 v3, v5, v3
	v_add_u32_e32 v49, v26, v40
	v_and_b32_e32 v26, 1, v41
	v_and_b32_e32 v3, 15, v3
	v_cmp_eq_u32_e64 s[30:31], 1, v26
	v_cmp_ne_u16_e64 s[34:35], 0, v3
	s_or_b64 s[30:31], s[30:31], s[34:35]
	v_cndmask_b32_e64 v5, v39, 1, s[30:31]
	v_mbcnt_hi_u32_b32 v3, -1, v52
	v_mov_b32_dpp v9, v49 row_shr:1 row_mask:0xf bank_mask:0xf
	v_mov_b32_dpp v11, v5 row_shr:1 row_mask:0xf bank_mask:0xf
	v_cmp_eq_u32_e64 s[30:31], 0, v5
	v_and_b32_e32 v13, 1, v5
	v_and_b32_e32 v7, 15, v3
	v_cndmask_b32_e64 v9, 0, v9, s[30:31]
	v_and_b32_e32 v11, 1, v11
	v_cmp_eq_u32_e64 s[30:31], 1, v13
	v_cndmask_b32_e64 v11, v11, 1, s[30:31]
	v_cmp_eq_u32_e64 s[30:31], 0, v7
	v_cndmask_b32_e64 v5, v11, v5, s[30:31]
	v_and_b32_e32 v15, 1, v5
	v_cmp_eq_u32_e64 s[34:35], 1, v15
	v_mov_b32_dpp v13, v5 row_shr:2 row_mask:0xf bank_mask:0xf
	v_and_b32_e32 v13, 1, v13
	v_cndmask_b32_e64 v13, v13, 1, s[34:35]
	v_cmp_lt_u32_e64 s[34:35], 1, v7
	v_cndmask_b32_e64 v9, v9, 0, s[30:31]
	v_cmp_eq_u32_e64 s[30:31], 0, v5
	v_cndmask_b32_e64 v5, v5, v13, s[34:35]
	v_add_u32_e32 v9, v49, v9
	v_and_b32_e32 v15, 1, v5
	v_mov_b32_dpp v13, v5 row_shr:4 row_mask:0xf bank_mask:0xf
	v_mov_b32_dpp v11, v9 row_shr:2 row_mask:0xf bank_mask:0xf
	s_and_b64 s[30:31], s[34:35], s[30:31]
	v_and_b32_e32 v13, 1, v13
	v_cmp_eq_u32_e64 s[34:35], 1, v15
	v_cndmask_b32_e64 v11, 0, v11, s[30:31]
	v_cndmask_b32_e64 v13, v13, 1, s[34:35]
	v_cmp_lt_u32_e64 s[34:35], 3, v7
	v_add_u32_e32 v9, v9, v11
	v_cmp_eq_u32_e64 s[30:31], 0, v5
	v_cndmask_b32_e64 v5, v5, v13, s[34:35]
	v_mov_b32_dpp v11, v9 row_shr:4 row_mask:0xf bank_mask:0xf
	s_and_b64 s[30:31], s[34:35], s[30:31]
	v_mov_b32_dpp v13, v5 row_shr:8 row_mask:0xf bank_mask:0xf
	v_and_b32_e32 v15, 1, v5
	v_cndmask_b32_e64 v11, 0, v11, s[30:31]
	v_and_b32_e32 v13, 1, v13
	v_cmp_eq_u32_e64 s[34:35], 1, v15
	v_add_u32_e32 v9, v9, v11
	v_cmp_eq_u32_e64 s[30:31], 0, v5
	v_cndmask_b32_e64 v13, v13, 1, s[34:35]
	v_cmp_lt_u32_e64 s[34:35], 7, v7
	v_mov_b32_dpp v11, v9 row_shr:8 row_mask:0xf bank_mask:0xf
	s_and_b64 s[30:31], s[34:35], s[30:31]
	v_cndmask_b32_e64 v7, 0, v11, s[30:31]
	v_cndmask_b32_e64 v5, v5, v13, s[34:35]
	v_add_u32_e32 v7, v9, v7
	v_cmp_eq_u32_e64 s[30:31], 0, v5
	v_mov_b32_dpp v11, v5 row_bcast:15 row_mask:0xf bank_mask:0xf
	v_mov_b32_dpp v9, v7 row_bcast:15 row_mask:0xf bank_mask:0xf
	v_and_b32_e32 v17, 1, v5
	v_and_b32_e32 v15, 16, v3
	v_cndmask_b32_e64 v9, 0, v9, s[30:31]
	v_and_b32_e32 v11, 1, v11
	v_cmp_eq_u32_e64 s[30:31], 1, v17
	v_bfe_i32 v13, v3, 4, 1
	v_cndmask_b32_e64 v11, v11, 1, s[30:31]
	v_cmp_eq_u32_e64 s[30:31], 0, v15
	v_and_b32_e32 v9, v13, v9
	v_cndmask_b32_e64 v5, v11, v5, s[30:31]
	v_add_u32_e32 v9, v7, v9
	v_and_b32_e32 v13, 1, v5
	v_mov_b32_dpp v7, v5 row_bcast:31 row_mask:0xf bank_mask:0xf
	v_and_b32_e32 v7, 1, v7
	v_cmp_eq_u32_e64 s[34:35], 1, v13
	v_cmp_eq_u32_e64 s[30:31], 0, v5
	v_cndmask_b32_e64 v7, v7, 1, s[34:35]
	v_cmp_lt_u32_e64 s[34:35], 31, v3
	v_mov_b32_dpp v11, v9 row_bcast:31 row_mask:0xf bank_mask:0xf
	s_and_b64 s[30:31], s[34:35], s[30:31]
	v_cndmask_b32_e64 v7, v5, v7, s[34:35]
	v_cndmask_b32_e64 v5, 0, v11, s[30:31]
	v_add_u32_e32 v5, v9, v5
	v_cmp_eq_u32_e64 s[30:31], v51, v0
	s_and_saveexec_b64 s[34:35], s[30:31]
	s_cbranch_execz .LBB6_122
; %bb.121:
	v_lshlrev_b32_e32 v9, 3, v1
	ds_write_b32 v9, v5
	ds_write_b8 v9, v7 offset:4
.LBB6_122:
	s_or_b64 exec, exec, s[34:35]
	v_cmp_gt_u32_e64 s[30:31], 4, v0
	s_waitcnt lgkmcnt(0)
	s_barrier
	s_and_saveexec_b64 s[34:35], s[30:31]
	s_cbranch_execz .LBB6_126
; %bb.123:
	v_lshlrev_b32_e32 v9, 3, v0
	ds_read_b64 v[28:29], v9
	v_and_b32_e32 v11, 3, v3
	v_cmp_ne_u32_e64 s[30:31], 0, v11
	s_waitcnt lgkmcnt(0)
	v_mov_b32_dpp v13, v28 row_shr:1 row_mask:0xf bank_mask:0xf
	v_mov_b32_dpp v17, v29 row_shr:1 row_mask:0xf bank_mask:0xf
	v_mov_b32_e32 v15, v29
	s_and_saveexec_b64 s[40:41], s[30:31]
	s_cbranch_execz .LBB6_125
; %bb.124:
	v_and_b32_e32 v15, 1, v29
	v_and_b32_e32 v17, 1, v17
	v_cmp_eq_u32_e64 s[30:31], 1, v15
	v_mov_b32_e32 v15, 0
	v_cndmask_b32_e64 v17, v17, 1, s[30:31]
	v_cmp_eq_u16_sdwa s[30:31], v29, v15 src0_sel:BYTE_0 src1_sel:DWORD
	v_cndmask_b32_e64 v13, 0, v13, s[30:31]
	v_add_u32_e32 v28, v13, v28
	v_and_b32_e32 v13, 0xffff, v17
	s_movk_i32 s30, 0xff00
	v_and_or_b32 v15, v29, s30, v13
	v_mov_b32_e32 v29, v17
.LBB6_125:
	s_or_b64 exec, exec, s[40:41]
	v_mov_b32_dpp v15, v15 row_shr:2 row_mask:0xf bank_mask:0xf
	v_and_b32_e32 v17, 1, v29
	v_and_b32_e32 v15, 1, v15
	v_cmp_eq_u32_e64 s[30:31], 1, v17
	v_mov_b32_e32 v17, 0
	v_cndmask_b32_e64 v15, v15, 1, s[30:31]
	v_cmp_eq_u16_sdwa s[40:41], v29, v17 src0_sel:BYTE_0 src1_sel:DWORD
	v_cmp_lt_u32_e64 s[30:31], 1, v11
	v_mov_b32_dpp v13, v28 row_shr:2 row_mask:0xf bank_mask:0xf
	v_cndmask_b32_e64 v11, v29, v15, s[30:31]
	s_and_b64 s[30:31], s[30:31], s[40:41]
	v_cndmask_b32_e64 v13, 0, v13, s[30:31]
	v_add_u32_e32 v13, v13, v28
	ds_write_b32 v9, v13
	ds_write_b8 v9, v11 offset:4
.LBB6_126:
	s_or_b64 exec, exec, s[34:35]
	v_cmp_lt_u32_e64 s[30:31], 63, v0
	v_mov_b32_e32 v9, 0
	s_waitcnt lgkmcnt(0)
	s_barrier
	s_and_saveexec_b64 s[34:35], s[30:31]
	s_cbranch_execz .LBB6_128
; %bb.127:
	v_lshl_add_u32 v1, v1, 3, -8
	ds_read_b32 v9, v1
	v_cmp_eq_u32_e64 s[30:31], 0, v7
	s_waitcnt lgkmcnt(0)
	v_cndmask_b32_e64 v1, 0, v9, s[30:31]
	v_add_u32_e32 v5, v1, v5
.LBB6_128:
	s_or_b64 exec, exec, s[34:35]
	v_add_u32_e32 v1, -1, v3
	v_and_b32_e32 v7, 64, v3
	v_cmp_lt_i32_e64 s[30:31], v1, v7
	v_cndmask_b32_e64 v1, v1, v3, s[30:31]
	v_lshlrev_b32_e32 v1, 2, v1
	ds_bpermute_b32 v1, v1, v5
	s_and_saveexec_b64 s[30:31], s[2:3]
	s_cbranch_execz .LBB6_130
; %bb.129:
	v_and_b32_e32 v27, 0xff, v39
	v_mov_b32_e32 v26, 0
	v_cmp_eq_u32_e64 s[2:3], 0, v3
	s_waitcnt lgkmcnt(0)
	v_cndmask_b32_e64 v1, v1, v9, s[2:3]
	v_cmp_eq_u64_e64 s[2:3], 0, v[26:27]
	v_cndmask_b32_e64 v1, 0, v1, s[2:3]
	v_add_u32_e32 v38, v1, v38
	v_cndmask_b32_e64 v1, 0, v38, s[4:5]
	v_add_u32_e32 v27, v1, v2
	;; [unrolled: 2-line block ×14, first 2 shown]
	;;#ASMSTART
	;;#ASMEND
.LBB6_130:
	s_or_b64 exec, exec, s[30:31]
	s_and_saveexec_b64 s[2:3], vcc
	s_cbranch_execz .LBB6_132
; %bb.131:
	v_mov_b32_e32 v5, 0
	ds_read_b32 v2, v5 offset:24
	ds_read_u8 v3, v5 offset:28
	s_add_u32 s4, s52, 0x400
	s_addc_u32 s5, s53, 0
	v_mov_b32_e32 v4, 2
	v_pk_mov_b32 v[6:7], s[4:5], s[4:5] op_sel:[0,1]
	s_waitcnt lgkmcnt(0)
	;;#ASMSTART
	global_store_dwordx4 v[6:7], v[2:5] off	
s_waitcnt vmcnt(0)
	;;#ASMEND
.LBB6_132:
	s_or_b64 exec, exec, s[2:3]
	v_mov_b32_e32 v26, v38
.LBB6_133:
	s_add_u32 s2, s42, s38
	s_addc_u32 s3, s43, s39
	s_add_u32 s4, s2, s36
	s_waitcnt lgkmcnt(0)
	v_mul_u32_u24_e32 v1, 14, v0
	s_addc_u32 s5, s3, s37
	s_and_b64 vcc, exec, s[0:1]
	v_lshlrev_b32_e32 v2, 2, v1
	s_cbranch_vccz .LBB6_161
; %bb.134:
	s_movk_i32 s0, 0xffcc
	v_mad_i32_i24 v3, v0, s0, v2
	s_barrier
	ds_write2_b64 v2, v[26:27], v[42:43] offset1:1
	ds_write2_b64 v2, v[30:31], v[44:45] offset0:2 offset1:3
	ds_write2_b64 v2, v[34:35], v[46:47] offset0:4 offset1:5
	ds_write_b64 v2, v[48:49] offset:48
	s_waitcnt lgkmcnt(0)
	s_barrier
	ds_read2st64_b32 v[16:17], v3 offset0:4 offset1:8
	ds_read2st64_b32 v[14:15], v3 offset0:12 offset1:16
	;; [unrolled: 1-line block ×6, first 2 shown]
	ds_read_b32 v3, v3 offset:13312
	v_mov_b32_e32 v7, s5
	v_add_co_u32_e32 v6, vcc, s4, v50
	s_add_i32 s33, s33, s54
	v_addc_co_u32_e32 v7, vcc, 0, v7, vcc
	v_mov_b32_e32 v1, 0
	v_cmp_gt_u32_e32 vcc, s33, v0
	s_and_saveexec_b64 s[0:1], vcc
	s_cbranch_execz .LBB6_136
; %bb.135:
	v_mul_i32_i24_e32 v18, 0xffffffcc, v0
	v_add_u32_e32 v18, v2, v18
	ds_read_b32 v18, v18
	s_waitcnt lgkmcnt(0)
	flat_store_dword v[6:7], v18
.LBB6_136:
	s_or_b64 exec, exec, s[0:1]
	v_or_b32_e32 v18, 0x100, v0
	v_cmp_gt_u32_e32 vcc, s33, v18
	s_and_saveexec_b64 s[0:1], vcc
	s_cbranch_execz .LBB6_138
; %bb.137:
	s_waitcnt lgkmcnt(0)
	flat_store_dword v[6:7], v16 offset:1024
.LBB6_138:
	s_or_b64 exec, exec, s[0:1]
	s_waitcnt lgkmcnt(0)
	v_or_b32_e32 v16, 0x200, v0
	v_cmp_gt_u32_e32 vcc, s33, v16
	s_and_saveexec_b64 s[0:1], vcc
	s_cbranch_execz .LBB6_140
; %bb.139:
	flat_store_dword v[6:7], v17 offset:2048
.LBB6_140:
	s_or_b64 exec, exec, s[0:1]
	v_or_b32_e32 v16, 0x300, v0
	v_cmp_gt_u32_e32 vcc, s33, v16
	s_and_saveexec_b64 s[0:1], vcc
	s_cbranch_execz .LBB6_142
; %bb.141:
	flat_store_dword v[6:7], v14 offset:3072
.LBB6_142:
	s_or_b64 exec, exec, s[0:1]
	v_or_b32_e32 v14, 0x400, v0
	v_cmp_gt_u32_e32 vcc, s33, v14
	s_and_saveexec_b64 s[0:1], vcc
	s_cbranch_execz .LBB6_144
; %bb.143:
	v_add_co_u32_e32 v16, vcc, 0x1000, v6
	v_addc_co_u32_e32 v17, vcc, 0, v7, vcc
	flat_store_dword v[16:17], v15
.LBB6_144:
	s_or_b64 exec, exec, s[0:1]
	v_or_b32_e32 v14, 0x500, v0
	v_cmp_gt_u32_e32 vcc, s33, v14
	s_and_saveexec_b64 s[0:1], vcc
	s_cbranch_execz .LBB6_146
; %bb.145:
	v_add_co_u32_e32 v14, vcc, 0x1000, v6
	v_addc_co_u32_e32 v15, vcc, 0, v7, vcc
	flat_store_dword v[14:15], v12 offset:1024
.LBB6_146:
	s_or_b64 exec, exec, s[0:1]
	v_or_b32_e32 v12, 0x600, v0
	v_cmp_gt_u32_e32 vcc, s33, v12
	s_and_saveexec_b64 s[0:1], vcc
	s_cbranch_execz .LBB6_148
; %bb.147:
	v_add_co_u32_e32 v14, vcc, 0x1000, v6
	v_addc_co_u32_e32 v15, vcc, 0, v7, vcc
	flat_store_dword v[14:15], v13 offset:2048
.LBB6_148:
	;; [unrolled: 10-line block ×3, first 2 shown]
	s_or_b64 exec, exec, s[0:1]
	v_or_b32_e32 v10, 0x800, v0
	v_cmp_gt_u32_e32 vcc, s33, v10
	s_and_saveexec_b64 s[0:1], vcc
	s_cbranch_execz .LBB6_152
; %bb.151:
	v_add_co_u32_e32 v12, vcc, 0x2000, v6
	v_addc_co_u32_e32 v13, vcc, 0, v7, vcc
	flat_store_dword v[12:13], v11
.LBB6_152:
	s_or_b64 exec, exec, s[0:1]
	v_or_b32_e32 v10, 0x900, v0
	v_cmp_gt_u32_e32 vcc, s33, v10
	s_and_saveexec_b64 s[0:1], vcc
	s_cbranch_execz .LBB6_154
; %bb.153:
	v_add_co_u32_e32 v10, vcc, 0x2000, v6
	v_addc_co_u32_e32 v11, vcc, 0, v7, vcc
	flat_store_dword v[10:11], v8 offset:1024
.LBB6_154:
	s_or_b64 exec, exec, s[0:1]
	v_or_b32_e32 v8, 0xa00, v0
	v_cmp_gt_u32_e32 vcc, s33, v8
	s_and_saveexec_b64 s[0:1], vcc
	s_cbranch_execz .LBB6_156
; %bb.155:
	v_add_co_u32_e32 v10, vcc, 0x2000, v6
	v_addc_co_u32_e32 v11, vcc, 0, v7, vcc
	flat_store_dword v[10:11], v9 offset:2048
.LBB6_156:
	;; [unrolled: 10-line block ×3, first 2 shown]
	s_or_b64 exec, exec, s[0:1]
	v_or_b32_e32 v4, 0xc00, v0
	v_cmp_gt_u32_e32 vcc, s33, v4
	s_and_saveexec_b64 s[0:1], vcc
	s_cbranch_execz .LBB6_160
; %bb.159:
	v_add_co_u32_e32 v6, vcc, 0x3000, v6
	v_addc_co_u32_e32 v7, vcc, 0, v7, vcc
	flat_store_dword v[6:7], v5
.LBB6_160:
	s_or_b64 exec, exec, s[0:1]
	v_or_b32_e32 v4, 0xd00, v0
	v_cmp_gt_u32_e64 s[0:1], s33, v4
	s_branch .LBB6_163
.LBB6_161:
	s_mov_b64 s[0:1], 0
                                        ; implicit-def: $vgpr3
	s_cbranch_execz .LBB6_163
; %bb.162:
	s_movk_i32 s2, 0xffcc
	s_waitcnt lgkmcnt(0)
	s_barrier
	ds_write2_b64 v2, v[26:27], v[42:43] offset1:1
	ds_write2_b64 v2, v[30:31], v[44:45] offset0:2 offset1:3
	ds_write2_b64 v2, v[34:35], v[46:47] offset0:4 offset1:5
	ds_write_b64 v2, v[48:49] offset:48
	v_mad_i32_i24 v2, v0, s2, v2
	v_mov_b32_e32 v17, s5
	v_add_co_u32_e32 v16, vcc, s4, v50
	s_waitcnt lgkmcnt(0)
	s_barrier
	ds_read2st64_b32 v[4:5], v2 offset1:4
	ds_read2st64_b32 v[6:7], v2 offset0:8 offset1:12
	ds_read2st64_b32 v[8:9], v2 offset0:16 offset1:20
	;; [unrolled: 1-line block ×6, first 2 shown]
	v_addc_co_u32_e32 v17, vcc, 0, v17, vcc
	s_movk_i32 s2, 0x1000
	s_waitcnt lgkmcnt(0)
	flat_store_dword v[16:17], v4
	flat_store_dword v[16:17], v5 offset:1024
	flat_store_dword v[16:17], v6 offset:2048
	;; [unrolled: 1-line block ×3, first 2 shown]
	v_add_co_u32_e32 v4, vcc, s2, v16
	v_addc_co_u32_e32 v5, vcc, 0, v17, vcc
	flat_store_dword v[4:5], v8
	flat_store_dword v[4:5], v9 offset:1024
	flat_store_dword v[4:5], v10 offset:2048
	;; [unrolled: 1-line block ×3, first 2 shown]
	v_add_co_u32_e32 v4, vcc, 0x2000, v16
	v_addc_co_u32_e32 v5, vcc, 0, v17, vcc
	flat_store_dword v[4:5], v12
	flat_store_dword v[4:5], v13 offset:1024
	flat_store_dword v[4:5], v14 offset:2048
	;; [unrolled: 1-line block ×3, first 2 shown]
	v_add_co_u32_e32 v4, vcc, 0x3000, v16
	v_mov_b32_e32 v1, 0
	v_addc_co_u32_e32 v5, vcc, 0, v17, vcc
	s_or_b64 s[0:1], s[0:1], exec
	flat_store_dword v[4:5], v2
.LBB6_163:
	s_and_saveexec_b64 s[2:3], s[0:1]
	s_cbranch_execnz .LBB6_165
; %bb.164:
	s_endpgm
.LBB6_165:
	v_lshlrev_b64 v[0:1], 2, v[0:1]
	v_mov_b32_e32 v2, s5
	v_add_co_u32_e32 v0, vcc, s4, v0
	v_addc_co_u32_e32 v1, vcc, v2, v1, vcc
	v_add_co_u32_e32 v0, vcc, 0x3000, v0
	v_addc_co_u32_e32 v1, vcc, 0, v1, vcc
	flat_store_dword v[0:1], v3 offset:1024
	s_endpgm
.LBB6_166:
	v_mov_b32_e32 v13, s55
	v_add_co_u32_e32 v14, vcc, s7, v12
	v_addc_co_u32_e32 v15, vcc, 0, v13, vcc
	flat_load_dword v13, v[14:15]
	s_or_b64 exec, exec, s[44:45]
                                        ; implicit-def: $vgpr14
	s_and_saveexec_b64 s[2:3], s[4:5]
	s_cbranch_execz .LBB6_37
.LBB6_167:
	v_mov_b32_e32 v15, s55
	v_add_co_u32_e32 v14, vcc, s7, v12
	v_addc_co_u32_e32 v15, vcc, 0, v15, vcc
	flat_load_dword v14, v[14:15] offset:1024
	s_or_b64 exec, exec, s[2:3]
                                        ; implicit-def: $vgpr15
	s_and_saveexec_b64 s[2:3], s[30:31]
	s_cbranch_execz .LBB6_38
.LBB6_168:
	v_mov_b32_e32 v15, s55
	v_add_co_u32_e32 v16, vcc, s7, v12
	v_addc_co_u32_e32 v17, vcc, 0, v15, vcc
	flat_load_dword v15, v[16:17] offset:2048
	s_or_b64 exec, exec, s[2:3]
                                        ; implicit-def: $vgpr16
	s_and_saveexec_b64 s[2:3], s[8:9]
	s_cbranch_execz .LBB6_39
.LBB6_169:
	v_mov_b32_e32 v17, s55
	v_add_co_u32_e32 v16, vcc, s7, v12
	v_addc_co_u32_e32 v17, vcc, 0, v17, vcc
	flat_load_dword v16, v[16:17] offset:3072
	s_or_b64 exec, exec, s[2:3]
                                        ; implicit-def: $vgpr17
	s_and_saveexec_b64 s[2:3], s[10:11]
	s_cbranch_execz .LBB6_40
.LBB6_170:
	v_mov_b32_e32 v17, s55
	v_add_co_u32_e32 v18, vcc, s7, v2
	v_addc_co_u32_e32 v19, vcc, 0, v17, vcc
	flat_load_dword v17, v[18:19]
	s_or_b64 exec, exec, s[2:3]
                                        ; implicit-def: $vgpr2
	s_and_saveexec_b64 s[2:3], s[12:13]
	s_cbranch_execz .LBB6_41
.LBB6_171:
	v_mov_b32_e32 v18, s55
	v_add_co_u32_e32 v2, vcc, s7, v3
	v_addc_co_u32_e32 v3, vcc, 0, v18, vcc
	flat_load_dword v2, v[2:3]
	s_or_b64 exec, exec, s[2:3]
                                        ; implicit-def: $vgpr3
	s_and_saveexec_b64 s[2:3], s[14:15]
	s_cbranch_execz .LBB6_42
.LBB6_172:
	v_mov_b32_e32 v3, s55
	v_add_co_u32_e32 v18, vcc, s7, v4
	v_addc_co_u32_e32 v19, vcc, 0, v3, vcc
	flat_load_dword v3, v[18:19]
	s_or_b64 exec, exec, s[2:3]
                                        ; implicit-def: $vgpr4
	s_and_saveexec_b64 s[2:3], s[16:17]
	s_cbranch_execz .LBB6_43
.LBB6_173:
	v_mov_b32_e32 v18, s55
	v_add_co_u32_e32 v4, vcc, s7, v5
	v_addc_co_u32_e32 v5, vcc, 0, v18, vcc
	flat_load_dword v4, v[4:5]
	s_or_b64 exec, exec, s[2:3]
                                        ; implicit-def: $vgpr5
	s_and_saveexec_b64 s[2:3], s[18:19]
	s_cbranch_execz .LBB6_44
.LBB6_174:
	v_mov_b32_e32 v5, s55
	v_add_co_u32_e32 v18, vcc, s7, v6
	v_addc_co_u32_e32 v19, vcc, 0, v5, vcc
	flat_load_dword v5, v[18:19]
	s_or_b64 exec, exec, s[2:3]
                                        ; implicit-def: $vgpr6
	s_and_saveexec_b64 s[2:3], s[20:21]
	s_cbranch_execz .LBB6_45
.LBB6_175:
	v_mov_b32_e32 v18, s55
	v_add_co_u32_e32 v6, vcc, s7, v7
	v_addc_co_u32_e32 v7, vcc, 0, v18, vcc
	flat_load_dword v6, v[6:7]
	s_or_b64 exec, exec, s[2:3]
                                        ; implicit-def: $vgpr7
	s_and_saveexec_b64 s[2:3], s[22:23]
	s_cbranch_execz .LBB6_46
.LBB6_176:
	v_mov_b32_e32 v7, s55
	v_add_co_u32_e32 v18, vcc, s7, v8
	v_addc_co_u32_e32 v19, vcc, 0, v7, vcc
	flat_load_dword v7, v[18:19]
	s_or_b64 exec, exec, s[2:3]
                                        ; implicit-def: $vgpr8
	s_and_saveexec_b64 s[2:3], s[24:25]
	s_cbranch_execz .LBB6_47
.LBB6_177:
	v_mov_b32_e32 v18, s55
	v_add_co_u32_e32 v8, vcc, s7, v9
	v_addc_co_u32_e32 v9, vcc, 0, v18, vcc
	flat_load_dword v8, v[8:9]
	s_or_b64 exec, exec, s[2:3]
                                        ; implicit-def: $vgpr9
	s_and_saveexec_b64 s[2:3], s[26:27]
	s_cbranch_execz .LBB6_48
.LBB6_178:
	v_mov_b32_e32 v9, s55
	v_add_co_u32_e32 v18, vcc, s7, v10
	v_addc_co_u32_e32 v19, vcc, 0, v9, vcc
	flat_load_dword v9, v[18:19]
	s_or_b64 exec, exec, s[2:3]
                                        ; implicit-def: $vgpr10
	s_and_saveexec_b64 s[2:3], s[28:29]
	s_cbranch_execnz .LBB6_49
	s_branch .LBB6_50
.LBB6_179:
                                        ; implicit-def: $sgpr44_sgpr45
	s_branch .LBB6_32
.LBB6_180:
                                        ; implicit-def: $sgpr2_sgpr3
	s_branch .LBB6_81
	.section	.rodata,"a",@progbits
	.p2align	6, 0x0
	.amdhsa_kernel _ZN7rocprim17ROCPRIM_400000_NS6detail17trampoline_kernelINS0_14default_configENS1_27scan_by_key_config_selectorIiiEEZZNS1_16scan_by_key_implILNS1_25lookback_scan_determinismE0ELb0ES3_N6thrust23THRUST_200600_302600_NS6detail15normal_iteratorINS9_10device_ptrIiEEEESE_SE_iNS9_4plusIvEENS9_8equal_toIvEEiEE10hipError_tPvRmT2_T3_T4_T5_mT6_T7_P12ihipStream_tbENKUlT_T0_E_clISt17integral_constantIbLb0EESZ_EEDaSU_SV_EUlSU_E_NS1_11comp_targetILNS1_3genE4ELNS1_11target_archE910ELNS1_3gpuE8ELNS1_3repE0EEENS1_30default_config_static_selectorELNS0_4arch9wavefront6targetE1EEEvT1_
		.amdhsa_group_segment_fixed_size 16384
		.amdhsa_private_segment_fixed_size 0
		.amdhsa_kernarg_size 112
		.amdhsa_user_sgpr_count 6
		.amdhsa_user_sgpr_private_segment_buffer 1
		.amdhsa_user_sgpr_dispatch_ptr 0
		.amdhsa_user_sgpr_queue_ptr 0
		.amdhsa_user_sgpr_kernarg_segment_ptr 1
		.amdhsa_user_sgpr_dispatch_id 0
		.amdhsa_user_sgpr_flat_scratch_init 0
		.amdhsa_user_sgpr_kernarg_preload_length 0
		.amdhsa_user_sgpr_kernarg_preload_offset 0
		.amdhsa_user_sgpr_private_segment_size 0
		.amdhsa_uses_dynamic_stack 0
		.amdhsa_system_sgpr_private_segment_wavefront_offset 0
		.amdhsa_system_sgpr_workgroup_id_x 1
		.amdhsa_system_sgpr_workgroup_id_y 0
		.amdhsa_system_sgpr_workgroup_id_z 0
		.amdhsa_system_sgpr_workgroup_info 0
		.amdhsa_system_vgpr_workitem_id 0
		.amdhsa_next_free_vgpr 65
		.amdhsa_next_free_sgpr 61
		.amdhsa_accum_offset 68
		.amdhsa_reserve_vcc 1
		.amdhsa_reserve_flat_scratch 0
		.amdhsa_float_round_mode_32 0
		.amdhsa_float_round_mode_16_64 0
		.amdhsa_float_denorm_mode_32 3
		.amdhsa_float_denorm_mode_16_64 3
		.amdhsa_dx10_clamp 1
		.amdhsa_ieee_mode 1
		.amdhsa_fp16_overflow 0
		.amdhsa_tg_split 0
		.amdhsa_exception_fp_ieee_invalid_op 0
		.amdhsa_exception_fp_denorm_src 0
		.amdhsa_exception_fp_ieee_div_zero 0
		.amdhsa_exception_fp_ieee_overflow 0
		.amdhsa_exception_fp_ieee_underflow 0
		.amdhsa_exception_fp_ieee_inexact 0
		.amdhsa_exception_int_div_zero 0
	.end_amdhsa_kernel
	.section	.text._ZN7rocprim17ROCPRIM_400000_NS6detail17trampoline_kernelINS0_14default_configENS1_27scan_by_key_config_selectorIiiEEZZNS1_16scan_by_key_implILNS1_25lookback_scan_determinismE0ELb0ES3_N6thrust23THRUST_200600_302600_NS6detail15normal_iteratorINS9_10device_ptrIiEEEESE_SE_iNS9_4plusIvEENS9_8equal_toIvEEiEE10hipError_tPvRmT2_T3_T4_T5_mT6_T7_P12ihipStream_tbENKUlT_T0_E_clISt17integral_constantIbLb0EESZ_EEDaSU_SV_EUlSU_E_NS1_11comp_targetILNS1_3genE4ELNS1_11target_archE910ELNS1_3gpuE8ELNS1_3repE0EEENS1_30default_config_static_selectorELNS0_4arch9wavefront6targetE1EEEvT1_,"axG",@progbits,_ZN7rocprim17ROCPRIM_400000_NS6detail17trampoline_kernelINS0_14default_configENS1_27scan_by_key_config_selectorIiiEEZZNS1_16scan_by_key_implILNS1_25lookback_scan_determinismE0ELb0ES3_N6thrust23THRUST_200600_302600_NS6detail15normal_iteratorINS9_10device_ptrIiEEEESE_SE_iNS9_4plusIvEENS9_8equal_toIvEEiEE10hipError_tPvRmT2_T3_T4_T5_mT6_T7_P12ihipStream_tbENKUlT_T0_E_clISt17integral_constantIbLb0EESZ_EEDaSU_SV_EUlSU_E_NS1_11comp_targetILNS1_3genE4ELNS1_11target_archE910ELNS1_3gpuE8ELNS1_3repE0EEENS1_30default_config_static_selectorELNS0_4arch9wavefront6targetE1EEEvT1_,comdat
.Lfunc_end6:
	.size	_ZN7rocprim17ROCPRIM_400000_NS6detail17trampoline_kernelINS0_14default_configENS1_27scan_by_key_config_selectorIiiEEZZNS1_16scan_by_key_implILNS1_25lookback_scan_determinismE0ELb0ES3_N6thrust23THRUST_200600_302600_NS6detail15normal_iteratorINS9_10device_ptrIiEEEESE_SE_iNS9_4plusIvEENS9_8equal_toIvEEiEE10hipError_tPvRmT2_T3_T4_T5_mT6_T7_P12ihipStream_tbENKUlT_T0_E_clISt17integral_constantIbLb0EESZ_EEDaSU_SV_EUlSU_E_NS1_11comp_targetILNS1_3genE4ELNS1_11target_archE910ELNS1_3gpuE8ELNS1_3repE0EEENS1_30default_config_static_selectorELNS0_4arch9wavefront6targetE1EEEvT1_, .Lfunc_end6-_ZN7rocprim17ROCPRIM_400000_NS6detail17trampoline_kernelINS0_14default_configENS1_27scan_by_key_config_selectorIiiEEZZNS1_16scan_by_key_implILNS1_25lookback_scan_determinismE0ELb0ES3_N6thrust23THRUST_200600_302600_NS6detail15normal_iteratorINS9_10device_ptrIiEEEESE_SE_iNS9_4plusIvEENS9_8equal_toIvEEiEE10hipError_tPvRmT2_T3_T4_T5_mT6_T7_P12ihipStream_tbENKUlT_T0_E_clISt17integral_constantIbLb0EESZ_EEDaSU_SV_EUlSU_E_NS1_11comp_targetILNS1_3genE4ELNS1_11target_archE910ELNS1_3gpuE8ELNS1_3repE0EEENS1_30default_config_static_selectorELNS0_4arch9wavefront6targetE1EEEvT1_
                                        ; -- End function
	.section	.AMDGPU.csdata,"",@progbits
; Kernel info:
; codeLenInByte = 10908
; NumSgprs: 65
; NumVgprs: 65
; NumAgprs: 0
; TotalNumVgprs: 65
; ScratchSize: 0
; MemoryBound: 0
; FloatMode: 240
; IeeeMode: 1
; LDSByteSize: 16384 bytes/workgroup (compile time only)
; SGPRBlocks: 8
; VGPRBlocks: 8
; NumSGPRsForWavesPerEU: 65
; NumVGPRsForWavesPerEU: 65
; AccumOffset: 68
; Occupancy: 4
; WaveLimiterHint : 1
; COMPUTE_PGM_RSRC2:SCRATCH_EN: 0
; COMPUTE_PGM_RSRC2:USER_SGPR: 6
; COMPUTE_PGM_RSRC2:TRAP_HANDLER: 0
; COMPUTE_PGM_RSRC2:TGID_X_EN: 1
; COMPUTE_PGM_RSRC2:TGID_Y_EN: 0
; COMPUTE_PGM_RSRC2:TGID_Z_EN: 0
; COMPUTE_PGM_RSRC2:TIDIG_COMP_CNT: 0
; COMPUTE_PGM_RSRC3_GFX90A:ACCUM_OFFSET: 16
; COMPUTE_PGM_RSRC3_GFX90A:TG_SPLIT: 0
	.section	.text._ZN7rocprim17ROCPRIM_400000_NS6detail17trampoline_kernelINS0_14default_configENS1_27scan_by_key_config_selectorIiiEEZZNS1_16scan_by_key_implILNS1_25lookback_scan_determinismE0ELb0ES3_N6thrust23THRUST_200600_302600_NS6detail15normal_iteratorINS9_10device_ptrIiEEEESE_SE_iNS9_4plusIvEENS9_8equal_toIvEEiEE10hipError_tPvRmT2_T3_T4_T5_mT6_T7_P12ihipStream_tbENKUlT_T0_E_clISt17integral_constantIbLb0EESZ_EEDaSU_SV_EUlSU_E_NS1_11comp_targetILNS1_3genE3ELNS1_11target_archE908ELNS1_3gpuE7ELNS1_3repE0EEENS1_30default_config_static_selectorELNS0_4arch9wavefront6targetE1EEEvT1_,"axG",@progbits,_ZN7rocprim17ROCPRIM_400000_NS6detail17trampoline_kernelINS0_14default_configENS1_27scan_by_key_config_selectorIiiEEZZNS1_16scan_by_key_implILNS1_25lookback_scan_determinismE0ELb0ES3_N6thrust23THRUST_200600_302600_NS6detail15normal_iteratorINS9_10device_ptrIiEEEESE_SE_iNS9_4plusIvEENS9_8equal_toIvEEiEE10hipError_tPvRmT2_T3_T4_T5_mT6_T7_P12ihipStream_tbENKUlT_T0_E_clISt17integral_constantIbLb0EESZ_EEDaSU_SV_EUlSU_E_NS1_11comp_targetILNS1_3genE3ELNS1_11target_archE908ELNS1_3gpuE7ELNS1_3repE0EEENS1_30default_config_static_selectorELNS0_4arch9wavefront6targetE1EEEvT1_,comdat
	.protected	_ZN7rocprim17ROCPRIM_400000_NS6detail17trampoline_kernelINS0_14default_configENS1_27scan_by_key_config_selectorIiiEEZZNS1_16scan_by_key_implILNS1_25lookback_scan_determinismE0ELb0ES3_N6thrust23THRUST_200600_302600_NS6detail15normal_iteratorINS9_10device_ptrIiEEEESE_SE_iNS9_4plusIvEENS9_8equal_toIvEEiEE10hipError_tPvRmT2_T3_T4_T5_mT6_T7_P12ihipStream_tbENKUlT_T0_E_clISt17integral_constantIbLb0EESZ_EEDaSU_SV_EUlSU_E_NS1_11comp_targetILNS1_3genE3ELNS1_11target_archE908ELNS1_3gpuE7ELNS1_3repE0EEENS1_30default_config_static_selectorELNS0_4arch9wavefront6targetE1EEEvT1_ ; -- Begin function _ZN7rocprim17ROCPRIM_400000_NS6detail17trampoline_kernelINS0_14default_configENS1_27scan_by_key_config_selectorIiiEEZZNS1_16scan_by_key_implILNS1_25lookback_scan_determinismE0ELb0ES3_N6thrust23THRUST_200600_302600_NS6detail15normal_iteratorINS9_10device_ptrIiEEEESE_SE_iNS9_4plusIvEENS9_8equal_toIvEEiEE10hipError_tPvRmT2_T3_T4_T5_mT6_T7_P12ihipStream_tbENKUlT_T0_E_clISt17integral_constantIbLb0EESZ_EEDaSU_SV_EUlSU_E_NS1_11comp_targetILNS1_3genE3ELNS1_11target_archE908ELNS1_3gpuE7ELNS1_3repE0EEENS1_30default_config_static_selectorELNS0_4arch9wavefront6targetE1EEEvT1_
	.globl	_ZN7rocprim17ROCPRIM_400000_NS6detail17trampoline_kernelINS0_14default_configENS1_27scan_by_key_config_selectorIiiEEZZNS1_16scan_by_key_implILNS1_25lookback_scan_determinismE0ELb0ES3_N6thrust23THRUST_200600_302600_NS6detail15normal_iteratorINS9_10device_ptrIiEEEESE_SE_iNS9_4plusIvEENS9_8equal_toIvEEiEE10hipError_tPvRmT2_T3_T4_T5_mT6_T7_P12ihipStream_tbENKUlT_T0_E_clISt17integral_constantIbLb0EESZ_EEDaSU_SV_EUlSU_E_NS1_11comp_targetILNS1_3genE3ELNS1_11target_archE908ELNS1_3gpuE7ELNS1_3repE0EEENS1_30default_config_static_selectorELNS0_4arch9wavefront6targetE1EEEvT1_
	.p2align	8
	.type	_ZN7rocprim17ROCPRIM_400000_NS6detail17trampoline_kernelINS0_14default_configENS1_27scan_by_key_config_selectorIiiEEZZNS1_16scan_by_key_implILNS1_25lookback_scan_determinismE0ELb0ES3_N6thrust23THRUST_200600_302600_NS6detail15normal_iteratorINS9_10device_ptrIiEEEESE_SE_iNS9_4plusIvEENS9_8equal_toIvEEiEE10hipError_tPvRmT2_T3_T4_T5_mT6_T7_P12ihipStream_tbENKUlT_T0_E_clISt17integral_constantIbLb0EESZ_EEDaSU_SV_EUlSU_E_NS1_11comp_targetILNS1_3genE3ELNS1_11target_archE908ELNS1_3gpuE7ELNS1_3repE0EEENS1_30default_config_static_selectorELNS0_4arch9wavefront6targetE1EEEvT1_,@function
_ZN7rocprim17ROCPRIM_400000_NS6detail17trampoline_kernelINS0_14default_configENS1_27scan_by_key_config_selectorIiiEEZZNS1_16scan_by_key_implILNS1_25lookback_scan_determinismE0ELb0ES3_N6thrust23THRUST_200600_302600_NS6detail15normal_iteratorINS9_10device_ptrIiEEEESE_SE_iNS9_4plusIvEENS9_8equal_toIvEEiEE10hipError_tPvRmT2_T3_T4_T5_mT6_T7_P12ihipStream_tbENKUlT_T0_E_clISt17integral_constantIbLb0EESZ_EEDaSU_SV_EUlSU_E_NS1_11comp_targetILNS1_3genE3ELNS1_11target_archE908ELNS1_3gpuE7ELNS1_3repE0EEENS1_30default_config_static_selectorELNS0_4arch9wavefront6targetE1EEEvT1_: ; @_ZN7rocprim17ROCPRIM_400000_NS6detail17trampoline_kernelINS0_14default_configENS1_27scan_by_key_config_selectorIiiEEZZNS1_16scan_by_key_implILNS1_25lookback_scan_determinismE0ELb0ES3_N6thrust23THRUST_200600_302600_NS6detail15normal_iteratorINS9_10device_ptrIiEEEESE_SE_iNS9_4plusIvEENS9_8equal_toIvEEiEE10hipError_tPvRmT2_T3_T4_T5_mT6_T7_P12ihipStream_tbENKUlT_T0_E_clISt17integral_constantIbLb0EESZ_EEDaSU_SV_EUlSU_E_NS1_11comp_targetILNS1_3genE3ELNS1_11target_archE908ELNS1_3gpuE7ELNS1_3repE0EEENS1_30default_config_static_selectorELNS0_4arch9wavefront6targetE1EEEvT1_
; %bb.0:
	.section	.rodata,"a",@progbits
	.p2align	6, 0x0
	.amdhsa_kernel _ZN7rocprim17ROCPRIM_400000_NS6detail17trampoline_kernelINS0_14default_configENS1_27scan_by_key_config_selectorIiiEEZZNS1_16scan_by_key_implILNS1_25lookback_scan_determinismE0ELb0ES3_N6thrust23THRUST_200600_302600_NS6detail15normal_iteratorINS9_10device_ptrIiEEEESE_SE_iNS9_4plusIvEENS9_8equal_toIvEEiEE10hipError_tPvRmT2_T3_T4_T5_mT6_T7_P12ihipStream_tbENKUlT_T0_E_clISt17integral_constantIbLb0EESZ_EEDaSU_SV_EUlSU_E_NS1_11comp_targetILNS1_3genE3ELNS1_11target_archE908ELNS1_3gpuE7ELNS1_3repE0EEENS1_30default_config_static_selectorELNS0_4arch9wavefront6targetE1EEEvT1_
		.amdhsa_group_segment_fixed_size 0
		.amdhsa_private_segment_fixed_size 0
		.amdhsa_kernarg_size 112
		.amdhsa_user_sgpr_count 6
		.amdhsa_user_sgpr_private_segment_buffer 1
		.amdhsa_user_sgpr_dispatch_ptr 0
		.amdhsa_user_sgpr_queue_ptr 0
		.amdhsa_user_sgpr_kernarg_segment_ptr 1
		.amdhsa_user_sgpr_dispatch_id 0
		.amdhsa_user_sgpr_flat_scratch_init 0
		.amdhsa_user_sgpr_kernarg_preload_length 0
		.amdhsa_user_sgpr_kernarg_preload_offset 0
		.amdhsa_user_sgpr_private_segment_size 0
		.amdhsa_uses_dynamic_stack 0
		.amdhsa_system_sgpr_private_segment_wavefront_offset 0
		.amdhsa_system_sgpr_workgroup_id_x 1
		.amdhsa_system_sgpr_workgroup_id_y 0
		.amdhsa_system_sgpr_workgroup_id_z 0
		.amdhsa_system_sgpr_workgroup_info 0
		.amdhsa_system_vgpr_workitem_id 0
		.amdhsa_next_free_vgpr 1
		.amdhsa_next_free_sgpr 0
		.amdhsa_accum_offset 4
		.amdhsa_reserve_vcc 0
		.amdhsa_reserve_flat_scratch 0
		.amdhsa_float_round_mode_32 0
		.amdhsa_float_round_mode_16_64 0
		.amdhsa_float_denorm_mode_32 3
		.amdhsa_float_denorm_mode_16_64 3
		.amdhsa_dx10_clamp 1
		.amdhsa_ieee_mode 1
		.amdhsa_fp16_overflow 0
		.amdhsa_tg_split 0
		.amdhsa_exception_fp_ieee_invalid_op 0
		.amdhsa_exception_fp_denorm_src 0
		.amdhsa_exception_fp_ieee_div_zero 0
		.amdhsa_exception_fp_ieee_overflow 0
		.amdhsa_exception_fp_ieee_underflow 0
		.amdhsa_exception_fp_ieee_inexact 0
		.amdhsa_exception_int_div_zero 0
	.end_amdhsa_kernel
	.section	.text._ZN7rocprim17ROCPRIM_400000_NS6detail17trampoline_kernelINS0_14default_configENS1_27scan_by_key_config_selectorIiiEEZZNS1_16scan_by_key_implILNS1_25lookback_scan_determinismE0ELb0ES3_N6thrust23THRUST_200600_302600_NS6detail15normal_iteratorINS9_10device_ptrIiEEEESE_SE_iNS9_4plusIvEENS9_8equal_toIvEEiEE10hipError_tPvRmT2_T3_T4_T5_mT6_T7_P12ihipStream_tbENKUlT_T0_E_clISt17integral_constantIbLb0EESZ_EEDaSU_SV_EUlSU_E_NS1_11comp_targetILNS1_3genE3ELNS1_11target_archE908ELNS1_3gpuE7ELNS1_3repE0EEENS1_30default_config_static_selectorELNS0_4arch9wavefront6targetE1EEEvT1_,"axG",@progbits,_ZN7rocprim17ROCPRIM_400000_NS6detail17trampoline_kernelINS0_14default_configENS1_27scan_by_key_config_selectorIiiEEZZNS1_16scan_by_key_implILNS1_25lookback_scan_determinismE0ELb0ES3_N6thrust23THRUST_200600_302600_NS6detail15normal_iteratorINS9_10device_ptrIiEEEESE_SE_iNS9_4plusIvEENS9_8equal_toIvEEiEE10hipError_tPvRmT2_T3_T4_T5_mT6_T7_P12ihipStream_tbENKUlT_T0_E_clISt17integral_constantIbLb0EESZ_EEDaSU_SV_EUlSU_E_NS1_11comp_targetILNS1_3genE3ELNS1_11target_archE908ELNS1_3gpuE7ELNS1_3repE0EEENS1_30default_config_static_selectorELNS0_4arch9wavefront6targetE1EEEvT1_,comdat
.Lfunc_end7:
	.size	_ZN7rocprim17ROCPRIM_400000_NS6detail17trampoline_kernelINS0_14default_configENS1_27scan_by_key_config_selectorIiiEEZZNS1_16scan_by_key_implILNS1_25lookback_scan_determinismE0ELb0ES3_N6thrust23THRUST_200600_302600_NS6detail15normal_iteratorINS9_10device_ptrIiEEEESE_SE_iNS9_4plusIvEENS9_8equal_toIvEEiEE10hipError_tPvRmT2_T3_T4_T5_mT6_T7_P12ihipStream_tbENKUlT_T0_E_clISt17integral_constantIbLb0EESZ_EEDaSU_SV_EUlSU_E_NS1_11comp_targetILNS1_3genE3ELNS1_11target_archE908ELNS1_3gpuE7ELNS1_3repE0EEENS1_30default_config_static_selectorELNS0_4arch9wavefront6targetE1EEEvT1_, .Lfunc_end7-_ZN7rocprim17ROCPRIM_400000_NS6detail17trampoline_kernelINS0_14default_configENS1_27scan_by_key_config_selectorIiiEEZZNS1_16scan_by_key_implILNS1_25lookback_scan_determinismE0ELb0ES3_N6thrust23THRUST_200600_302600_NS6detail15normal_iteratorINS9_10device_ptrIiEEEESE_SE_iNS9_4plusIvEENS9_8equal_toIvEEiEE10hipError_tPvRmT2_T3_T4_T5_mT6_T7_P12ihipStream_tbENKUlT_T0_E_clISt17integral_constantIbLb0EESZ_EEDaSU_SV_EUlSU_E_NS1_11comp_targetILNS1_3genE3ELNS1_11target_archE908ELNS1_3gpuE7ELNS1_3repE0EEENS1_30default_config_static_selectorELNS0_4arch9wavefront6targetE1EEEvT1_
                                        ; -- End function
	.section	.AMDGPU.csdata,"",@progbits
; Kernel info:
; codeLenInByte = 0
; NumSgprs: 4
; NumVgprs: 0
; NumAgprs: 0
; TotalNumVgprs: 0
; ScratchSize: 0
; MemoryBound: 0
; FloatMode: 240
; IeeeMode: 1
; LDSByteSize: 0 bytes/workgroup (compile time only)
; SGPRBlocks: 0
; VGPRBlocks: 0
; NumSGPRsForWavesPerEU: 4
; NumVGPRsForWavesPerEU: 1
; AccumOffset: 4
; Occupancy: 8
; WaveLimiterHint : 0
; COMPUTE_PGM_RSRC2:SCRATCH_EN: 0
; COMPUTE_PGM_RSRC2:USER_SGPR: 6
; COMPUTE_PGM_RSRC2:TRAP_HANDLER: 0
; COMPUTE_PGM_RSRC2:TGID_X_EN: 1
; COMPUTE_PGM_RSRC2:TGID_Y_EN: 0
; COMPUTE_PGM_RSRC2:TGID_Z_EN: 0
; COMPUTE_PGM_RSRC2:TIDIG_COMP_CNT: 0
; COMPUTE_PGM_RSRC3_GFX90A:ACCUM_OFFSET: 0
; COMPUTE_PGM_RSRC3_GFX90A:TG_SPLIT: 0
	.section	.text._ZN7rocprim17ROCPRIM_400000_NS6detail17trampoline_kernelINS0_14default_configENS1_27scan_by_key_config_selectorIiiEEZZNS1_16scan_by_key_implILNS1_25lookback_scan_determinismE0ELb0ES3_N6thrust23THRUST_200600_302600_NS6detail15normal_iteratorINS9_10device_ptrIiEEEESE_SE_iNS9_4plusIvEENS9_8equal_toIvEEiEE10hipError_tPvRmT2_T3_T4_T5_mT6_T7_P12ihipStream_tbENKUlT_T0_E_clISt17integral_constantIbLb0EESZ_EEDaSU_SV_EUlSU_E_NS1_11comp_targetILNS1_3genE2ELNS1_11target_archE906ELNS1_3gpuE6ELNS1_3repE0EEENS1_30default_config_static_selectorELNS0_4arch9wavefront6targetE1EEEvT1_,"axG",@progbits,_ZN7rocprim17ROCPRIM_400000_NS6detail17trampoline_kernelINS0_14default_configENS1_27scan_by_key_config_selectorIiiEEZZNS1_16scan_by_key_implILNS1_25lookback_scan_determinismE0ELb0ES3_N6thrust23THRUST_200600_302600_NS6detail15normal_iteratorINS9_10device_ptrIiEEEESE_SE_iNS9_4plusIvEENS9_8equal_toIvEEiEE10hipError_tPvRmT2_T3_T4_T5_mT6_T7_P12ihipStream_tbENKUlT_T0_E_clISt17integral_constantIbLb0EESZ_EEDaSU_SV_EUlSU_E_NS1_11comp_targetILNS1_3genE2ELNS1_11target_archE906ELNS1_3gpuE6ELNS1_3repE0EEENS1_30default_config_static_selectorELNS0_4arch9wavefront6targetE1EEEvT1_,comdat
	.protected	_ZN7rocprim17ROCPRIM_400000_NS6detail17trampoline_kernelINS0_14default_configENS1_27scan_by_key_config_selectorIiiEEZZNS1_16scan_by_key_implILNS1_25lookback_scan_determinismE0ELb0ES3_N6thrust23THRUST_200600_302600_NS6detail15normal_iteratorINS9_10device_ptrIiEEEESE_SE_iNS9_4plusIvEENS9_8equal_toIvEEiEE10hipError_tPvRmT2_T3_T4_T5_mT6_T7_P12ihipStream_tbENKUlT_T0_E_clISt17integral_constantIbLb0EESZ_EEDaSU_SV_EUlSU_E_NS1_11comp_targetILNS1_3genE2ELNS1_11target_archE906ELNS1_3gpuE6ELNS1_3repE0EEENS1_30default_config_static_selectorELNS0_4arch9wavefront6targetE1EEEvT1_ ; -- Begin function _ZN7rocprim17ROCPRIM_400000_NS6detail17trampoline_kernelINS0_14default_configENS1_27scan_by_key_config_selectorIiiEEZZNS1_16scan_by_key_implILNS1_25lookback_scan_determinismE0ELb0ES3_N6thrust23THRUST_200600_302600_NS6detail15normal_iteratorINS9_10device_ptrIiEEEESE_SE_iNS9_4plusIvEENS9_8equal_toIvEEiEE10hipError_tPvRmT2_T3_T4_T5_mT6_T7_P12ihipStream_tbENKUlT_T0_E_clISt17integral_constantIbLb0EESZ_EEDaSU_SV_EUlSU_E_NS1_11comp_targetILNS1_3genE2ELNS1_11target_archE906ELNS1_3gpuE6ELNS1_3repE0EEENS1_30default_config_static_selectorELNS0_4arch9wavefront6targetE1EEEvT1_
	.globl	_ZN7rocprim17ROCPRIM_400000_NS6detail17trampoline_kernelINS0_14default_configENS1_27scan_by_key_config_selectorIiiEEZZNS1_16scan_by_key_implILNS1_25lookback_scan_determinismE0ELb0ES3_N6thrust23THRUST_200600_302600_NS6detail15normal_iteratorINS9_10device_ptrIiEEEESE_SE_iNS9_4plusIvEENS9_8equal_toIvEEiEE10hipError_tPvRmT2_T3_T4_T5_mT6_T7_P12ihipStream_tbENKUlT_T0_E_clISt17integral_constantIbLb0EESZ_EEDaSU_SV_EUlSU_E_NS1_11comp_targetILNS1_3genE2ELNS1_11target_archE906ELNS1_3gpuE6ELNS1_3repE0EEENS1_30default_config_static_selectorELNS0_4arch9wavefront6targetE1EEEvT1_
	.p2align	8
	.type	_ZN7rocprim17ROCPRIM_400000_NS6detail17trampoline_kernelINS0_14default_configENS1_27scan_by_key_config_selectorIiiEEZZNS1_16scan_by_key_implILNS1_25lookback_scan_determinismE0ELb0ES3_N6thrust23THRUST_200600_302600_NS6detail15normal_iteratorINS9_10device_ptrIiEEEESE_SE_iNS9_4plusIvEENS9_8equal_toIvEEiEE10hipError_tPvRmT2_T3_T4_T5_mT6_T7_P12ihipStream_tbENKUlT_T0_E_clISt17integral_constantIbLb0EESZ_EEDaSU_SV_EUlSU_E_NS1_11comp_targetILNS1_3genE2ELNS1_11target_archE906ELNS1_3gpuE6ELNS1_3repE0EEENS1_30default_config_static_selectorELNS0_4arch9wavefront6targetE1EEEvT1_,@function
_ZN7rocprim17ROCPRIM_400000_NS6detail17trampoline_kernelINS0_14default_configENS1_27scan_by_key_config_selectorIiiEEZZNS1_16scan_by_key_implILNS1_25lookback_scan_determinismE0ELb0ES3_N6thrust23THRUST_200600_302600_NS6detail15normal_iteratorINS9_10device_ptrIiEEEESE_SE_iNS9_4plusIvEENS9_8equal_toIvEEiEE10hipError_tPvRmT2_T3_T4_T5_mT6_T7_P12ihipStream_tbENKUlT_T0_E_clISt17integral_constantIbLb0EESZ_EEDaSU_SV_EUlSU_E_NS1_11comp_targetILNS1_3genE2ELNS1_11target_archE906ELNS1_3gpuE6ELNS1_3repE0EEENS1_30default_config_static_selectorELNS0_4arch9wavefront6targetE1EEEvT1_: ; @_ZN7rocprim17ROCPRIM_400000_NS6detail17trampoline_kernelINS0_14default_configENS1_27scan_by_key_config_selectorIiiEEZZNS1_16scan_by_key_implILNS1_25lookback_scan_determinismE0ELb0ES3_N6thrust23THRUST_200600_302600_NS6detail15normal_iteratorINS9_10device_ptrIiEEEESE_SE_iNS9_4plusIvEENS9_8equal_toIvEEiEE10hipError_tPvRmT2_T3_T4_T5_mT6_T7_P12ihipStream_tbENKUlT_T0_E_clISt17integral_constantIbLb0EESZ_EEDaSU_SV_EUlSU_E_NS1_11comp_targetILNS1_3genE2ELNS1_11target_archE906ELNS1_3gpuE6ELNS1_3repE0EEENS1_30default_config_static_selectorELNS0_4arch9wavefront6targetE1EEEvT1_
; %bb.0:
	.section	.rodata,"a",@progbits
	.p2align	6, 0x0
	.amdhsa_kernel _ZN7rocprim17ROCPRIM_400000_NS6detail17trampoline_kernelINS0_14default_configENS1_27scan_by_key_config_selectorIiiEEZZNS1_16scan_by_key_implILNS1_25lookback_scan_determinismE0ELb0ES3_N6thrust23THRUST_200600_302600_NS6detail15normal_iteratorINS9_10device_ptrIiEEEESE_SE_iNS9_4plusIvEENS9_8equal_toIvEEiEE10hipError_tPvRmT2_T3_T4_T5_mT6_T7_P12ihipStream_tbENKUlT_T0_E_clISt17integral_constantIbLb0EESZ_EEDaSU_SV_EUlSU_E_NS1_11comp_targetILNS1_3genE2ELNS1_11target_archE906ELNS1_3gpuE6ELNS1_3repE0EEENS1_30default_config_static_selectorELNS0_4arch9wavefront6targetE1EEEvT1_
		.amdhsa_group_segment_fixed_size 0
		.amdhsa_private_segment_fixed_size 0
		.amdhsa_kernarg_size 112
		.amdhsa_user_sgpr_count 6
		.amdhsa_user_sgpr_private_segment_buffer 1
		.amdhsa_user_sgpr_dispatch_ptr 0
		.amdhsa_user_sgpr_queue_ptr 0
		.amdhsa_user_sgpr_kernarg_segment_ptr 1
		.amdhsa_user_sgpr_dispatch_id 0
		.amdhsa_user_sgpr_flat_scratch_init 0
		.amdhsa_user_sgpr_kernarg_preload_length 0
		.amdhsa_user_sgpr_kernarg_preload_offset 0
		.amdhsa_user_sgpr_private_segment_size 0
		.amdhsa_uses_dynamic_stack 0
		.amdhsa_system_sgpr_private_segment_wavefront_offset 0
		.amdhsa_system_sgpr_workgroup_id_x 1
		.amdhsa_system_sgpr_workgroup_id_y 0
		.amdhsa_system_sgpr_workgroup_id_z 0
		.amdhsa_system_sgpr_workgroup_info 0
		.amdhsa_system_vgpr_workitem_id 0
		.amdhsa_next_free_vgpr 1
		.amdhsa_next_free_sgpr 0
		.amdhsa_accum_offset 4
		.amdhsa_reserve_vcc 0
		.amdhsa_reserve_flat_scratch 0
		.amdhsa_float_round_mode_32 0
		.amdhsa_float_round_mode_16_64 0
		.amdhsa_float_denorm_mode_32 3
		.amdhsa_float_denorm_mode_16_64 3
		.amdhsa_dx10_clamp 1
		.amdhsa_ieee_mode 1
		.amdhsa_fp16_overflow 0
		.amdhsa_tg_split 0
		.amdhsa_exception_fp_ieee_invalid_op 0
		.amdhsa_exception_fp_denorm_src 0
		.amdhsa_exception_fp_ieee_div_zero 0
		.amdhsa_exception_fp_ieee_overflow 0
		.amdhsa_exception_fp_ieee_underflow 0
		.amdhsa_exception_fp_ieee_inexact 0
		.amdhsa_exception_int_div_zero 0
	.end_amdhsa_kernel
	.section	.text._ZN7rocprim17ROCPRIM_400000_NS6detail17trampoline_kernelINS0_14default_configENS1_27scan_by_key_config_selectorIiiEEZZNS1_16scan_by_key_implILNS1_25lookback_scan_determinismE0ELb0ES3_N6thrust23THRUST_200600_302600_NS6detail15normal_iteratorINS9_10device_ptrIiEEEESE_SE_iNS9_4plusIvEENS9_8equal_toIvEEiEE10hipError_tPvRmT2_T3_T4_T5_mT6_T7_P12ihipStream_tbENKUlT_T0_E_clISt17integral_constantIbLb0EESZ_EEDaSU_SV_EUlSU_E_NS1_11comp_targetILNS1_3genE2ELNS1_11target_archE906ELNS1_3gpuE6ELNS1_3repE0EEENS1_30default_config_static_selectorELNS0_4arch9wavefront6targetE1EEEvT1_,"axG",@progbits,_ZN7rocprim17ROCPRIM_400000_NS6detail17trampoline_kernelINS0_14default_configENS1_27scan_by_key_config_selectorIiiEEZZNS1_16scan_by_key_implILNS1_25lookback_scan_determinismE0ELb0ES3_N6thrust23THRUST_200600_302600_NS6detail15normal_iteratorINS9_10device_ptrIiEEEESE_SE_iNS9_4plusIvEENS9_8equal_toIvEEiEE10hipError_tPvRmT2_T3_T4_T5_mT6_T7_P12ihipStream_tbENKUlT_T0_E_clISt17integral_constantIbLb0EESZ_EEDaSU_SV_EUlSU_E_NS1_11comp_targetILNS1_3genE2ELNS1_11target_archE906ELNS1_3gpuE6ELNS1_3repE0EEENS1_30default_config_static_selectorELNS0_4arch9wavefront6targetE1EEEvT1_,comdat
.Lfunc_end8:
	.size	_ZN7rocprim17ROCPRIM_400000_NS6detail17trampoline_kernelINS0_14default_configENS1_27scan_by_key_config_selectorIiiEEZZNS1_16scan_by_key_implILNS1_25lookback_scan_determinismE0ELb0ES3_N6thrust23THRUST_200600_302600_NS6detail15normal_iteratorINS9_10device_ptrIiEEEESE_SE_iNS9_4plusIvEENS9_8equal_toIvEEiEE10hipError_tPvRmT2_T3_T4_T5_mT6_T7_P12ihipStream_tbENKUlT_T0_E_clISt17integral_constantIbLb0EESZ_EEDaSU_SV_EUlSU_E_NS1_11comp_targetILNS1_3genE2ELNS1_11target_archE906ELNS1_3gpuE6ELNS1_3repE0EEENS1_30default_config_static_selectorELNS0_4arch9wavefront6targetE1EEEvT1_, .Lfunc_end8-_ZN7rocprim17ROCPRIM_400000_NS6detail17trampoline_kernelINS0_14default_configENS1_27scan_by_key_config_selectorIiiEEZZNS1_16scan_by_key_implILNS1_25lookback_scan_determinismE0ELb0ES3_N6thrust23THRUST_200600_302600_NS6detail15normal_iteratorINS9_10device_ptrIiEEEESE_SE_iNS9_4plusIvEENS9_8equal_toIvEEiEE10hipError_tPvRmT2_T3_T4_T5_mT6_T7_P12ihipStream_tbENKUlT_T0_E_clISt17integral_constantIbLb0EESZ_EEDaSU_SV_EUlSU_E_NS1_11comp_targetILNS1_3genE2ELNS1_11target_archE906ELNS1_3gpuE6ELNS1_3repE0EEENS1_30default_config_static_selectorELNS0_4arch9wavefront6targetE1EEEvT1_
                                        ; -- End function
	.section	.AMDGPU.csdata,"",@progbits
; Kernel info:
; codeLenInByte = 0
; NumSgprs: 4
; NumVgprs: 0
; NumAgprs: 0
; TotalNumVgprs: 0
; ScratchSize: 0
; MemoryBound: 0
; FloatMode: 240
; IeeeMode: 1
; LDSByteSize: 0 bytes/workgroup (compile time only)
; SGPRBlocks: 0
; VGPRBlocks: 0
; NumSGPRsForWavesPerEU: 4
; NumVGPRsForWavesPerEU: 1
; AccumOffset: 4
; Occupancy: 8
; WaveLimiterHint : 0
; COMPUTE_PGM_RSRC2:SCRATCH_EN: 0
; COMPUTE_PGM_RSRC2:USER_SGPR: 6
; COMPUTE_PGM_RSRC2:TRAP_HANDLER: 0
; COMPUTE_PGM_RSRC2:TGID_X_EN: 1
; COMPUTE_PGM_RSRC2:TGID_Y_EN: 0
; COMPUTE_PGM_RSRC2:TGID_Z_EN: 0
; COMPUTE_PGM_RSRC2:TIDIG_COMP_CNT: 0
; COMPUTE_PGM_RSRC3_GFX90A:ACCUM_OFFSET: 0
; COMPUTE_PGM_RSRC3_GFX90A:TG_SPLIT: 0
	.section	.text._ZN7rocprim17ROCPRIM_400000_NS6detail17trampoline_kernelINS0_14default_configENS1_27scan_by_key_config_selectorIiiEEZZNS1_16scan_by_key_implILNS1_25lookback_scan_determinismE0ELb0ES3_N6thrust23THRUST_200600_302600_NS6detail15normal_iteratorINS9_10device_ptrIiEEEESE_SE_iNS9_4plusIvEENS9_8equal_toIvEEiEE10hipError_tPvRmT2_T3_T4_T5_mT6_T7_P12ihipStream_tbENKUlT_T0_E_clISt17integral_constantIbLb0EESZ_EEDaSU_SV_EUlSU_E_NS1_11comp_targetILNS1_3genE10ELNS1_11target_archE1200ELNS1_3gpuE4ELNS1_3repE0EEENS1_30default_config_static_selectorELNS0_4arch9wavefront6targetE1EEEvT1_,"axG",@progbits,_ZN7rocprim17ROCPRIM_400000_NS6detail17trampoline_kernelINS0_14default_configENS1_27scan_by_key_config_selectorIiiEEZZNS1_16scan_by_key_implILNS1_25lookback_scan_determinismE0ELb0ES3_N6thrust23THRUST_200600_302600_NS6detail15normal_iteratorINS9_10device_ptrIiEEEESE_SE_iNS9_4plusIvEENS9_8equal_toIvEEiEE10hipError_tPvRmT2_T3_T4_T5_mT6_T7_P12ihipStream_tbENKUlT_T0_E_clISt17integral_constantIbLb0EESZ_EEDaSU_SV_EUlSU_E_NS1_11comp_targetILNS1_3genE10ELNS1_11target_archE1200ELNS1_3gpuE4ELNS1_3repE0EEENS1_30default_config_static_selectorELNS0_4arch9wavefront6targetE1EEEvT1_,comdat
	.protected	_ZN7rocprim17ROCPRIM_400000_NS6detail17trampoline_kernelINS0_14default_configENS1_27scan_by_key_config_selectorIiiEEZZNS1_16scan_by_key_implILNS1_25lookback_scan_determinismE0ELb0ES3_N6thrust23THRUST_200600_302600_NS6detail15normal_iteratorINS9_10device_ptrIiEEEESE_SE_iNS9_4plusIvEENS9_8equal_toIvEEiEE10hipError_tPvRmT2_T3_T4_T5_mT6_T7_P12ihipStream_tbENKUlT_T0_E_clISt17integral_constantIbLb0EESZ_EEDaSU_SV_EUlSU_E_NS1_11comp_targetILNS1_3genE10ELNS1_11target_archE1200ELNS1_3gpuE4ELNS1_3repE0EEENS1_30default_config_static_selectorELNS0_4arch9wavefront6targetE1EEEvT1_ ; -- Begin function _ZN7rocprim17ROCPRIM_400000_NS6detail17trampoline_kernelINS0_14default_configENS1_27scan_by_key_config_selectorIiiEEZZNS1_16scan_by_key_implILNS1_25lookback_scan_determinismE0ELb0ES3_N6thrust23THRUST_200600_302600_NS6detail15normal_iteratorINS9_10device_ptrIiEEEESE_SE_iNS9_4plusIvEENS9_8equal_toIvEEiEE10hipError_tPvRmT2_T3_T4_T5_mT6_T7_P12ihipStream_tbENKUlT_T0_E_clISt17integral_constantIbLb0EESZ_EEDaSU_SV_EUlSU_E_NS1_11comp_targetILNS1_3genE10ELNS1_11target_archE1200ELNS1_3gpuE4ELNS1_3repE0EEENS1_30default_config_static_selectorELNS0_4arch9wavefront6targetE1EEEvT1_
	.globl	_ZN7rocprim17ROCPRIM_400000_NS6detail17trampoline_kernelINS0_14default_configENS1_27scan_by_key_config_selectorIiiEEZZNS1_16scan_by_key_implILNS1_25lookback_scan_determinismE0ELb0ES3_N6thrust23THRUST_200600_302600_NS6detail15normal_iteratorINS9_10device_ptrIiEEEESE_SE_iNS9_4plusIvEENS9_8equal_toIvEEiEE10hipError_tPvRmT2_T3_T4_T5_mT6_T7_P12ihipStream_tbENKUlT_T0_E_clISt17integral_constantIbLb0EESZ_EEDaSU_SV_EUlSU_E_NS1_11comp_targetILNS1_3genE10ELNS1_11target_archE1200ELNS1_3gpuE4ELNS1_3repE0EEENS1_30default_config_static_selectorELNS0_4arch9wavefront6targetE1EEEvT1_
	.p2align	8
	.type	_ZN7rocprim17ROCPRIM_400000_NS6detail17trampoline_kernelINS0_14default_configENS1_27scan_by_key_config_selectorIiiEEZZNS1_16scan_by_key_implILNS1_25lookback_scan_determinismE0ELb0ES3_N6thrust23THRUST_200600_302600_NS6detail15normal_iteratorINS9_10device_ptrIiEEEESE_SE_iNS9_4plusIvEENS9_8equal_toIvEEiEE10hipError_tPvRmT2_T3_T4_T5_mT6_T7_P12ihipStream_tbENKUlT_T0_E_clISt17integral_constantIbLb0EESZ_EEDaSU_SV_EUlSU_E_NS1_11comp_targetILNS1_3genE10ELNS1_11target_archE1200ELNS1_3gpuE4ELNS1_3repE0EEENS1_30default_config_static_selectorELNS0_4arch9wavefront6targetE1EEEvT1_,@function
_ZN7rocprim17ROCPRIM_400000_NS6detail17trampoline_kernelINS0_14default_configENS1_27scan_by_key_config_selectorIiiEEZZNS1_16scan_by_key_implILNS1_25lookback_scan_determinismE0ELb0ES3_N6thrust23THRUST_200600_302600_NS6detail15normal_iteratorINS9_10device_ptrIiEEEESE_SE_iNS9_4plusIvEENS9_8equal_toIvEEiEE10hipError_tPvRmT2_T3_T4_T5_mT6_T7_P12ihipStream_tbENKUlT_T0_E_clISt17integral_constantIbLb0EESZ_EEDaSU_SV_EUlSU_E_NS1_11comp_targetILNS1_3genE10ELNS1_11target_archE1200ELNS1_3gpuE4ELNS1_3repE0EEENS1_30default_config_static_selectorELNS0_4arch9wavefront6targetE1EEEvT1_: ; @_ZN7rocprim17ROCPRIM_400000_NS6detail17trampoline_kernelINS0_14default_configENS1_27scan_by_key_config_selectorIiiEEZZNS1_16scan_by_key_implILNS1_25lookback_scan_determinismE0ELb0ES3_N6thrust23THRUST_200600_302600_NS6detail15normal_iteratorINS9_10device_ptrIiEEEESE_SE_iNS9_4plusIvEENS9_8equal_toIvEEiEE10hipError_tPvRmT2_T3_T4_T5_mT6_T7_P12ihipStream_tbENKUlT_T0_E_clISt17integral_constantIbLb0EESZ_EEDaSU_SV_EUlSU_E_NS1_11comp_targetILNS1_3genE10ELNS1_11target_archE1200ELNS1_3gpuE4ELNS1_3repE0EEENS1_30default_config_static_selectorELNS0_4arch9wavefront6targetE1EEEvT1_
; %bb.0:
	.section	.rodata,"a",@progbits
	.p2align	6, 0x0
	.amdhsa_kernel _ZN7rocprim17ROCPRIM_400000_NS6detail17trampoline_kernelINS0_14default_configENS1_27scan_by_key_config_selectorIiiEEZZNS1_16scan_by_key_implILNS1_25lookback_scan_determinismE0ELb0ES3_N6thrust23THRUST_200600_302600_NS6detail15normal_iteratorINS9_10device_ptrIiEEEESE_SE_iNS9_4plusIvEENS9_8equal_toIvEEiEE10hipError_tPvRmT2_T3_T4_T5_mT6_T7_P12ihipStream_tbENKUlT_T0_E_clISt17integral_constantIbLb0EESZ_EEDaSU_SV_EUlSU_E_NS1_11comp_targetILNS1_3genE10ELNS1_11target_archE1200ELNS1_3gpuE4ELNS1_3repE0EEENS1_30default_config_static_selectorELNS0_4arch9wavefront6targetE1EEEvT1_
		.amdhsa_group_segment_fixed_size 0
		.amdhsa_private_segment_fixed_size 0
		.amdhsa_kernarg_size 112
		.amdhsa_user_sgpr_count 6
		.amdhsa_user_sgpr_private_segment_buffer 1
		.amdhsa_user_sgpr_dispatch_ptr 0
		.amdhsa_user_sgpr_queue_ptr 0
		.amdhsa_user_sgpr_kernarg_segment_ptr 1
		.amdhsa_user_sgpr_dispatch_id 0
		.amdhsa_user_sgpr_flat_scratch_init 0
		.amdhsa_user_sgpr_kernarg_preload_length 0
		.amdhsa_user_sgpr_kernarg_preload_offset 0
		.amdhsa_user_sgpr_private_segment_size 0
		.amdhsa_uses_dynamic_stack 0
		.amdhsa_system_sgpr_private_segment_wavefront_offset 0
		.amdhsa_system_sgpr_workgroup_id_x 1
		.amdhsa_system_sgpr_workgroup_id_y 0
		.amdhsa_system_sgpr_workgroup_id_z 0
		.amdhsa_system_sgpr_workgroup_info 0
		.amdhsa_system_vgpr_workitem_id 0
		.amdhsa_next_free_vgpr 1
		.amdhsa_next_free_sgpr 0
		.amdhsa_accum_offset 4
		.amdhsa_reserve_vcc 0
		.amdhsa_reserve_flat_scratch 0
		.amdhsa_float_round_mode_32 0
		.amdhsa_float_round_mode_16_64 0
		.amdhsa_float_denorm_mode_32 3
		.amdhsa_float_denorm_mode_16_64 3
		.amdhsa_dx10_clamp 1
		.amdhsa_ieee_mode 1
		.amdhsa_fp16_overflow 0
		.amdhsa_tg_split 0
		.amdhsa_exception_fp_ieee_invalid_op 0
		.amdhsa_exception_fp_denorm_src 0
		.amdhsa_exception_fp_ieee_div_zero 0
		.amdhsa_exception_fp_ieee_overflow 0
		.amdhsa_exception_fp_ieee_underflow 0
		.amdhsa_exception_fp_ieee_inexact 0
		.amdhsa_exception_int_div_zero 0
	.end_amdhsa_kernel
	.section	.text._ZN7rocprim17ROCPRIM_400000_NS6detail17trampoline_kernelINS0_14default_configENS1_27scan_by_key_config_selectorIiiEEZZNS1_16scan_by_key_implILNS1_25lookback_scan_determinismE0ELb0ES3_N6thrust23THRUST_200600_302600_NS6detail15normal_iteratorINS9_10device_ptrIiEEEESE_SE_iNS9_4plusIvEENS9_8equal_toIvEEiEE10hipError_tPvRmT2_T3_T4_T5_mT6_T7_P12ihipStream_tbENKUlT_T0_E_clISt17integral_constantIbLb0EESZ_EEDaSU_SV_EUlSU_E_NS1_11comp_targetILNS1_3genE10ELNS1_11target_archE1200ELNS1_3gpuE4ELNS1_3repE0EEENS1_30default_config_static_selectorELNS0_4arch9wavefront6targetE1EEEvT1_,"axG",@progbits,_ZN7rocprim17ROCPRIM_400000_NS6detail17trampoline_kernelINS0_14default_configENS1_27scan_by_key_config_selectorIiiEEZZNS1_16scan_by_key_implILNS1_25lookback_scan_determinismE0ELb0ES3_N6thrust23THRUST_200600_302600_NS6detail15normal_iteratorINS9_10device_ptrIiEEEESE_SE_iNS9_4plusIvEENS9_8equal_toIvEEiEE10hipError_tPvRmT2_T3_T4_T5_mT6_T7_P12ihipStream_tbENKUlT_T0_E_clISt17integral_constantIbLb0EESZ_EEDaSU_SV_EUlSU_E_NS1_11comp_targetILNS1_3genE10ELNS1_11target_archE1200ELNS1_3gpuE4ELNS1_3repE0EEENS1_30default_config_static_selectorELNS0_4arch9wavefront6targetE1EEEvT1_,comdat
.Lfunc_end9:
	.size	_ZN7rocprim17ROCPRIM_400000_NS6detail17trampoline_kernelINS0_14default_configENS1_27scan_by_key_config_selectorIiiEEZZNS1_16scan_by_key_implILNS1_25lookback_scan_determinismE0ELb0ES3_N6thrust23THRUST_200600_302600_NS6detail15normal_iteratorINS9_10device_ptrIiEEEESE_SE_iNS9_4plusIvEENS9_8equal_toIvEEiEE10hipError_tPvRmT2_T3_T4_T5_mT6_T7_P12ihipStream_tbENKUlT_T0_E_clISt17integral_constantIbLb0EESZ_EEDaSU_SV_EUlSU_E_NS1_11comp_targetILNS1_3genE10ELNS1_11target_archE1200ELNS1_3gpuE4ELNS1_3repE0EEENS1_30default_config_static_selectorELNS0_4arch9wavefront6targetE1EEEvT1_, .Lfunc_end9-_ZN7rocprim17ROCPRIM_400000_NS6detail17trampoline_kernelINS0_14default_configENS1_27scan_by_key_config_selectorIiiEEZZNS1_16scan_by_key_implILNS1_25lookback_scan_determinismE0ELb0ES3_N6thrust23THRUST_200600_302600_NS6detail15normal_iteratorINS9_10device_ptrIiEEEESE_SE_iNS9_4plusIvEENS9_8equal_toIvEEiEE10hipError_tPvRmT2_T3_T4_T5_mT6_T7_P12ihipStream_tbENKUlT_T0_E_clISt17integral_constantIbLb0EESZ_EEDaSU_SV_EUlSU_E_NS1_11comp_targetILNS1_3genE10ELNS1_11target_archE1200ELNS1_3gpuE4ELNS1_3repE0EEENS1_30default_config_static_selectorELNS0_4arch9wavefront6targetE1EEEvT1_
                                        ; -- End function
	.section	.AMDGPU.csdata,"",@progbits
; Kernel info:
; codeLenInByte = 0
; NumSgprs: 4
; NumVgprs: 0
; NumAgprs: 0
; TotalNumVgprs: 0
; ScratchSize: 0
; MemoryBound: 0
; FloatMode: 240
; IeeeMode: 1
; LDSByteSize: 0 bytes/workgroup (compile time only)
; SGPRBlocks: 0
; VGPRBlocks: 0
; NumSGPRsForWavesPerEU: 4
; NumVGPRsForWavesPerEU: 1
; AccumOffset: 4
; Occupancy: 8
; WaveLimiterHint : 0
; COMPUTE_PGM_RSRC2:SCRATCH_EN: 0
; COMPUTE_PGM_RSRC2:USER_SGPR: 6
; COMPUTE_PGM_RSRC2:TRAP_HANDLER: 0
; COMPUTE_PGM_RSRC2:TGID_X_EN: 1
; COMPUTE_PGM_RSRC2:TGID_Y_EN: 0
; COMPUTE_PGM_RSRC2:TGID_Z_EN: 0
; COMPUTE_PGM_RSRC2:TIDIG_COMP_CNT: 0
; COMPUTE_PGM_RSRC3_GFX90A:ACCUM_OFFSET: 0
; COMPUTE_PGM_RSRC3_GFX90A:TG_SPLIT: 0
	.section	.text._ZN7rocprim17ROCPRIM_400000_NS6detail17trampoline_kernelINS0_14default_configENS1_27scan_by_key_config_selectorIiiEEZZNS1_16scan_by_key_implILNS1_25lookback_scan_determinismE0ELb0ES3_N6thrust23THRUST_200600_302600_NS6detail15normal_iteratorINS9_10device_ptrIiEEEESE_SE_iNS9_4plusIvEENS9_8equal_toIvEEiEE10hipError_tPvRmT2_T3_T4_T5_mT6_T7_P12ihipStream_tbENKUlT_T0_E_clISt17integral_constantIbLb0EESZ_EEDaSU_SV_EUlSU_E_NS1_11comp_targetILNS1_3genE9ELNS1_11target_archE1100ELNS1_3gpuE3ELNS1_3repE0EEENS1_30default_config_static_selectorELNS0_4arch9wavefront6targetE1EEEvT1_,"axG",@progbits,_ZN7rocprim17ROCPRIM_400000_NS6detail17trampoline_kernelINS0_14default_configENS1_27scan_by_key_config_selectorIiiEEZZNS1_16scan_by_key_implILNS1_25lookback_scan_determinismE0ELb0ES3_N6thrust23THRUST_200600_302600_NS6detail15normal_iteratorINS9_10device_ptrIiEEEESE_SE_iNS9_4plusIvEENS9_8equal_toIvEEiEE10hipError_tPvRmT2_T3_T4_T5_mT6_T7_P12ihipStream_tbENKUlT_T0_E_clISt17integral_constantIbLb0EESZ_EEDaSU_SV_EUlSU_E_NS1_11comp_targetILNS1_3genE9ELNS1_11target_archE1100ELNS1_3gpuE3ELNS1_3repE0EEENS1_30default_config_static_selectorELNS0_4arch9wavefront6targetE1EEEvT1_,comdat
	.protected	_ZN7rocprim17ROCPRIM_400000_NS6detail17trampoline_kernelINS0_14default_configENS1_27scan_by_key_config_selectorIiiEEZZNS1_16scan_by_key_implILNS1_25lookback_scan_determinismE0ELb0ES3_N6thrust23THRUST_200600_302600_NS6detail15normal_iteratorINS9_10device_ptrIiEEEESE_SE_iNS9_4plusIvEENS9_8equal_toIvEEiEE10hipError_tPvRmT2_T3_T4_T5_mT6_T7_P12ihipStream_tbENKUlT_T0_E_clISt17integral_constantIbLb0EESZ_EEDaSU_SV_EUlSU_E_NS1_11comp_targetILNS1_3genE9ELNS1_11target_archE1100ELNS1_3gpuE3ELNS1_3repE0EEENS1_30default_config_static_selectorELNS0_4arch9wavefront6targetE1EEEvT1_ ; -- Begin function _ZN7rocprim17ROCPRIM_400000_NS6detail17trampoline_kernelINS0_14default_configENS1_27scan_by_key_config_selectorIiiEEZZNS1_16scan_by_key_implILNS1_25lookback_scan_determinismE0ELb0ES3_N6thrust23THRUST_200600_302600_NS6detail15normal_iteratorINS9_10device_ptrIiEEEESE_SE_iNS9_4plusIvEENS9_8equal_toIvEEiEE10hipError_tPvRmT2_T3_T4_T5_mT6_T7_P12ihipStream_tbENKUlT_T0_E_clISt17integral_constantIbLb0EESZ_EEDaSU_SV_EUlSU_E_NS1_11comp_targetILNS1_3genE9ELNS1_11target_archE1100ELNS1_3gpuE3ELNS1_3repE0EEENS1_30default_config_static_selectorELNS0_4arch9wavefront6targetE1EEEvT1_
	.globl	_ZN7rocprim17ROCPRIM_400000_NS6detail17trampoline_kernelINS0_14default_configENS1_27scan_by_key_config_selectorIiiEEZZNS1_16scan_by_key_implILNS1_25lookback_scan_determinismE0ELb0ES3_N6thrust23THRUST_200600_302600_NS6detail15normal_iteratorINS9_10device_ptrIiEEEESE_SE_iNS9_4plusIvEENS9_8equal_toIvEEiEE10hipError_tPvRmT2_T3_T4_T5_mT6_T7_P12ihipStream_tbENKUlT_T0_E_clISt17integral_constantIbLb0EESZ_EEDaSU_SV_EUlSU_E_NS1_11comp_targetILNS1_3genE9ELNS1_11target_archE1100ELNS1_3gpuE3ELNS1_3repE0EEENS1_30default_config_static_selectorELNS0_4arch9wavefront6targetE1EEEvT1_
	.p2align	8
	.type	_ZN7rocprim17ROCPRIM_400000_NS6detail17trampoline_kernelINS0_14default_configENS1_27scan_by_key_config_selectorIiiEEZZNS1_16scan_by_key_implILNS1_25lookback_scan_determinismE0ELb0ES3_N6thrust23THRUST_200600_302600_NS6detail15normal_iteratorINS9_10device_ptrIiEEEESE_SE_iNS9_4plusIvEENS9_8equal_toIvEEiEE10hipError_tPvRmT2_T3_T4_T5_mT6_T7_P12ihipStream_tbENKUlT_T0_E_clISt17integral_constantIbLb0EESZ_EEDaSU_SV_EUlSU_E_NS1_11comp_targetILNS1_3genE9ELNS1_11target_archE1100ELNS1_3gpuE3ELNS1_3repE0EEENS1_30default_config_static_selectorELNS0_4arch9wavefront6targetE1EEEvT1_,@function
_ZN7rocprim17ROCPRIM_400000_NS6detail17trampoline_kernelINS0_14default_configENS1_27scan_by_key_config_selectorIiiEEZZNS1_16scan_by_key_implILNS1_25lookback_scan_determinismE0ELb0ES3_N6thrust23THRUST_200600_302600_NS6detail15normal_iteratorINS9_10device_ptrIiEEEESE_SE_iNS9_4plusIvEENS9_8equal_toIvEEiEE10hipError_tPvRmT2_T3_T4_T5_mT6_T7_P12ihipStream_tbENKUlT_T0_E_clISt17integral_constantIbLb0EESZ_EEDaSU_SV_EUlSU_E_NS1_11comp_targetILNS1_3genE9ELNS1_11target_archE1100ELNS1_3gpuE3ELNS1_3repE0EEENS1_30default_config_static_selectorELNS0_4arch9wavefront6targetE1EEEvT1_: ; @_ZN7rocprim17ROCPRIM_400000_NS6detail17trampoline_kernelINS0_14default_configENS1_27scan_by_key_config_selectorIiiEEZZNS1_16scan_by_key_implILNS1_25lookback_scan_determinismE0ELb0ES3_N6thrust23THRUST_200600_302600_NS6detail15normal_iteratorINS9_10device_ptrIiEEEESE_SE_iNS9_4plusIvEENS9_8equal_toIvEEiEE10hipError_tPvRmT2_T3_T4_T5_mT6_T7_P12ihipStream_tbENKUlT_T0_E_clISt17integral_constantIbLb0EESZ_EEDaSU_SV_EUlSU_E_NS1_11comp_targetILNS1_3genE9ELNS1_11target_archE1100ELNS1_3gpuE3ELNS1_3repE0EEENS1_30default_config_static_selectorELNS0_4arch9wavefront6targetE1EEEvT1_
; %bb.0:
	.section	.rodata,"a",@progbits
	.p2align	6, 0x0
	.amdhsa_kernel _ZN7rocprim17ROCPRIM_400000_NS6detail17trampoline_kernelINS0_14default_configENS1_27scan_by_key_config_selectorIiiEEZZNS1_16scan_by_key_implILNS1_25lookback_scan_determinismE0ELb0ES3_N6thrust23THRUST_200600_302600_NS6detail15normal_iteratorINS9_10device_ptrIiEEEESE_SE_iNS9_4plusIvEENS9_8equal_toIvEEiEE10hipError_tPvRmT2_T3_T4_T5_mT6_T7_P12ihipStream_tbENKUlT_T0_E_clISt17integral_constantIbLb0EESZ_EEDaSU_SV_EUlSU_E_NS1_11comp_targetILNS1_3genE9ELNS1_11target_archE1100ELNS1_3gpuE3ELNS1_3repE0EEENS1_30default_config_static_selectorELNS0_4arch9wavefront6targetE1EEEvT1_
		.amdhsa_group_segment_fixed_size 0
		.amdhsa_private_segment_fixed_size 0
		.amdhsa_kernarg_size 112
		.amdhsa_user_sgpr_count 6
		.amdhsa_user_sgpr_private_segment_buffer 1
		.amdhsa_user_sgpr_dispatch_ptr 0
		.amdhsa_user_sgpr_queue_ptr 0
		.amdhsa_user_sgpr_kernarg_segment_ptr 1
		.amdhsa_user_sgpr_dispatch_id 0
		.amdhsa_user_sgpr_flat_scratch_init 0
		.amdhsa_user_sgpr_kernarg_preload_length 0
		.amdhsa_user_sgpr_kernarg_preload_offset 0
		.amdhsa_user_sgpr_private_segment_size 0
		.amdhsa_uses_dynamic_stack 0
		.amdhsa_system_sgpr_private_segment_wavefront_offset 0
		.amdhsa_system_sgpr_workgroup_id_x 1
		.amdhsa_system_sgpr_workgroup_id_y 0
		.amdhsa_system_sgpr_workgroup_id_z 0
		.amdhsa_system_sgpr_workgroup_info 0
		.amdhsa_system_vgpr_workitem_id 0
		.amdhsa_next_free_vgpr 1
		.amdhsa_next_free_sgpr 0
		.amdhsa_accum_offset 4
		.amdhsa_reserve_vcc 0
		.amdhsa_reserve_flat_scratch 0
		.amdhsa_float_round_mode_32 0
		.amdhsa_float_round_mode_16_64 0
		.amdhsa_float_denorm_mode_32 3
		.amdhsa_float_denorm_mode_16_64 3
		.amdhsa_dx10_clamp 1
		.amdhsa_ieee_mode 1
		.amdhsa_fp16_overflow 0
		.amdhsa_tg_split 0
		.amdhsa_exception_fp_ieee_invalid_op 0
		.amdhsa_exception_fp_denorm_src 0
		.amdhsa_exception_fp_ieee_div_zero 0
		.amdhsa_exception_fp_ieee_overflow 0
		.amdhsa_exception_fp_ieee_underflow 0
		.amdhsa_exception_fp_ieee_inexact 0
		.amdhsa_exception_int_div_zero 0
	.end_amdhsa_kernel
	.section	.text._ZN7rocprim17ROCPRIM_400000_NS6detail17trampoline_kernelINS0_14default_configENS1_27scan_by_key_config_selectorIiiEEZZNS1_16scan_by_key_implILNS1_25lookback_scan_determinismE0ELb0ES3_N6thrust23THRUST_200600_302600_NS6detail15normal_iteratorINS9_10device_ptrIiEEEESE_SE_iNS9_4plusIvEENS9_8equal_toIvEEiEE10hipError_tPvRmT2_T3_T4_T5_mT6_T7_P12ihipStream_tbENKUlT_T0_E_clISt17integral_constantIbLb0EESZ_EEDaSU_SV_EUlSU_E_NS1_11comp_targetILNS1_3genE9ELNS1_11target_archE1100ELNS1_3gpuE3ELNS1_3repE0EEENS1_30default_config_static_selectorELNS0_4arch9wavefront6targetE1EEEvT1_,"axG",@progbits,_ZN7rocprim17ROCPRIM_400000_NS6detail17trampoline_kernelINS0_14default_configENS1_27scan_by_key_config_selectorIiiEEZZNS1_16scan_by_key_implILNS1_25lookback_scan_determinismE0ELb0ES3_N6thrust23THRUST_200600_302600_NS6detail15normal_iteratorINS9_10device_ptrIiEEEESE_SE_iNS9_4plusIvEENS9_8equal_toIvEEiEE10hipError_tPvRmT2_T3_T4_T5_mT6_T7_P12ihipStream_tbENKUlT_T0_E_clISt17integral_constantIbLb0EESZ_EEDaSU_SV_EUlSU_E_NS1_11comp_targetILNS1_3genE9ELNS1_11target_archE1100ELNS1_3gpuE3ELNS1_3repE0EEENS1_30default_config_static_selectorELNS0_4arch9wavefront6targetE1EEEvT1_,comdat
.Lfunc_end10:
	.size	_ZN7rocprim17ROCPRIM_400000_NS6detail17trampoline_kernelINS0_14default_configENS1_27scan_by_key_config_selectorIiiEEZZNS1_16scan_by_key_implILNS1_25lookback_scan_determinismE0ELb0ES3_N6thrust23THRUST_200600_302600_NS6detail15normal_iteratorINS9_10device_ptrIiEEEESE_SE_iNS9_4plusIvEENS9_8equal_toIvEEiEE10hipError_tPvRmT2_T3_T4_T5_mT6_T7_P12ihipStream_tbENKUlT_T0_E_clISt17integral_constantIbLb0EESZ_EEDaSU_SV_EUlSU_E_NS1_11comp_targetILNS1_3genE9ELNS1_11target_archE1100ELNS1_3gpuE3ELNS1_3repE0EEENS1_30default_config_static_selectorELNS0_4arch9wavefront6targetE1EEEvT1_, .Lfunc_end10-_ZN7rocprim17ROCPRIM_400000_NS6detail17trampoline_kernelINS0_14default_configENS1_27scan_by_key_config_selectorIiiEEZZNS1_16scan_by_key_implILNS1_25lookback_scan_determinismE0ELb0ES3_N6thrust23THRUST_200600_302600_NS6detail15normal_iteratorINS9_10device_ptrIiEEEESE_SE_iNS9_4plusIvEENS9_8equal_toIvEEiEE10hipError_tPvRmT2_T3_T4_T5_mT6_T7_P12ihipStream_tbENKUlT_T0_E_clISt17integral_constantIbLb0EESZ_EEDaSU_SV_EUlSU_E_NS1_11comp_targetILNS1_3genE9ELNS1_11target_archE1100ELNS1_3gpuE3ELNS1_3repE0EEENS1_30default_config_static_selectorELNS0_4arch9wavefront6targetE1EEEvT1_
                                        ; -- End function
	.section	.AMDGPU.csdata,"",@progbits
; Kernel info:
; codeLenInByte = 0
; NumSgprs: 4
; NumVgprs: 0
; NumAgprs: 0
; TotalNumVgprs: 0
; ScratchSize: 0
; MemoryBound: 0
; FloatMode: 240
; IeeeMode: 1
; LDSByteSize: 0 bytes/workgroup (compile time only)
; SGPRBlocks: 0
; VGPRBlocks: 0
; NumSGPRsForWavesPerEU: 4
; NumVGPRsForWavesPerEU: 1
; AccumOffset: 4
; Occupancy: 8
; WaveLimiterHint : 0
; COMPUTE_PGM_RSRC2:SCRATCH_EN: 0
; COMPUTE_PGM_RSRC2:USER_SGPR: 6
; COMPUTE_PGM_RSRC2:TRAP_HANDLER: 0
; COMPUTE_PGM_RSRC2:TGID_X_EN: 1
; COMPUTE_PGM_RSRC2:TGID_Y_EN: 0
; COMPUTE_PGM_RSRC2:TGID_Z_EN: 0
; COMPUTE_PGM_RSRC2:TIDIG_COMP_CNT: 0
; COMPUTE_PGM_RSRC3_GFX90A:ACCUM_OFFSET: 0
; COMPUTE_PGM_RSRC3_GFX90A:TG_SPLIT: 0
	.section	.text._ZN7rocprim17ROCPRIM_400000_NS6detail17trampoline_kernelINS0_14default_configENS1_27scan_by_key_config_selectorIiiEEZZNS1_16scan_by_key_implILNS1_25lookback_scan_determinismE0ELb0ES3_N6thrust23THRUST_200600_302600_NS6detail15normal_iteratorINS9_10device_ptrIiEEEESE_SE_iNS9_4plusIvEENS9_8equal_toIvEEiEE10hipError_tPvRmT2_T3_T4_T5_mT6_T7_P12ihipStream_tbENKUlT_T0_E_clISt17integral_constantIbLb0EESZ_EEDaSU_SV_EUlSU_E_NS1_11comp_targetILNS1_3genE8ELNS1_11target_archE1030ELNS1_3gpuE2ELNS1_3repE0EEENS1_30default_config_static_selectorELNS0_4arch9wavefront6targetE1EEEvT1_,"axG",@progbits,_ZN7rocprim17ROCPRIM_400000_NS6detail17trampoline_kernelINS0_14default_configENS1_27scan_by_key_config_selectorIiiEEZZNS1_16scan_by_key_implILNS1_25lookback_scan_determinismE0ELb0ES3_N6thrust23THRUST_200600_302600_NS6detail15normal_iteratorINS9_10device_ptrIiEEEESE_SE_iNS9_4plusIvEENS9_8equal_toIvEEiEE10hipError_tPvRmT2_T3_T4_T5_mT6_T7_P12ihipStream_tbENKUlT_T0_E_clISt17integral_constantIbLb0EESZ_EEDaSU_SV_EUlSU_E_NS1_11comp_targetILNS1_3genE8ELNS1_11target_archE1030ELNS1_3gpuE2ELNS1_3repE0EEENS1_30default_config_static_selectorELNS0_4arch9wavefront6targetE1EEEvT1_,comdat
	.protected	_ZN7rocprim17ROCPRIM_400000_NS6detail17trampoline_kernelINS0_14default_configENS1_27scan_by_key_config_selectorIiiEEZZNS1_16scan_by_key_implILNS1_25lookback_scan_determinismE0ELb0ES3_N6thrust23THRUST_200600_302600_NS6detail15normal_iteratorINS9_10device_ptrIiEEEESE_SE_iNS9_4plusIvEENS9_8equal_toIvEEiEE10hipError_tPvRmT2_T3_T4_T5_mT6_T7_P12ihipStream_tbENKUlT_T0_E_clISt17integral_constantIbLb0EESZ_EEDaSU_SV_EUlSU_E_NS1_11comp_targetILNS1_3genE8ELNS1_11target_archE1030ELNS1_3gpuE2ELNS1_3repE0EEENS1_30default_config_static_selectorELNS0_4arch9wavefront6targetE1EEEvT1_ ; -- Begin function _ZN7rocprim17ROCPRIM_400000_NS6detail17trampoline_kernelINS0_14default_configENS1_27scan_by_key_config_selectorIiiEEZZNS1_16scan_by_key_implILNS1_25lookback_scan_determinismE0ELb0ES3_N6thrust23THRUST_200600_302600_NS6detail15normal_iteratorINS9_10device_ptrIiEEEESE_SE_iNS9_4plusIvEENS9_8equal_toIvEEiEE10hipError_tPvRmT2_T3_T4_T5_mT6_T7_P12ihipStream_tbENKUlT_T0_E_clISt17integral_constantIbLb0EESZ_EEDaSU_SV_EUlSU_E_NS1_11comp_targetILNS1_3genE8ELNS1_11target_archE1030ELNS1_3gpuE2ELNS1_3repE0EEENS1_30default_config_static_selectorELNS0_4arch9wavefront6targetE1EEEvT1_
	.globl	_ZN7rocprim17ROCPRIM_400000_NS6detail17trampoline_kernelINS0_14default_configENS1_27scan_by_key_config_selectorIiiEEZZNS1_16scan_by_key_implILNS1_25lookback_scan_determinismE0ELb0ES3_N6thrust23THRUST_200600_302600_NS6detail15normal_iteratorINS9_10device_ptrIiEEEESE_SE_iNS9_4plusIvEENS9_8equal_toIvEEiEE10hipError_tPvRmT2_T3_T4_T5_mT6_T7_P12ihipStream_tbENKUlT_T0_E_clISt17integral_constantIbLb0EESZ_EEDaSU_SV_EUlSU_E_NS1_11comp_targetILNS1_3genE8ELNS1_11target_archE1030ELNS1_3gpuE2ELNS1_3repE0EEENS1_30default_config_static_selectorELNS0_4arch9wavefront6targetE1EEEvT1_
	.p2align	8
	.type	_ZN7rocprim17ROCPRIM_400000_NS6detail17trampoline_kernelINS0_14default_configENS1_27scan_by_key_config_selectorIiiEEZZNS1_16scan_by_key_implILNS1_25lookback_scan_determinismE0ELb0ES3_N6thrust23THRUST_200600_302600_NS6detail15normal_iteratorINS9_10device_ptrIiEEEESE_SE_iNS9_4plusIvEENS9_8equal_toIvEEiEE10hipError_tPvRmT2_T3_T4_T5_mT6_T7_P12ihipStream_tbENKUlT_T0_E_clISt17integral_constantIbLb0EESZ_EEDaSU_SV_EUlSU_E_NS1_11comp_targetILNS1_3genE8ELNS1_11target_archE1030ELNS1_3gpuE2ELNS1_3repE0EEENS1_30default_config_static_selectorELNS0_4arch9wavefront6targetE1EEEvT1_,@function
_ZN7rocprim17ROCPRIM_400000_NS6detail17trampoline_kernelINS0_14default_configENS1_27scan_by_key_config_selectorIiiEEZZNS1_16scan_by_key_implILNS1_25lookback_scan_determinismE0ELb0ES3_N6thrust23THRUST_200600_302600_NS6detail15normal_iteratorINS9_10device_ptrIiEEEESE_SE_iNS9_4plusIvEENS9_8equal_toIvEEiEE10hipError_tPvRmT2_T3_T4_T5_mT6_T7_P12ihipStream_tbENKUlT_T0_E_clISt17integral_constantIbLb0EESZ_EEDaSU_SV_EUlSU_E_NS1_11comp_targetILNS1_3genE8ELNS1_11target_archE1030ELNS1_3gpuE2ELNS1_3repE0EEENS1_30default_config_static_selectorELNS0_4arch9wavefront6targetE1EEEvT1_: ; @_ZN7rocprim17ROCPRIM_400000_NS6detail17trampoline_kernelINS0_14default_configENS1_27scan_by_key_config_selectorIiiEEZZNS1_16scan_by_key_implILNS1_25lookback_scan_determinismE0ELb0ES3_N6thrust23THRUST_200600_302600_NS6detail15normal_iteratorINS9_10device_ptrIiEEEESE_SE_iNS9_4plusIvEENS9_8equal_toIvEEiEE10hipError_tPvRmT2_T3_T4_T5_mT6_T7_P12ihipStream_tbENKUlT_T0_E_clISt17integral_constantIbLb0EESZ_EEDaSU_SV_EUlSU_E_NS1_11comp_targetILNS1_3genE8ELNS1_11target_archE1030ELNS1_3gpuE2ELNS1_3repE0EEENS1_30default_config_static_selectorELNS0_4arch9wavefront6targetE1EEEvT1_
; %bb.0:
	.section	.rodata,"a",@progbits
	.p2align	6, 0x0
	.amdhsa_kernel _ZN7rocprim17ROCPRIM_400000_NS6detail17trampoline_kernelINS0_14default_configENS1_27scan_by_key_config_selectorIiiEEZZNS1_16scan_by_key_implILNS1_25lookback_scan_determinismE0ELb0ES3_N6thrust23THRUST_200600_302600_NS6detail15normal_iteratorINS9_10device_ptrIiEEEESE_SE_iNS9_4plusIvEENS9_8equal_toIvEEiEE10hipError_tPvRmT2_T3_T4_T5_mT6_T7_P12ihipStream_tbENKUlT_T0_E_clISt17integral_constantIbLb0EESZ_EEDaSU_SV_EUlSU_E_NS1_11comp_targetILNS1_3genE8ELNS1_11target_archE1030ELNS1_3gpuE2ELNS1_3repE0EEENS1_30default_config_static_selectorELNS0_4arch9wavefront6targetE1EEEvT1_
		.amdhsa_group_segment_fixed_size 0
		.amdhsa_private_segment_fixed_size 0
		.amdhsa_kernarg_size 112
		.amdhsa_user_sgpr_count 6
		.amdhsa_user_sgpr_private_segment_buffer 1
		.amdhsa_user_sgpr_dispatch_ptr 0
		.amdhsa_user_sgpr_queue_ptr 0
		.amdhsa_user_sgpr_kernarg_segment_ptr 1
		.amdhsa_user_sgpr_dispatch_id 0
		.amdhsa_user_sgpr_flat_scratch_init 0
		.amdhsa_user_sgpr_kernarg_preload_length 0
		.amdhsa_user_sgpr_kernarg_preload_offset 0
		.amdhsa_user_sgpr_private_segment_size 0
		.amdhsa_uses_dynamic_stack 0
		.amdhsa_system_sgpr_private_segment_wavefront_offset 0
		.amdhsa_system_sgpr_workgroup_id_x 1
		.amdhsa_system_sgpr_workgroup_id_y 0
		.amdhsa_system_sgpr_workgroup_id_z 0
		.amdhsa_system_sgpr_workgroup_info 0
		.amdhsa_system_vgpr_workitem_id 0
		.amdhsa_next_free_vgpr 1
		.amdhsa_next_free_sgpr 0
		.amdhsa_accum_offset 4
		.amdhsa_reserve_vcc 0
		.amdhsa_reserve_flat_scratch 0
		.amdhsa_float_round_mode_32 0
		.amdhsa_float_round_mode_16_64 0
		.amdhsa_float_denorm_mode_32 3
		.amdhsa_float_denorm_mode_16_64 3
		.amdhsa_dx10_clamp 1
		.amdhsa_ieee_mode 1
		.amdhsa_fp16_overflow 0
		.amdhsa_tg_split 0
		.amdhsa_exception_fp_ieee_invalid_op 0
		.amdhsa_exception_fp_denorm_src 0
		.amdhsa_exception_fp_ieee_div_zero 0
		.amdhsa_exception_fp_ieee_overflow 0
		.amdhsa_exception_fp_ieee_underflow 0
		.amdhsa_exception_fp_ieee_inexact 0
		.amdhsa_exception_int_div_zero 0
	.end_amdhsa_kernel
	.section	.text._ZN7rocprim17ROCPRIM_400000_NS6detail17trampoline_kernelINS0_14default_configENS1_27scan_by_key_config_selectorIiiEEZZNS1_16scan_by_key_implILNS1_25lookback_scan_determinismE0ELb0ES3_N6thrust23THRUST_200600_302600_NS6detail15normal_iteratorINS9_10device_ptrIiEEEESE_SE_iNS9_4plusIvEENS9_8equal_toIvEEiEE10hipError_tPvRmT2_T3_T4_T5_mT6_T7_P12ihipStream_tbENKUlT_T0_E_clISt17integral_constantIbLb0EESZ_EEDaSU_SV_EUlSU_E_NS1_11comp_targetILNS1_3genE8ELNS1_11target_archE1030ELNS1_3gpuE2ELNS1_3repE0EEENS1_30default_config_static_selectorELNS0_4arch9wavefront6targetE1EEEvT1_,"axG",@progbits,_ZN7rocprim17ROCPRIM_400000_NS6detail17trampoline_kernelINS0_14default_configENS1_27scan_by_key_config_selectorIiiEEZZNS1_16scan_by_key_implILNS1_25lookback_scan_determinismE0ELb0ES3_N6thrust23THRUST_200600_302600_NS6detail15normal_iteratorINS9_10device_ptrIiEEEESE_SE_iNS9_4plusIvEENS9_8equal_toIvEEiEE10hipError_tPvRmT2_T3_T4_T5_mT6_T7_P12ihipStream_tbENKUlT_T0_E_clISt17integral_constantIbLb0EESZ_EEDaSU_SV_EUlSU_E_NS1_11comp_targetILNS1_3genE8ELNS1_11target_archE1030ELNS1_3gpuE2ELNS1_3repE0EEENS1_30default_config_static_selectorELNS0_4arch9wavefront6targetE1EEEvT1_,comdat
.Lfunc_end11:
	.size	_ZN7rocprim17ROCPRIM_400000_NS6detail17trampoline_kernelINS0_14default_configENS1_27scan_by_key_config_selectorIiiEEZZNS1_16scan_by_key_implILNS1_25lookback_scan_determinismE0ELb0ES3_N6thrust23THRUST_200600_302600_NS6detail15normal_iteratorINS9_10device_ptrIiEEEESE_SE_iNS9_4plusIvEENS9_8equal_toIvEEiEE10hipError_tPvRmT2_T3_T4_T5_mT6_T7_P12ihipStream_tbENKUlT_T0_E_clISt17integral_constantIbLb0EESZ_EEDaSU_SV_EUlSU_E_NS1_11comp_targetILNS1_3genE8ELNS1_11target_archE1030ELNS1_3gpuE2ELNS1_3repE0EEENS1_30default_config_static_selectorELNS0_4arch9wavefront6targetE1EEEvT1_, .Lfunc_end11-_ZN7rocprim17ROCPRIM_400000_NS6detail17trampoline_kernelINS0_14default_configENS1_27scan_by_key_config_selectorIiiEEZZNS1_16scan_by_key_implILNS1_25lookback_scan_determinismE0ELb0ES3_N6thrust23THRUST_200600_302600_NS6detail15normal_iteratorINS9_10device_ptrIiEEEESE_SE_iNS9_4plusIvEENS9_8equal_toIvEEiEE10hipError_tPvRmT2_T3_T4_T5_mT6_T7_P12ihipStream_tbENKUlT_T0_E_clISt17integral_constantIbLb0EESZ_EEDaSU_SV_EUlSU_E_NS1_11comp_targetILNS1_3genE8ELNS1_11target_archE1030ELNS1_3gpuE2ELNS1_3repE0EEENS1_30default_config_static_selectorELNS0_4arch9wavefront6targetE1EEEvT1_
                                        ; -- End function
	.section	.AMDGPU.csdata,"",@progbits
; Kernel info:
; codeLenInByte = 0
; NumSgprs: 4
; NumVgprs: 0
; NumAgprs: 0
; TotalNumVgprs: 0
; ScratchSize: 0
; MemoryBound: 0
; FloatMode: 240
; IeeeMode: 1
; LDSByteSize: 0 bytes/workgroup (compile time only)
; SGPRBlocks: 0
; VGPRBlocks: 0
; NumSGPRsForWavesPerEU: 4
; NumVGPRsForWavesPerEU: 1
; AccumOffset: 4
; Occupancy: 8
; WaveLimiterHint : 0
; COMPUTE_PGM_RSRC2:SCRATCH_EN: 0
; COMPUTE_PGM_RSRC2:USER_SGPR: 6
; COMPUTE_PGM_RSRC2:TRAP_HANDLER: 0
; COMPUTE_PGM_RSRC2:TGID_X_EN: 1
; COMPUTE_PGM_RSRC2:TGID_Y_EN: 0
; COMPUTE_PGM_RSRC2:TGID_Z_EN: 0
; COMPUTE_PGM_RSRC2:TIDIG_COMP_CNT: 0
; COMPUTE_PGM_RSRC3_GFX90A:ACCUM_OFFSET: 0
; COMPUTE_PGM_RSRC3_GFX90A:TG_SPLIT: 0
	.section	.text._ZN7rocprim17ROCPRIM_400000_NS6detail30init_device_scan_by_key_kernelINS1_19lookback_scan_stateINS0_5tupleIJibEEELb1ELb1EEEN6thrust23THRUST_200600_302600_NS6detail15normal_iteratorINS8_10device_ptrIiEEEEjNS1_16block_id_wrapperIjLb1EEEEEvT_jjPNSG_10value_typeET0_PNSt15iterator_traitsISJ_E10value_typeEmT1_T2_,"axG",@progbits,_ZN7rocprim17ROCPRIM_400000_NS6detail30init_device_scan_by_key_kernelINS1_19lookback_scan_stateINS0_5tupleIJibEEELb1ELb1EEEN6thrust23THRUST_200600_302600_NS6detail15normal_iteratorINS8_10device_ptrIiEEEEjNS1_16block_id_wrapperIjLb1EEEEEvT_jjPNSG_10value_typeET0_PNSt15iterator_traitsISJ_E10value_typeEmT1_T2_,comdat
	.protected	_ZN7rocprim17ROCPRIM_400000_NS6detail30init_device_scan_by_key_kernelINS1_19lookback_scan_stateINS0_5tupleIJibEEELb1ELb1EEEN6thrust23THRUST_200600_302600_NS6detail15normal_iteratorINS8_10device_ptrIiEEEEjNS1_16block_id_wrapperIjLb1EEEEEvT_jjPNSG_10value_typeET0_PNSt15iterator_traitsISJ_E10value_typeEmT1_T2_ ; -- Begin function _ZN7rocprim17ROCPRIM_400000_NS6detail30init_device_scan_by_key_kernelINS1_19lookback_scan_stateINS0_5tupleIJibEEELb1ELb1EEEN6thrust23THRUST_200600_302600_NS6detail15normal_iteratorINS8_10device_ptrIiEEEEjNS1_16block_id_wrapperIjLb1EEEEEvT_jjPNSG_10value_typeET0_PNSt15iterator_traitsISJ_E10value_typeEmT1_T2_
	.globl	_ZN7rocprim17ROCPRIM_400000_NS6detail30init_device_scan_by_key_kernelINS1_19lookback_scan_stateINS0_5tupleIJibEEELb1ELb1EEEN6thrust23THRUST_200600_302600_NS6detail15normal_iteratorINS8_10device_ptrIiEEEEjNS1_16block_id_wrapperIjLb1EEEEEvT_jjPNSG_10value_typeET0_PNSt15iterator_traitsISJ_E10value_typeEmT1_T2_
	.p2align	8
	.type	_ZN7rocprim17ROCPRIM_400000_NS6detail30init_device_scan_by_key_kernelINS1_19lookback_scan_stateINS0_5tupleIJibEEELb1ELb1EEEN6thrust23THRUST_200600_302600_NS6detail15normal_iteratorINS8_10device_ptrIiEEEEjNS1_16block_id_wrapperIjLb1EEEEEvT_jjPNSG_10value_typeET0_PNSt15iterator_traitsISJ_E10value_typeEmT1_T2_,@function
_ZN7rocprim17ROCPRIM_400000_NS6detail30init_device_scan_by_key_kernelINS1_19lookback_scan_stateINS0_5tupleIJibEEELb1ELb1EEEN6thrust23THRUST_200600_302600_NS6detail15normal_iteratorINS8_10device_ptrIiEEEEjNS1_16block_id_wrapperIjLb1EEEEEvT_jjPNSG_10value_typeET0_PNSt15iterator_traitsISJ_E10value_typeEmT1_T2_: ; @_ZN7rocprim17ROCPRIM_400000_NS6detail30init_device_scan_by_key_kernelINS1_19lookback_scan_stateINS0_5tupleIJibEEELb1ELb1EEEN6thrust23THRUST_200600_302600_NS6detail15normal_iteratorINS8_10device_ptrIiEEEEjNS1_16block_id_wrapperIjLb1EEEEEvT_jjPNSG_10value_typeET0_PNSt15iterator_traitsISJ_E10value_typeEmT1_T2_
; %bb.0:
	s_load_dword s0, s[4:5], 0x4c
	s_load_dwordx8 s[8:15], s[4:5], 0x0
	s_load_dword s18, s[4:5], 0x40
	s_waitcnt lgkmcnt(0)
	s_and_b32 s19, s0, 0xffff
	s_mul_i32 s6, s6, s19
	s_cmp_eq_u64 s[12:13], 0
	v_add_u32_e32 v4, s6, v0
	s_cbranch_scc1 .LBB12_10
; %bb.1:
	s_cmp_lt_u32 s11, s10
	s_cselect_b32 s0, s11, 0
	s_mov_b32 s3, 0
	v_cmp_eq_u32_e32 vcc, s0, v4
	s_and_saveexec_b64 s[0:1], vcc
	s_cbranch_execz .LBB12_9
; %bb.2:
	s_add_i32 s2, s11, 64
	s_lshl_b64 s[2:3], s[2:3], 4
	s_add_u32 s16, s8, s2
	s_addc_u32 s17, s9, s3
	v_pk_mov_b32 v[0:1], s[16:17], s[16:17] op_sel:[0,1]
	;;#ASMSTART
	global_load_dwordx4 v[0:3], v[0:1] off glc	
s_waitcnt vmcnt(0)
	;;#ASMEND
	v_mov_b32_e32 v7, 0
	v_and_b32_e32 v6, 0xff, v2
	s_mov_b64 s[6:7], 0
	v_cmp_eq_u64_e32 vcc, 0, v[6:7]
	s_and_saveexec_b64 s[2:3], vcc
	s_cbranch_execz .LBB12_8
; %bb.3:
	s_mov_b32 s11, 1
	v_pk_mov_b32 v[8:9], s[16:17], s[16:17] op_sel:[0,1]
.LBB12_4:                               ; =>This Loop Header: Depth=1
                                        ;     Child Loop BB12_5 Depth 2
	s_max_u32 s16, s11, 1
.LBB12_5:                               ;   Parent Loop BB12_4 Depth=1
                                        ; =>  This Inner Loop Header: Depth=2
	s_add_i32 s16, s16, -1
	s_cmp_eq_u32 s16, 0
	s_sleep 1
	s_cbranch_scc0 .LBB12_5
; %bb.6:                                ;   in Loop: Header=BB12_4 Depth=1
	s_cmp_lt_u32 s11, 32
	s_cselect_b64 s[16:17], -1, 0
	s_cmp_lg_u64 s[16:17], 0
	;;#ASMSTART
	global_load_dwordx4 v[0:3], v[8:9] off glc	
s_waitcnt vmcnt(0)
	;;#ASMEND
	v_and_b32_e32 v6, 0xff, v2
	s_addc_u32 s11, s11, 0
	v_cmp_ne_u64_e32 vcc, 0, v[6:7]
	s_or_b64 s[6:7], vcc, s[6:7]
	s_andn2_b64 exec, exec, s[6:7]
	s_cbranch_execnz .LBB12_4
; %bb.7:
	s_or_b64 exec, exec, s[6:7]
.LBB12_8:
	s_or_b64 exec, exec, s[2:3]
	v_mov_b32_e32 v2, 0
	global_store_dword v2, v0, s[12:13]
	global_store_byte v2, v1, s[12:13] offset:4
.LBB12_9:
	s_or_b64 exec, exec, s[0:1]
.LBB12_10:
	v_cmp_eq_u32_e32 vcc, 0, v4
	s_and_saveexec_b64 s[0:1], vcc
	s_cbranch_execz .LBB12_12
; %bb.11:
	s_load_dwordx2 s[2:3], s[4:5], 0x38
	v_mov_b32_e32 v0, 0
	s_waitcnt lgkmcnt(0)
	global_store_dword v0, v0, s[2:3]
.LBB12_12:
	s_or_b64 exec, exec, s[0:1]
	v_cmp_gt_u32_e32 vcc, s10, v4
	s_and_saveexec_b64 s[0:1], vcc
	s_cbranch_execz .LBB12_14
; %bb.13:
	v_add_u32_e32 v0, 64, v4
	v_mov_b32_e32 v1, 0
	v_lshlrev_b64 v[2:3], 4, v[0:1]
	v_mov_b32_e32 v0, s9
	v_add_co_u32_e32 v6, vcc, s8, v2
	v_addc_co_u32_e32 v7, vcc, v0, v3, vcc
	v_mov_b32_e32 v0, v1
	v_mov_b32_e32 v2, v1
	;; [unrolled: 1-line block ×3, first 2 shown]
	global_store_dwordx4 v[6:7], v[0:3], off
.LBB12_14:
	s_or_b64 exec, exec, s[0:1]
	v_cmp_gt_u32_e32 vcc, 64, v4
	v_mov_b32_e32 v5, 0
	s_and_saveexec_b64 s[0:1], vcc
	s_cbranch_execz .LBB12_16
; %bb.15:
	v_lshlrev_b64 v[0:1], 4, v[4:5]
	v_mov_b32_e32 v2, s9
	v_add_co_u32_e32 v6, vcc, s8, v0
	v_addc_co_u32_e32 v7, vcc, v2, v1, vcc
	v_mov_b32_e32 v2, 0xff
	v_mov_b32_e32 v0, v5
	;; [unrolled: 1-line block ×4, first 2 shown]
	global_store_dwordx4 v[6:7], v[0:3], off
.LBB12_16:
	s_or_b64 exec, exec, s[0:1]
	s_load_dwordx2 s[0:1], s[4:5], 0x28
	s_waitcnt lgkmcnt(0)
	v_cmp_gt_u64_e32 vcc, s[0:1], v[4:5]
	s_and_saveexec_b64 s[2:3], vcc
	s_cbranch_execz .LBB12_19
; %bb.17:
	s_load_dword s10, s[4:5], 0x30
	s_load_dwordx2 s[6:7], s[4:5], 0x20
	s_mov_b32 s5, 0
	s_mov_b32 s3, s5
	s_mul_i32 s2, s18, s19
	s_waitcnt lgkmcnt(0)
	s_add_i32 s4, s10, -1
	s_lshl_b64 s[4:5], s[4:5], 2
	v_mad_u64_u32 v[0:1], s[8:9], s10, v4, 0
	s_add_u32 s4, s14, s4
	v_lshlrev_b64 v[0:1], 2, v[0:1]
	s_addc_u32 s5, s15, s5
	v_mov_b32_e32 v2, s5
	v_add_co_u32_e32 v0, vcc, s4, v0
	v_addc_co_u32_e32 v1, vcc, v2, v1, vcc
	s_mul_hi_u32 s5, s10, s2
	s_mul_i32 s4, s10, s2
	v_lshlrev_b64 v[2:3], 2, v[4:5]
	s_lshl_b64 s[4:5], s[4:5], 2
	v_mov_b32_e32 v6, s7
	v_add_co_u32_e32 v2, vcc, s6, v2
	s_lshl_b64 s[6:7], s[2:3], 2
	v_addc_co_u32_e32 v3, vcc, v6, v3, vcc
	s_mov_b64 s[8:9], 0
	v_mov_b32_e32 v6, s3
	v_mov_b32_e32 v7, s5
	;; [unrolled: 1-line block ×3, first 2 shown]
.LBB12_18:                              ; =>This Inner Loop Header: Depth=1
	global_load_dword v9, v[0:1], off
	v_add_co_u32_e32 v4, vcc, s2, v4
	v_addc_co_u32_e32 v5, vcc, v5, v6, vcc
	v_add_co_u32_e32 v0, vcc, s4, v0
	v_addc_co_u32_e32 v1, vcc, v1, v7, vcc
	v_cmp_le_u64_e32 vcc, s[0:1], v[4:5]
	s_or_b64 s[8:9], vcc, s[8:9]
	s_waitcnt vmcnt(0)
	global_store_dword v[2:3], v9, off
	v_add_co_u32_e32 v2, vcc, s6, v2
	v_addc_co_u32_e32 v3, vcc, v3, v8, vcc
	s_andn2_b64 exec, exec, s[8:9]
	s_cbranch_execnz .LBB12_18
.LBB12_19:
	s_endpgm
	.section	.rodata,"a",@progbits
	.p2align	6, 0x0
	.amdhsa_kernel _ZN7rocprim17ROCPRIM_400000_NS6detail30init_device_scan_by_key_kernelINS1_19lookback_scan_stateINS0_5tupleIJibEEELb1ELb1EEEN6thrust23THRUST_200600_302600_NS6detail15normal_iteratorINS8_10device_ptrIiEEEEjNS1_16block_id_wrapperIjLb1EEEEEvT_jjPNSG_10value_typeET0_PNSt15iterator_traitsISJ_E10value_typeEmT1_T2_
		.amdhsa_group_segment_fixed_size 0
		.amdhsa_private_segment_fixed_size 0
		.amdhsa_kernarg_size 320
		.amdhsa_user_sgpr_count 6
		.amdhsa_user_sgpr_private_segment_buffer 1
		.amdhsa_user_sgpr_dispatch_ptr 0
		.amdhsa_user_sgpr_queue_ptr 0
		.amdhsa_user_sgpr_kernarg_segment_ptr 1
		.amdhsa_user_sgpr_dispatch_id 0
		.amdhsa_user_sgpr_flat_scratch_init 0
		.amdhsa_user_sgpr_kernarg_preload_length 0
		.amdhsa_user_sgpr_kernarg_preload_offset 0
		.amdhsa_user_sgpr_private_segment_size 0
		.amdhsa_uses_dynamic_stack 0
		.amdhsa_system_sgpr_private_segment_wavefront_offset 0
		.amdhsa_system_sgpr_workgroup_id_x 1
		.amdhsa_system_sgpr_workgroup_id_y 0
		.amdhsa_system_sgpr_workgroup_id_z 0
		.amdhsa_system_sgpr_workgroup_info 0
		.amdhsa_system_vgpr_workitem_id 0
		.amdhsa_next_free_vgpr 10
		.amdhsa_next_free_sgpr 20
		.amdhsa_accum_offset 12
		.amdhsa_reserve_vcc 1
		.amdhsa_reserve_flat_scratch 0
		.amdhsa_float_round_mode_32 0
		.amdhsa_float_round_mode_16_64 0
		.amdhsa_float_denorm_mode_32 3
		.amdhsa_float_denorm_mode_16_64 3
		.amdhsa_dx10_clamp 1
		.amdhsa_ieee_mode 1
		.amdhsa_fp16_overflow 0
		.amdhsa_tg_split 0
		.amdhsa_exception_fp_ieee_invalid_op 0
		.amdhsa_exception_fp_denorm_src 0
		.amdhsa_exception_fp_ieee_div_zero 0
		.amdhsa_exception_fp_ieee_overflow 0
		.amdhsa_exception_fp_ieee_underflow 0
		.amdhsa_exception_fp_ieee_inexact 0
		.amdhsa_exception_int_div_zero 0
	.end_amdhsa_kernel
	.section	.text._ZN7rocprim17ROCPRIM_400000_NS6detail30init_device_scan_by_key_kernelINS1_19lookback_scan_stateINS0_5tupleIJibEEELb1ELb1EEEN6thrust23THRUST_200600_302600_NS6detail15normal_iteratorINS8_10device_ptrIiEEEEjNS1_16block_id_wrapperIjLb1EEEEEvT_jjPNSG_10value_typeET0_PNSt15iterator_traitsISJ_E10value_typeEmT1_T2_,"axG",@progbits,_ZN7rocprim17ROCPRIM_400000_NS6detail30init_device_scan_by_key_kernelINS1_19lookback_scan_stateINS0_5tupleIJibEEELb1ELb1EEEN6thrust23THRUST_200600_302600_NS6detail15normal_iteratorINS8_10device_ptrIiEEEEjNS1_16block_id_wrapperIjLb1EEEEEvT_jjPNSG_10value_typeET0_PNSt15iterator_traitsISJ_E10value_typeEmT1_T2_,comdat
.Lfunc_end12:
	.size	_ZN7rocprim17ROCPRIM_400000_NS6detail30init_device_scan_by_key_kernelINS1_19lookback_scan_stateINS0_5tupleIJibEEELb1ELb1EEEN6thrust23THRUST_200600_302600_NS6detail15normal_iteratorINS8_10device_ptrIiEEEEjNS1_16block_id_wrapperIjLb1EEEEEvT_jjPNSG_10value_typeET0_PNSt15iterator_traitsISJ_E10value_typeEmT1_T2_, .Lfunc_end12-_ZN7rocprim17ROCPRIM_400000_NS6detail30init_device_scan_by_key_kernelINS1_19lookback_scan_stateINS0_5tupleIJibEEELb1ELb1EEEN6thrust23THRUST_200600_302600_NS6detail15normal_iteratorINS8_10device_ptrIiEEEEjNS1_16block_id_wrapperIjLb1EEEEEvT_jjPNSG_10value_typeET0_PNSt15iterator_traitsISJ_E10value_typeEmT1_T2_
                                        ; -- End function
	.section	.AMDGPU.csdata,"",@progbits
; Kernel info:
; codeLenInByte = 652
; NumSgprs: 24
; NumVgprs: 10
; NumAgprs: 0
; TotalNumVgprs: 10
; ScratchSize: 0
; MemoryBound: 0
; FloatMode: 240
; IeeeMode: 1
; LDSByteSize: 0 bytes/workgroup (compile time only)
; SGPRBlocks: 2
; VGPRBlocks: 1
; NumSGPRsForWavesPerEU: 24
; NumVGPRsForWavesPerEU: 10
; AccumOffset: 12
; Occupancy: 8
; WaveLimiterHint : 0
; COMPUTE_PGM_RSRC2:SCRATCH_EN: 0
; COMPUTE_PGM_RSRC2:USER_SGPR: 6
; COMPUTE_PGM_RSRC2:TRAP_HANDLER: 0
; COMPUTE_PGM_RSRC2:TGID_X_EN: 1
; COMPUTE_PGM_RSRC2:TGID_Y_EN: 0
; COMPUTE_PGM_RSRC2:TGID_Z_EN: 0
; COMPUTE_PGM_RSRC2:TIDIG_COMP_CNT: 0
; COMPUTE_PGM_RSRC3_GFX90A:ACCUM_OFFSET: 2
; COMPUTE_PGM_RSRC3_GFX90A:TG_SPLIT: 0
	.section	.text._ZN7rocprim17ROCPRIM_400000_NS6detail30init_device_scan_by_key_kernelINS1_19lookback_scan_stateINS0_5tupleIJibEEELb1ELb1EEENS1_16block_id_wrapperIjLb1EEEEEvT_jjPNS9_10value_typeET0_,"axG",@progbits,_ZN7rocprim17ROCPRIM_400000_NS6detail30init_device_scan_by_key_kernelINS1_19lookback_scan_stateINS0_5tupleIJibEEELb1ELb1EEENS1_16block_id_wrapperIjLb1EEEEEvT_jjPNS9_10value_typeET0_,comdat
	.protected	_ZN7rocprim17ROCPRIM_400000_NS6detail30init_device_scan_by_key_kernelINS1_19lookback_scan_stateINS0_5tupleIJibEEELb1ELb1EEENS1_16block_id_wrapperIjLb1EEEEEvT_jjPNS9_10value_typeET0_ ; -- Begin function _ZN7rocprim17ROCPRIM_400000_NS6detail30init_device_scan_by_key_kernelINS1_19lookback_scan_stateINS0_5tupleIJibEEELb1ELb1EEENS1_16block_id_wrapperIjLb1EEEEEvT_jjPNS9_10value_typeET0_
	.globl	_ZN7rocprim17ROCPRIM_400000_NS6detail30init_device_scan_by_key_kernelINS1_19lookback_scan_stateINS0_5tupleIJibEEELb1ELb1EEENS1_16block_id_wrapperIjLb1EEEEEvT_jjPNS9_10value_typeET0_
	.p2align	8
	.type	_ZN7rocprim17ROCPRIM_400000_NS6detail30init_device_scan_by_key_kernelINS1_19lookback_scan_stateINS0_5tupleIJibEEELb1ELb1EEENS1_16block_id_wrapperIjLb1EEEEEvT_jjPNS9_10value_typeET0_,@function
_ZN7rocprim17ROCPRIM_400000_NS6detail30init_device_scan_by_key_kernelINS1_19lookback_scan_stateINS0_5tupleIJibEEELb1ELb1EEENS1_16block_id_wrapperIjLb1EEEEEvT_jjPNS9_10value_typeET0_: ; @_ZN7rocprim17ROCPRIM_400000_NS6detail30init_device_scan_by_key_kernelINS1_19lookback_scan_stateINS0_5tupleIJibEEELb1ELb1EEENS1_16block_id_wrapperIjLb1EEEEEvT_jjPNS9_10value_typeET0_
; %bb.0:
	s_load_dword s0, s[4:5], 0x2c
	s_load_dwordx8 s[8:15], s[4:5], 0x0
	s_waitcnt lgkmcnt(0)
	s_and_b32 s0, s0, 0xffff
	s_mul_i32 s6, s6, s0
	s_cmp_eq_u64 s[12:13], 0
	v_add_u32_e32 v0, s6, v0
	s_cbranch_scc1 .LBB13_10
; %bb.1:
	s_cmp_lt_u32 s11, s10
	s_cselect_b32 s0, s11, 0
	s_mov_b32 s3, 0
	v_cmp_eq_u32_e32 vcc, s0, v0
	s_and_saveexec_b64 s[0:1], vcc
	s_cbranch_execz .LBB13_9
; %bb.2:
	s_add_i32 s2, s11, 64
	s_lshl_b64 s[2:3], s[2:3], 4
	s_add_u32 s6, s8, s2
	s_addc_u32 s7, s9, s3
	v_pk_mov_b32 v[2:3], s[6:7], s[6:7] op_sel:[0,1]
	;;#ASMSTART
	global_load_dwordx4 v[2:5], v[2:3] off glc	
s_waitcnt vmcnt(0)
	;;#ASMEND
	v_mov_b32_e32 v7, 0
	v_and_b32_e32 v6, 0xff, v4
	s_mov_b64 s[4:5], 0
	v_cmp_eq_u64_e32 vcc, 0, v[6:7]
	s_and_saveexec_b64 s[2:3], vcc
	s_cbranch_execz .LBB13_8
; %bb.3:
	s_mov_b32 s11, 1
	v_pk_mov_b32 v[8:9], s[6:7], s[6:7] op_sel:[0,1]
.LBB13_4:                               ; =>This Loop Header: Depth=1
                                        ;     Child Loop BB13_5 Depth 2
	s_max_u32 s6, s11, 1
.LBB13_5:                               ;   Parent Loop BB13_4 Depth=1
                                        ; =>  This Inner Loop Header: Depth=2
	s_add_i32 s6, s6, -1
	s_cmp_eq_u32 s6, 0
	s_sleep 1
	s_cbranch_scc0 .LBB13_5
; %bb.6:                                ;   in Loop: Header=BB13_4 Depth=1
	s_cmp_lt_u32 s11, 32
	s_cselect_b64 s[6:7], -1, 0
	s_cmp_lg_u64 s[6:7], 0
	;;#ASMSTART
	global_load_dwordx4 v[2:5], v[8:9] off glc	
s_waitcnt vmcnt(0)
	;;#ASMEND
	v_and_b32_e32 v6, 0xff, v4
	s_addc_u32 s11, s11, 0
	v_cmp_ne_u64_e32 vcc, 0, v[6:7]
	s_or_b64 s[4:5], vcc, s[4:5]
	s_andn2_b64 exec, exec, s[4:5]
	s_cbranch_execnz .LBB13_4
; %bb.7:
	s_or_b64 exec, exec, s[4:5]
.LBB13_8:
	s_or_b64 exec, exec, s[2:3]
	v_mov_b32_e32 v1, 0
	global_store_dword v1, v2, s[12:13]
	global_store_byte v1, v3, s[12:13] offset:4
.LBB13_9:
	s_or_b64 exec, exec, s[0:1]
.LBB13_10:
	v_cmp_eq_u32_e32 vcc, 0, v0
	s_and_saveexec_b64 s[0:1], vcc
	s_cbranch_execnz .LBB13_14
; %bb.11:
	s_or_b64 exec, exec, s[0:1]
	v_cmp_gt_u32_e32 vcc, s10, v0
	s_and_saveexec_b64 s[0:1], vcc
	s_cbranch_execnz .LBB13_15
.LBB13_12:
	s_or_b64 exec, exec, s[0:1]
	v_cmp_gt_u32_e32 vcc, 64, v0
	s_and_saveexec_b64 s[0:1], vcc
	s_cbranch_execnz .LBB13_16
.LBB13_13:
	s_endpgm
.LBB13_14:
	v_mov_b32_e32 v1, 0
	global_store_dword v1, v1, s[14:15]
	s_or_b64 exec, exec, s[0:1]
	v_cmp_gt_u32_e32 vcc, s10, v0
	s_and_saveexec_b64 s[0:1], vcc
	s_cbranch_execz .LBB13_12
.LBB13_15:
	v_add_u32_e32 v2, 64, v0
	v_mov_b32_e32 v3, 0
	v_lshlrev_b64 v[4:5], 4, v[2:3]
	v_mov_b32_e32 v1, s9
	v_add_co_u32_e32 v6, vcc, s8, v4
	v_addc_co_u32_e32 v7, vcc, v1, v5, vcc
	v_mov_b32_e32 v2, v3
	v_mov_b32_e32 v4, v3
	;; [unrolled: 1-line block ×3, first 2 shown]
	global_store_dwordx4 v[6:7], v[2:5], off
	s_or_b64 exec, exec, s[0:1]
	v_cmp_gt_u32_e32 vcc, 64, v0
	s_and_saveexec_b64 s[0:1], vcc
	s_cbranch_execz .LBB13_13
.LBB13_16:
	v_mov_b32_e32 v1, 0
	v_lshlrev_b64 v[2:3], 4, v[0:1]
	v_mov_b32_e32 v0, s9
	v_add_co_u32_e32 v4, vcc, s8, v2
	v_addc_co_u32_e32 v5, vcc, v0, v3, vcc
	v_mov_b32_e32 v2, 0xff
	v_mov_b32_e32 v0, v1
	;; [unrolled: 1-line block ×3, first 2 shown]
	global_store_dwordx4 v[4:5], v[0:3], off
	s_endpgm
	.section	.rodata,"a",@progbits
	.p2align	6, 0x0
	.amdhsa_kernel _ZN7rocprim17ROCPRIM_400000_NS6detail30init_device_scan_by_key_kernelINS1_19lookback_scan_stateINS0_5tupleIJibEEELb1ELb1EEENS1_16block_id_wrapperIjLb1EEEEEvT_jjPNS9_10value_typeET0_
		.amdhsa_group_segment_fixed_size 0
		.amdhsa_private_segment_fixed_size 0
		.amdhsa_kernarg_size 288
		.amdhsa_user_sgpr_count 6
		.amdhsa_user_sgpr_private_segment_buffer 1
		.amdhsa_user_sgpr_dispatch_ptr 0
		.amdhsa_user_sgpr_queue_ptr 0
		.amdhsa_user_sgpr_kernarg_segment_ptr 1
		.amdhsa_user_sgpr_dispatch_id 0
		.amdhsa_user_sgpr_flat_scratch_init 0
		.amdhsa_user_sgpr_kernarg_preload_length 0
		.amdhsa_user_sgpr_kernarg_preload_offset 0
		.amdhsa_user_sgpr_private_segment_size 0
		.amdhsa_uses_dynamic_stack 0
		.amdhsa_system_sgpr_private_segment_wavefront_offset 0
		.amdhsa_system_sgpr_workgroup_id_x 1
		.amdhsa_system_sgpr_workgroup_id_y 0
		.amdhsa_system_sgpr_workgroup_id_z 0
		.amdhsa_system_sgpr_workgroup_info 0
		.amdhsa_system_vgpr_workitem_id 0
		.amdhsa_next_free_vgpr 10
		.amdhsa_next_free_sgpr 16
		.amdhsa_accum_offset 12
		.amdhsa_reserve_vcc 1
		.amdhsa_reserve_flat_scratch 0
		.amdhsa_float_round_mode_32 0
		.amdhsa_float_round_mode_16_64 0
		.amdhsa_float_denorm_mode_32 3
		.amdhsa_float_denorm_mode_16_64 3
		.amdhsa_dx10_clamp 1
		.amdhsa_ieee_mode 1
		.amdhsa_fp16_overflow 0
		.amdhsa_tg_split 0
		.amdhsa_exception_fp_ieee_invalid_op 0
		.amdhsa_exception_fp_denorm_src 0
		.amdhsa_exception_fp_ieee_div_zero 0
		.amdhsa_exception_fp_ieee_overflow 0
		.amdhsa_exception_fp_ieee_underflow 0
		.amdhsa_exception_fp_ieee_inexact 0
		.amdhsa_exception_int_div_zero 0
	.end_amdhsa_kernel
	.section	.text._ZN7rocprim17ROCPRIM_400000_NS6detail30init_device_scan_by_key_kernelINS1_19lookback_scan_stateINS0_5tupleIJibEEELb1ELb1EEENS1_16block_id_wrapperIjLb1EEEEEvT_jjPNS9_10value_typeET0_,"axG",@progbits,_ZN7rocprim17ROCPRIM_400000_NS6detail30init_device_scan_by_key_kernelINS1_19lookback_scan_stateINS0_5tupleIJibEEELb1ELb1EEENS1_16block_id_wrapperIjLb1EEEEEvT_jjPNS9_10value_typeET0_,comdat
.Lfunc_end13:
	.size	_ZN7rocprim17ROCPRIM_400000_NS6detail30init_device_scan_by_key_kernelINS1_19lookback_scan_stateINS0_5tupleIJibEEELb1ELb1EEENS1_16block_id_wrapperIjLb1EEEEEvT_jjPNS9_10value_typeET0_, .Lfunc_end13-_ZN7rocprim17ROCPRIM_400000_NS6detail30init_device_scan_by_key_kernelINS1_19lookback_scan_stateINS0_5tupleIJibEEELb1ELb1EEENS1_16block_id_wrapperIjLb1EEEEEvT_jjPNS9_10value_typeET0_
                                        ; -- End function
	.section	.AMDGPU.csdata,"",@progbits
; Kernel info:
; codeLenInByte = 448
; NumSgprs: 20
; NumVgprs: 10
; NumAgprs: 0
; TotalNumVgprs: 10
; ScratchSize: 0
; MemoryBound: 0
; FloatMode: 240
; IeeeMode: 1
; LDSByteSize: 0 bytes/workgroup (compile time only)
; SGPRBlocks: 2
; VGPRBlocks: 1
; NumSGPRsForWavesPerEU: 20
; NumVGPRsForWavesPerEU: 10
; AccumOffset: 12
; Occupancy: 8
; WaveLimiterHint : 0
; COMPUTE_PGM_RSRC2:SCRATCH_EN: 0
; COMPUTE_PGM_RSRC2:USER_SGPR: 6
; COMPUTE_PGM_RSRC2:TRAP_HANDLER: 0
; COMPUTE_PGM_RSRC2:TGID_X_EN: 1
; COMPUTE_PGM_RSRC2:TGID_Y_EN: 0
; COMPUTE_PGM_RSRC2:TGID_Z_EN: 0
; COMPUTE_PGM_RSRC2:TIDIG_COMP_CNT: 0
; COMPUTE_PGM_RSRC3_GFX90A:ACCUM_OFFSET: 2
; COMPUTE_PGM_RSRC3_GFX90A:TG_SPLIT: 0
	.section	.text._ZN7rocprim17ROCPRIM_400000_NS6detail17trampoline_kernelINS0_14default_configENS1_27scan_by_key_config_selectorIiiEEZZNS1_16scan_by_key_implILNS1_25lookback_scan_determinismE0ELb0ES3_N6thrust23THRUST_200600_302600_NS6detail15normal_iteratorINS9_10device_ptrIiEEEESE_SE_iNS9_4plusIvEENS9_8equal_toIvEEiEE10hipError_tPvRmT2_T3_T4_T5_mT6_T7_P12ihipStream_tbENKUlT_T0_E_clISt17integral_constantIbLb1EESZ_EEDaSU_SV_EUlSU_E_NS1_11comp_targetILNS1_3genE0ELNS1_11target_archE4294967295ELNS1_3gpuE0ELNS1_3repE0EEENS1_30default_config_static_selectorELNS0_4arch9wavefront6targetE1EEEvT1_,"axG",@progbits,_ZN7rocprim17ROCPRIM_400000_NS6detail17trampoline_kernelINS0_14default_configENS1_27scan_by_key_config_selectorIiiEEZZNS1_16scan_by_key_implILNS1_25lookback_scan_determinismE0ELb0ES3_N6thrust23THRUST_200600_302600_NS6detail15normal_iteratorINS9_10device_ptrIiEEEESE_SE_iNS9_4plusIvEENS9_8equal_toIvEEiEE10hipError_tPvRmT2_T3_T4_T5_mT6_T7_P12ihipStream_tbENKUlT_T0_E_clISt17integral_constantIbLb1EESZ_EEDaSU_SV_EUlSU_E_NS1_11comp_targetILNS1_3genE0ELNS1_11target_archE4294967295ELNS1_3gpuE0ELNS1_3repE0EEENS1_30default_config_static_selectorELNS0_4arch9wavefront6targetE1EEEvT1_,comdat
	.protected	_ZN7rocprim17ROCPRIM_400000_NS6detail17trampoline_kernelINS0_14default_configENS1_27scan_by_key_config_selectorIiiEEZZNS1_16scan_by_key_implILNS1_25lookback_scan_determinismE0ELb0ES3_N6thrust23THRUST_200600_302600_NS6detail15normal_iteratorINS9_10device_ptrIiEEEESE_SE_iNS9_4plusIvEENS9_8equal_toIvEEiEE10hipError_tPvRmT2_T3_T4_T5_mT6_T7_P12ihipStream_tbENKUlT_T0_E_clISt17integral_constantIbLb1EESZ_EEDaSU_SV_EUlSU_E_NS1_11comp_targetILNS1_3genE0ELNS1_11target_archE4294967295ELNS1_3gpuE0ELNS1_3repE0EEENS1_30default_config_static_selectorELNS0_4arch9wavefront6targetE1EEEvT1_ ; -- Begin function _ZN7rocprim17ROCPRIM_400000_NS6detail17trampoline_kernelINS0_14default_configENS1_27scan_by_key_config_selectorIiiEEZZNS1_16scan_by_key_implILNS1_25lookback_scan_determinismE0ELb0ES3_N6thrust23THRUST_200600_302600_NS6detail15normal_iteratorINS9_10device_ptrIiEEEESE_SE_iNS9_4plusIvEENS9_8equal_toIvEEiEE10hipError_tPvRmT2_T3_T4_T5_mT6_T7_P12ihipStream_tbENKUlT_T0_E_clISt17integral_constantIbLb1EESZ_EEDaSU_SV_EUlSU_E_NS1_11comp_targetILNS1_3genE0ELNS1_11target_archE4294967295ELNS1_3gpuE0ELNS1_3repE0EEENS1_30default_config_static_selectorELNS0_4arch9wavefront6targetE1EEEvT1_
	.globl	_ZN7rocprim17ROCPRIM_400000_NS6detail17trampoline_kernelINS0_14default_configENS1_27scan_by_key_config_selectorIiiEEZZNS1_16scan_by_key_implILNS1_25lookback_scan_determinismE0ELb0ES3_N6thrust23THRUST_200600_302600_NS6detail15normal_iteratorINS9_10device_ptrIiEEEESE_SE_iNS9_4plusIvEENS9_8equal_toIvEEiEE10hipError_tPvRmT2_T3_T4_T5_mT6_T7_P12ihipStream_tbENKUlT_T0_E_clISt17integral_constantIbLb1EESZ_EEDaSU_SV_EUlSU_E_NS1_11comp_targetILNS1_3genE0ELNS1_11target_archE4294967295ELNS1_3gpuE0ELNS1_3repE0EEENS1_30default_config_static_selectorELNS0_4arch9wavefront6targetE1EEEvT1_
	.p2align	8
	.type	_ZN7rocprim17ROCPRIM_400000_NS6detail17trampoline_kernelINS0_14default_configENS1_27scan_by_key_config_selectorIiiEEZZNS1_16scan_by_key_implILNS1_25lookback_scan_determinismE0ELb0ES3_N6thrust23THRUST_200600_302600_NS6detail15normal_iteratorINS9_10device_ptrIiEEEESE_SE_iNS9_4plusIvEENS9_8equal_toIvEEiEE10hipError_tPvRmT2_T3_T4_T5_mT6_T7_P12ihipStream_tbENKUlT_T0_E_clISt17integral_constantIbLb1EESZ_EEDaSU_SV_EUlSU_E_NS1_11comp_targetILNS1_3genE0ELNS1_11target_archE4294967295ELNS1_3gpuE0ELNS1_3repE0EEENS1_30default_config_static_selectorELNS0_4arch9wavefront6targetE1EEEvT1_,@function
_ZN7rocprim17ROCPRIM_400000_NS6detail17trampoline_kernelINS0_14default_configENS1_27scan_by_key_config_selectorIiiEEZZNS1_16scan_by_key_implILNS1_25lookback_scan_determinismE0ELb0ES3_N6thrust23THRUST_200600_302600_NS6detail15normal_iteratorINS9_10device_ptrIiEEEESE_SE_iNS9_4plusIvEENS9_8equal_toIvEEiEE10hipError_tPvRmT2_T3_T4_T5_mT6_T7_P12ihipStream_tbENKUlT_T0_E_clISt17integral_constantIbLb1EESZ_EEDaSU_SV_EUlSU_E_NS1_11comp_targetILNS1_3genE0ELNS1_11target_archE4294967295ELNS1_3gpuE0ELNS1_3repE0EEENS1_30default_config_static_selectorELNS0_4arch9wavefront6targetE1EEEvT1_: ; @_ZN7rocprim17ROCPRIM_400000_NS6detail17trampoline_kernelINS0_14default_configENS1_27scan_by_key_config_selectorIiiEEZZNS1_16scan_by_key_implILNS1_25lookback_scan_determinismE0ELb0ES3_N6thrust23THRUST_200600_302600_NS6detail15normal_iteratorINS9_10device_ptrIiEEEESE_SE_iNS9_4plusIvEENS9_8equal_toIvEEiEE10hipError_tPvRmT2_T3_T4_T5_mT6_T7_P12ihipStream_tbENKUlT_T0_E_clISt17integral_constantIbLb1EESZ_EEDaSU_SV_EUlSU_E_NS1_11comp_targetILNS1_3genE0ELNS1_11target_archE4294967295ELNS1_3gpuE0ELNS1_3repE0EEENS1_30default_config_static_selectorELNS0_4arch9wavefront6targetE1EEEvT1_
; %bb.0:
	.section	.rodata,"a",@progbits
	.p2align	6, 0x0
	.amdhsa_kernel _ZN7rocprim17ROCPRIM_400000_NS6detail17trampoline_kernelINS0_14default_configENS1_27scan_by_key_config_selectorIiiEEZZNS1_16scan_by_key_implILNS1_25lookback_scan_determinismE0ELb0ES3_N6thrust23THRUST_200600_302600_NS6detail15normal_iteratorINS9_10device_ptrIiEEEESE_SE_iNS9_4plusIvEENS9_8equal_toIvEEiEE10hipError_tPvRmT2_T3_T4_T5_mT6_T7_P12ihipStream_tbENKUlT_T0_E_clISt17integral_constantIbLb1EESZ_EEDaSU_SV_EUlSU_E_NS1_11comp_targetILNS1_3genE0ELNS1_11target_archE4294967295ELNS1_3gpuE0ELNS1_3repE0EEENS1_30default_config_static_selectorELNS0_4arch9wavefront6targetE1EEEvT1_
		.amdhsa_group_segment_fixed_size 0
		.amdhsa_private_segment_fixed_size 0
		.amdhsa_kernarg_size 112
		.amdhsa_user_sgpr_count 6
		.amdhsa_user_sgpr_private_segment_buffer 1
		.amdhsa_user_sgpr_dispatch_ptr 0
		.amdhsa_user_sgpr_queue_ptr 0
		.amdhsa_user_sgpr_kernarg_segment_ptr 1
		.amdhsa_user_sgpr_dispatch_id 0
		.amdhsa_user_sgpr_flat_scratch_init 0
		.amdhsa_user_sgpr_kernarg_preload_length 0
		.amdhsa_user_sgpr_kernarg_preload_offset 0
		.amdhsa_user_sgpr_private_segment_size 0
		.amdhsa_uses_dynamic_stack 0
		.amdhsa_system_sgpr_private_segment_wavefront_offset 0
		.amdhsa_system_sgpr_workgroup_id_x 1
		.amdhsa_system_sgpr_workgroup_id_y 0
		.amdhsa_system_sgpr_workgroup_id_z 0
		.amdhsa_system_sgpr_workgroup_info 0
		.amdhsa_system_vgpr_workitem_id 0
		.amdhsa_next_free_vgpr 1
		.amdhsa_next_free_sgpr 0
		.amdhsa_accum_offset 4
		.amdhsa_reserve_vcc 0
		.amdhsa_reserve_flat_scratch 0
		.amdhsa_float_round_mode_32 0
		.amdhsa_float_round_mode_16_64 0
		.amdhsa_float_denorm_mode_32 3
		.amdhsa_float_denorm_mode_16_64 3
		.amdhsa_dx10_clamp 1
		.amdhsa_ieee_mode 1
		.amdhsa_fp16_overflow 0
		.amdhsa_tg_split 0
		.amdhsa_exception_fp_ieee_invalid_op 0
		.amdhsa_exception_fp_denorm_src 0
		.amdhsa_exception_fp_ieee_div_zero 0
		.amdhsa_exception_fp_ieee_overflow 0
		.amdhsa_exception_fp_ieee_underflow 0
		.amdhsa_exception_fp_ieee_inexact 0
		.amdhsa_exception_int_div_zero 0
	.end_amdhsa_kernel
	.section	.text._ZN7rocprim17ROCPRIM_400000_NS6detail17trampoline_kernelINS0_14default_configENS1_27scan_by_key_config_selectorIiiEEZZNS1_16scan_by_key_implILNS1_25lookback_scan_determinismE0ELb0ES3_N6thrust23THRUST_200600_302600_NS6detail15normal_iteratorINS9_10device_ptrIiEEEESE_SE_iNS9_4plusIvEENS9_8equal_toIvEEiEE10hipError_tPvRmT2_T3_T4_T5_mT6_T7_P12ihipStream_tbENKUlT_T0_E_clISt17integral_constantIbLb1EESZ_EEDaSU_SV_EUlSU_E_NS1_11comp_targetILNS1_3genE0ELNS1_11target_archE4294967295ELNS1_3gpuE0ELNS1_3repE0EEENS1_30default_config_static_selectorELNS0_4arch9wavefront6targetE1EEEvT1_,"axG",@progbits,_ZN7rocprim17ROCPRIM_400000_NS6detail17trampoline_kernelINS0_14default_configENS1_27scan_by_key_config_selectorIiiEEZZNS1_16scan_by_key_implILNS1_25lookback_scan_determinismE0ELb0ES3_N6thrust23THRUST_200600_302600_NS6detail15normal_iteratorINS9_10device_ptrIiEEEESE_SE_iNS9_4plusIvEENS9_8equal_toIvEEiEE10hipError_tPvRmT2_T3_T4_T5_mT6_T7_P12ihipStream_tbENKUlT_T0_E_clISt17integral_constantIbLb1EESZ_EEDaSU_SV_EUlSU_E_NS1_11comp_targetILNS1_3genE0ELNS1_11target_archE4294967295ELNS1_3gpuE0ELNS1_3repE0EEENS1_30default_config_static_selectorELNS0_4arch9wavefront6targetE1EEEvT1_,comdat
.Lfunc_end14:
	.size	_ZN7rocprim17ROCPRIM_400000_NS6detail17trampoline_kernelINS0_14default_configENS1_27scan_by_key_config_selectorIiiEEZZNS1_16scan_by_key_implILNS1_25lookback_scan_determinismE0ELb0ES3_N6thrust23THRUST_200600_302600_NS6detail15normal_iteratorINS9_10device_ptrIiEEEESE_SE_iNS9_4plusIvEENS9_8equal_toIvEEiEE10hipError_tPvRmT2_T3_T4_T5_mT6_T7_P12ihipStream_tbENKUlT_T0_E_clISt17integral_constantIbLb1EESZ_EEDaSU_SV_EUlSU_E_NS1_11comp_targetILNS1_3genE0ELNS1_11target_archE4294967295ELNS1_3gpuE0ELNS1_3repE0EEENS1_30default_config_static_selectorELNS0_4arch9wavefront6targetE1EEEvT1_, .Lfunc_end14-_ZN7rocprim17ROCPRIM_400000_NS6detail17trampoline_kernelINS0_14default_configENS1_27scan_by_key_config_selectorIiiEEZZNS1_16scan_by_key_implILNS1_25lookback_scan_determinismE0ELb0ES3_N6thrust23THRUST_200600_302600_NS6detail15normal_iteratorINS9_10device_ptrIiEEEESE_SE_iNS9_4plusIvEENS9_8equal_toIvEEiEE10hipError_tPvRmT2_T3_T4_T5_mT6_T7_P12ihipStream_tbENKUlT_T0_E_clISt17integral_constantIbLb1EESZ_EEDaSU_SV_EUlSU_E_NS1_11comp_targetILNS1_3genE0ELNS1_11target_archE4294967295ELNS1_3gpuE0ELNS1_3repE0EEENS1_30default_config_static_selectorELNS0_4arch9wavefront6targetE1EEEvT1_
                                        ; -- End function
	.section	.AMDGPU.csdata,"",@progbits
; Kernel info:
; codeLenInByte = 0
; NumSgprs: 4
; NumVgprs: 0
; NumAgprs: 0
; TotalNumVgprs: 0
; ScratchSize: 0
; MemoryBound: 0
; FloatMode: 240
; IeeeMode: 1
; LDSByteSize: 0 bytes/workgroup (compile time only)
; SGPRBlocks: 0
; VGPRBlocks: 0
; NumSGPRsForWavesPerEU: 4
; NumVGPRsForWavesPerEU: 1
; AccumOffset: 4
; Occupancy: 8
; WaveLimiterHint : 0
; COMPUTE_PGM_RSRC2:SCRATCH_EN: 0
; COMPUTE_PGM_RSRC2:USER_SGPR: 6
; COMPUTE_PGM_RSRC2:TRAP_HANDLER: 0
; COMPUTE_PGM_RSRC2:TGID_X_EN: 1
; COMPUTE_PGM_RSRC2:TGID_Y_EN: 0
; COMPUTE_PGM_RSRC2:TGID_Z_EN: 0
; COMPUTE_PGM_RSRC2:TIDIG_COMP_CNT: 0
; COMPUTE_PGM_RSRC3_GFX90A:ACCUM_OFFSET: 0
; COMPUTE_PGM_RSRC3_GFX90A:TG_SPLIT: 0
	.section	.text._ZN7rocprim17ROCPRIM_400000_NS6detail17trampoline_kernelINS0_14default_configENS1_27scan_by_key_config_selectorIiiEEZZNS1_16scan_by_key_implILNS1_25lookback_scan_determinismE0ELb0ES3_N6thrust23THRUST_200600_302600_NS6detail15normal_iteratorINS9_10device_ptrIiEEEESE_SE_iNS9_4plusIvEENS9_8equal_toIvEEiEE10hipError_tPvRmT2_T3_T4_T5_mT6_T7_P12ihipStream_tbENKUlT_T0_E_clISt17integral_constantIbLb1EESZ_EEDaSU_SV_EUlSU_E_NS1_11comp_targetILNS1_3genE10ELNS1_11target_archE1201ELNS1_3gpuE5ELNS1_3repE0EEENS1_30default_config_static_selectorELNS0_4arch9wavefront6targetE1EEEvT1_,"axG",@progbits,_ZN7rocprim17ROCPRIM_400000_NS6detail17trampoline_kernelINS0_14default_configENS1_27scan_by_key_config_selectorIiiEEZZNS1_16scan_by_key_implILNS1_25lookback_scan_determinismE0ELb0ES3_N6thrust23THRUST_200600_302600_NS6detail15normal_iteratorINS9_10device_ptrIiEEEESE_SE_iNS9_4plusIvEENS9_8equal_toIvEEiEE10hipError_tPvRmT2_T3_T4_T5_mT6_T7_P12ihipStream_tbENKUlT_T0_E_clISt17integral_constantIbLb1EESZ_EEDaSU_SV_EUlSU_E_NS1_11comp_targetILNS1_3genE10ELNS1_11target_archE1201ELNS1_3gpuE5ELNS1_3repE0EEENS1_30default_config_static_selectorELNS0_4arch9wavefront6targetE1EEEvT1_,comdat
	.protected	_ZN7rocprim17ROCPRIM_400000_NS6detail17trampoline_kernelINS0_14default_configENS1_27scan_by_key_config_selectorIiiEEZZNS1_16scan_by_key_implILNS1_25lookback_scan_determinismE0ELb0ES3_N6thrust23THRUST_200600_302600_NS6detail15normal_iteratorINS9_10device_ptrIiEEEESE_SE_iNS9_4plusIvEENS9_8equal_toIvEEiEE10hipError_tPvRmT2_T3_T4_T5_mT6_T7_P12ihipStream_tbENKUlT_T0_E_clISt17integral_constantIbLb1EESZ_EEDaSU_SV_EUlSU_E_NS1_11comp_targetILNS1_3genE10ELNS1_11target_archE1201ELNS1_3gpuE5ELNS1_3repE0EEENS1_30default_config_static_selectorELNS0_4arch9wavefront6targetE1EEEvT1_ ; -- Begin function _ZN7rocprim17ROCPRIM_400000_NS6detail17trampoline_kernelINS0_14default_configENS1_27scan_by_key_config_selectorIiiEEZZNS1_16scan_by_key_implILNS1_25lookback_scan_determinismE0ELb0ES3_N6thrust23THRUST_200600_302600_NS6detail15normal_iteratorINS9_10device_ptrIiEEEESE_SE_iNS9_4plusIvEENS9_8equal_toIvEEiEE10hipError_tPvRmT2_T3_T4_T5_mT6_T7_P12ihipStream_tbENKUlT_T0_E_clISt17integral_constantIbLb1EESZ_EEDaSU_SV_EUlSU_E_NS1_11comp_targetILNS1_3genE10ELNS1_11target_archE1201ELNS1_3gpuE5ELNS1_3repE0EEENS1_30default_config_static_selectorELNS0_4arch9wavefront6targetE1EEEvT1_
	.globl	_ZN7rocprim17ROCPRIM_400000_NS6detail17trampoline_kernelINS0_14default_configENS1_27scan_by_key_config_selectorIiiEEZZNS1_16scan_by_key_implILNS1_25lookback_scan_determinismE0ELb0ES3_N6thrust23THRUST_200600_302600_NS6detail15normal_iteratorINS9_10device_ptrIiEEEESE_SE_iNS9_4plusIvEENS9_8equal_toIvEEiEE10hipError_tPvRmT2_T3_T4_T5_mT6_T7_P12ihipStream_tbENKUlT_T0_E_clISt17integral_constantIbLb1EESZ_EEDaSU_SV_EUlSU_E_NS1_11comp_targetILNS1_3genE10ELNS1_11target_archE1201ELNS1_3gpuE5ELNS1_3repE0EEENS1_30default_config_static_selectorELNS0_4arch9wavefront6targetE1EEEvT1_
	.p2align	8
	.type	_ZN7rocprim17ROCPRIM_400000_NS6detail17trampoline_kernelINS0_14default_configENS1_27scan_by_key_config_selectorIiiEEZZNS1_16scan_by_key_implILNS1_25lookback_scan_determinismE0ELb0ES3_N6thrust23THRUST_200600_302600_NS6detail15normal_iteratorINS9_10device_ptrIiEEEESE_SE_iNS9_4plusIvEENS9_8equal_toIvEEiEE10hipError_tPvRmT2_T3_T4_T5_mT6_T7_P12ihipStream_tbENKUlT_T0_E_clISt17integral_constantIbLb1EESZ_EEDaSU_SV_EUlSU_E_NS1_11comp_targetILNS1_3genE10ELNS1_11target_archE1201ELNS1_3gpuE5ELNS1_3repE0EEENS1_30default_config_static_selectorELNS0_4arch9wavefront6targetE1EEEvT1_,@function
_ZN7rocprim17ROCPRIM_400000_NS6detail17trampoline_kernelINS0_14default_configENS1_27scan_by_key_config_selectorIiiEEZZNS1_16scan_by_key_implILNS1_25lookback_scan_determinismE0ELb0ES3_N6thrust23THRUST_200600_302600_NS6detail15normal_iteratorINS9_10device_ptrIiEEEESE_SE_iNS9_4plusIvEENS9_8equal_toIvEEiEE10hipError_tPvRmT2_T3_T4_T5_mT6_T7_P12ihipStream_tbENKUlT_T0_E_clISt17integral_constantIbLb1EESZ_EEDaSU_SV_EUlSU_E_NS1_11comp_targetILNS1_3genE10ELNS1_11target_archE1201ELNS1_3gpuE5ELNS1_3repE0EEENS1_30default_config_static_selectorELNS0_4arch9wavefront6targetE1EEEvT1_: ; @_ZN7rocprim17ROCPRIM_400000_NS6detail17trampoline_kernelINS0_14default_configENS1_27scan_by_key_config_selectorIiiEEZZNS1_16scan_by_key_implILNS1_25lookback_scan_determinismE0ELb0ES3_N6thrust23THRUST_200600_302600_NS6detail15normal_iteratorINS9_10device_ptrIiEEEESE_SE_iNS9_4plusIvEENS9_8equal_toIvEEiEE10hipError_tPvRmT2_T3_T4_T5_mT6_T7_P12ihipStream_tbENKUlT_T0_E_clISt17integral_constantIbLb1EESZ_EEDaSU_SV_EUlSU_E_NS1_11comp_targetILNS1_3genE10ELNS1_11target_archE1201ELNS1_3gpuE5ELNS1_3repE0EEENS1_30default_config_static_selectorELNS0_4arch9wavefront6targetE1EEEvT1_
; %bb.0:
	.section	.rodata,"a",@progbits
	.p2align	6, 0x0
	.amdhsa_kernel _ZN7rocprim17ROCPRIM_400000_NS6detail17trampoline_kernelINS0_14default_configENS1_27scan_by_key_config_selectorIiiEEZZNS1_16scan_by_key_implILNS1_25lookback_scan_determinismE0ELb0ES3_N6thrust23THRUST_200600_302600_NS6detail15normal_iteratorINS9_10device_ptrIiEEEESE_SE_iNS9_4plusIvEENS9_8equal_toIvEEiEE10hipError_tPvRmT2_T3_T4_T5_mT6_T7_P12ihipStream_tbENKUlT_T0_E_clISt17integral_constantIbLb1EESZ_EEDaSU_SV_EUlSU_E_NS1_11comp_targetILNS1_3genE10ELNS1_11target_archE1201ELNS1_3gpuE5ELNS1_3repE0EEENS1_30default_config_static_selectorELNS0_4arch9wavefront6targetE1EEEvT1_
		.amdhsa_group_segment_fixed_size 0
		.amdhsa_private_segment_fixed_size 0
		.amdhsa_kernarg_size 112
		.amdhsa_user_sgpr_count 6
		.amdhsa_user_sgpr_private_segment_buffer 1
		.amdhsa_user_sgpr_dispatch_ptr 0
		.amdhsa_user_sgpr_queue_ptr 0
		.amdhsa_user_sgpr_kernarg_segment_ptr 1
		.amdhsa_user_sgpr_dispatch_id 0
		.amdhsa_user_sgpr_flat_scratch_init 0
		.amdhsa_user_sgpr_kernarg_preload_length 0
		.amdhsa_user_sgpr_kernarg_preload_offset 0
		.amdhsa_user_sgpr_private_segment_size 0
		.amdhsa_uses_dynamic_stack 0
		.amdhsa_system_sgpr_private_segment_wavefront_offset 0
		.amdhsa_system_sgpr_workgroup_id_x 1
		.amdhsa_system_sgpr_workgroup_id_y 0
		.amdhsa_system_sgpr_workgroup_id_z 0
		.amdhsa_system_sgpr_workgroup_info 0
		.amdhsa_system_vgpr_workitem_id 0
		.amdhsa_next_free_vgpr 1
		.amdhsa_next_free_sgpr 0
		.amdhsa_accum_offset 4
		.amdhsa_reserve_vcc 0
		.amdhsa_reserve_flat_scratch 0
		.amdhsa_float_round_mode_32 0
		.amdhsa_float_round_mode_16_64 0
		.amdhsa_float_denorm_mode_32 3
		.amdhsa_float_denorm_mode_16_64 3
		.amdhsa_dx10_clamp 1
		.amdhsa_ieee_mode 1
		.amdhsa_fp16_overflow 0
		.amdhsa_tg_split 0
		.amdhsa_exception_fp_ieee_invalid_op 0
		.amdhsa_exception_fp_denorm_src 0
		.amdhsa_exception_fp_ieee_div_zero 0
		.amdhsa_exception_fp_ieee_overflow 0
		.amdhsa_exception_fp_ieee_underflow 0
		.amdhsa_exception_fp_ieee_inexact 0
		.amdhsa_exception_int_div_zero 0
	.end_amdhsa_kernel
	.section	.text._ZN7rocprim17ROCPRIM_400000_NS6detail17trampoline_kernelINS0_14default_configENS1_27scan_by_key_config_selectorIiiEEZZNS1_16scan_by_key_implILNS1_25lookback_scan_determinismE0ELb0ES3_N6thrust23THRUST_200600_302600_NS6detail15normal_iteratorINS9_10device_ptrIiEEEESE_SE_iNS9_4plusIvEENS9_8equal_toIvEEiEE10hipError_tPvRmT2_T3_T4_T5_mT6_T7_P12ihipStream_tbENKUlT_T0_E_clISt17integral_constantIbLb1EESZ_EEDaSU_SV_EUlSU_E_NS1_11comp_targetILNS1_3genE10ELNS1_11target_archE1201ELNS1_3gpuE5ELNS1_3repE0EEENS1_30default_config_static_selectorELNS0_4arch9wavefront6targetE1EEEvT1_,"axG",@progbits,_ZN7rocprim17ROCPRIM_400000_NS6detail17trampoline_kernelINS0_14default_configENS1_27scan_by_key_config_selectorIiiEEZZNS1_16scan_by_key_implILNS1_25lookback_scan_determinismE0ELb0ES3_N6thrust23THRUST_200600_302600_NS6detail15normal_iteratorINS9_10device_ptrIiEEEESE_SE_iNS9_4plusIvEENS9_8equal_toIvEEiEE10hipError_tPvRmT2_T3_T4_T5_mT6_T7_P12ihipStream_tbENKUlT_T0_E_clISt17integral_constantIbLb1EESZ_EEDaSU_SV_EUlSU_E_NS1_11comp_targetILNS1_3genE10ELNS1_11target_archE1201ELNS1_3gpuE5ELNS1_3repE0EEENS1_30default_config_static_selectorELNS0_4arch9wavefront6targetE1EEEvT1_,comdat
.Lfunc_end15:
	.size	_ZN7rocprim17ROCPRIM_400000_NS6detail17trampoline_kernelINS0_14default_configENS1_27scan_by_key_config_selectorIiiEEZZNS1_16scan_by_key_implILNS1_25lookback_scan_determinismE0ELb0ES3_N6thrust23THRUST_200600_302600_NS6detail15normal_iteratorINS9_10device_ptrIiEEEESE_SE_iNS9_4plusIvEENS9_8equal_toIvEEiEE10hipError_tPvRmT2_T3_T4_T5_mT6_T7_P12ihipStream_tbENKUlT_T0_E_clISt17integral_constantIbLb1EESZ_EEDaSU_SV_EUlSU_E_NS1_11comp_targetILNS1_3genE10ELNS1_11target_archE1201ELNS1_3gpuE5ELNS1_3repE0EEENS1_30default_config_static_selectorELNS0_4arch9wavefront6targetE1EEEvT1_, .Lfunc_end15-_ZN7rocprim17ROCPRIM_400000_NS6detail17trampoline_kernelINS0_14default_configENS1_27scan_by_key_config_selectorIiiEEZZNS1_16scan_by_key_implILNS1_25lookback_scan_determinismE0ELb0ES3_N6thrust23THRUST_200600_302600_NS6detail15normal_iteratorINS9_10device_ptrIiEEEESE_SE_iNS9_4plusIvEENS9_8equal_toIvEEiEE10hipError_tPvRmT2_T3_T4_T5_mT6_T7_P12ihipStream_tbENKUlT_T0_E_clISt17integral_constantIbLb1EESZ_EEDaSU_SV_EUlSU_E_NS1_11comp_targetILNS1_3genE10ELNS1_11target_archE1201ELNS1_3gpuE5ELNS1_3repE0EEENS1_30default_config_static_selectorELNS0_4arch9wavefront6targetE1EEEvT1_
                                        ; -- End function
	.section	.AMDGPU.csdata,"",@progbits
; Kernel info:
; codeLenInByte = 0
; NumSgprs: 4
; NumVgprs: 0
; NumAgprs: 0
; TotalNumVgprs: 0
; ScratchSize: 0
; MemoryBound: 0
; FloatMode: 240
; IeeeMode: 1
; LDSByteSize: 0 bytes/workgroup (compile time only)
; SGPRBlocks: 0
; VGPRBlocks: 0
; NumSGPRsForWavesPerEU: 4
; NumVGPRsForWavesPerEU: 1
; AccumOffset: 4
; Occupancy: 8
; WaveLimiterHint : 0
; COMPUTE_PGM_RSRC2:SCRATCH_EN: 0
; COMPUTE_PGM_RSRC2:USER_SGPR: 6
; COMPUTE_PGM_RSRC2:TRAP_HANDLER: 0
; COMPUTE_PGM_RSRC2:TGID_X_EN: 1
; COMPUTE_PGM_RSRC2:TGID_Y_EN: 0
; COMPUTE_PGM_RSRC2:TGID_Z_EN: 0
; COMPUTE_PGM_RSRC2:TIDIG_COMP_CNT: 0
; COMPUTE_PGM_RSRC3_GFX90A:ACCUM_OFFSET: 0
; COMPUTE_PGM_RSRC3_GFX90A:TG_SPLIT: 0
	.section	.text._ZN7rocprim17ROCPRIM_400000_NS6detail17trampoline_kernelINS0_14default_configENS1_27scan_by_key_config_selectorIiiEEZZNS1_16scan_by_key_implILNS1_25lookback_scan_determinismE0ELb0ES3_N6thrust23THRUST_200600_302600_NS6detail15normal_iteratorINS9_10device_ptrIiEEEESE_SE_iNS9_4plusIvEENS9_8equal_toIvEEiEE10hipError_tPvRmT2_T3_T4_T5_mT6_T7_P12ihipStream_tbENKUlT_T0_E_clISt17integral_constantIbLb1EESZ_EEDaSU_SV_EUlSU_E_NS1_11comp_targetILNS1_3genE5ELNS1_11target_archE942ELNS1_3gpuE9ELNS1_3repE0EEENS1_30default_config_static_selectorELNS0_4arch9wavefront6targetE1EEEvT1_,"axG",@progbits,_ZN7rocprim17ROCPRIM_400000_NS6detail17trampoline_kernelINS0_14default_configENS1_27scan_by_key_config_selectorIiiEEZZNS1_16scan_by_key_implILNS1_25lookback_scan_determinismE0ELb0ES3_N6thrust23THRUST_200600_302600_NS6detail15normal_iteratorINS9_10device_ptrIiEEEESE_SE_iNS9_4plusIvEENS9_8equal_toIvEEiEE10hipError_tPvRmT2_T3_T4_T5_mT6_T7_P12ihipStream_tbENKUlT_T0_E_clISt17integral_constantIbLb1EESZ_EEDaSU_SV_EUlSU_E_NS1_11comp_targetILNS1_3genE5ELNS1_11target_archE942ELNS1_3gpuE9ELNS1_3repE0EEENS1_30default_config_static_selectorELNS0_4arch9wavefront6targetE1EEEvT1_,comdat
	.protected	_ZN7rocprim17ROCPRIM_400000_NS6detail17trampoline_kernelINS0_14default_configENS1_27scan_by_key_config_selectorIiiEEZZNS1_16scan_by_key_implILNS1_25lookback_scan_determinismE0ELb0ES3_N6thrust23THRUST_200600_302600_NS6detail15normal_iteratorINS9_10device_ptrIiEEEESE_SE_iNS9_4plusIvEENS9_8equal_toIvEEiEE10hipError_tPvRmT2_T3_T4_T5_mT6_T7_P12ihipStream_tbENKUlT_T0_E_clISt17integral_constantIbLb1EESZ_EEDaSU_SV_EUlSU_E_NS1_11comp_targetILNS1_3genE5ELNS1_11target_archE942ELNS1_3gpuE9ELNS1_3repE0EEENS1_30default_config_static_selectorELNS0_4arch9wavefront6targetE1EEEvT1_ ; -- Begin function _ZN7rocprim17ROCPRIM_400000_NS6detail17trampoline_kernelINS0_14default_configENS1_27scan_by_key_config_selectorIiiEEZZNS1_16scan_by_key_implILNS1_25lookback_scan_determinismE0ELb0ES3_N6thrust23THRUST_200600_302600_NS6detail15normal_iteratorINS9_10device_ptrIiEEEESE_SE_iNS9_4plusIvEENS9_8equal_toIvEEiEE10hipError_tPvRmT2_T3_T4_T5_mT6_T7_P12ihipStream_tbENKUlT_T0_E_clISt17integral_constantIbLb1EESZ_EEDaSU_SV_EUlSU_E_NS1_11comp_targetILNS1_3genE5ELNS1_11target_archE942ELNS1_3gpuE9ELNS1_3repE0EEENS1_30default_config_static_selectorELNS0_4arch9wavefront6targetE1EEEvT1_
	.globl	_ZN7rocprim17ROCPRIM_400000_NS6detail17trampoline_kernelINS0_14default_configENS1_27scan_by_key_config_selectorIiiEEZZNS1_16scan_by_key_implILNS1_25lookback_scan_determinismE0ELb0ES3_N6thrust23THRUST_200600_302600_NS6detail15normal_iteratorINS9_10device_ptrIiEEEESE_SE_iNS9_4plusIvEENS9_8equal_toIvEEiEE10hipError_tPvRmT2_T3_T4_T5_mT6_T7_P12ihipStream_tbENKUlT_T0_E_clISt17integral_constantIbLb1EESZ_EEDaSU_SV_EUlSU_E_NS1_11comp_targetILNS1_3genE5ELNS1_11target_archE942ELNS1_3gpuE9ELNS1_3repE0EEENS1_30default_config_static_selectorELNS0_4arch9wavefront6targetE1EEEvT1_
	.p2align	8
	.type	_ZN7rocprim17ROCPRIM_400000_NS6detail17trampoline_kernelINS0_14default_configENS1_27scan_by_key_config_selectorIiiEEZZNS1_16scan_by_key_implILNS1_25lookback_scan_determinismE0ELb0ES3_N6thrust23THRUST_200600_302600_NS6detail15normal_iteratorINS9_10device_ptrIiEEEESE_SE_iNS9_4plusIvEENS9_8equal_toIvEEiEE10hipError_tPvRmT2_T3_T4_T5_mT6_T7_P12ihipStream_tbENKUlT_T0_E_clISt17integral_constantIbLb1EESZ_EEDaSU_SV_EUlSU_E_NS1_11comp_targetILNS1_3genE5ELNS1_11target_archE942ELNS1_3gpuE9ELNS1_3repE0EEENS1_30default_config_static_selectorELNS0_4arch9wavefront6targetE1EEEvT1_,@function
_ZN7rocprim17ROCPRIM_400000_NS6detail17trampoline_kernelINS0_14default_configENS1_27scan_by_key_config_selectorIiiEEZZNS1_16scan_by_key_implILNS1_25lookback_scan_determinismE0ELb0ES3_N6thrust23THRUST_200600_302600_NS6detail15normal_iteratorINS9_10device_ptrIiEEEESE_SE_iNS9_4plusIvEENS9_8equal_toIvEEiEE10hipError_tPvRmT2_T3_T4_T5_mT6_T7_P12ihipStream_tbENKUlT_T0_E_clISt17integral_constantIbLb1EESZ_EEDaSU_SV_EUlSU_E_NS1_11comp_targetILNS1_3genE5ELNS1_11target_archE942ELNS1_3gpuE9ELNS1_3repE0EEENS1_30default_config_static_selectorELNS0_4arch9wavefront6targetE1EEEvT1_: ; @_ZN7rocprim17ROCPRIM_400000_NS6detail17trampoline_kernelINS0_14default_configENS1_27scan_by_key_config_selectorIiiEEZZNS1_16scan_by_key_implILNS1_25lookback_scan_determinismE0ELb0ES3_N6thrust23THRUST_200600_302600_NS6detail15normal_iteratorINS9_10device_ptrIiEEEESE_SE_iNS9_4plusIvEENS9_8equal_toIvEEiEE10hipError_tPvRmT2_T3_T4_T5_mT6_T7_P12ihipStream_tbENKUlT_T0_E_clISt17integral_constantIbLb1EESZ_EEDaSU_SV_EUlSU_E_NS1_11comp_targetILNS1_3genE5ELNS1_11target_archE942ELNS1_3gpuE9ELNS1_3repE0EEENS1_30default_config_static_selectorELNS0_4arch9wavefront6targetE1EEEvT1_
; %bb.0:
	.section	.rodata,"a",@progbits
	.p2align	6, 0x0
	.amdhsa_kernel _ZN7rocprim17ROCPRIM_400000_NS6detail17trampoline_kernelINS0_14default_configENS1_27scan_by_key_config_selectorIiiEEZZNS1_16scan_by_key_implILNS1_25lookback_scan_determinismE0ELb0ES3_N6thrust23THRUST_200600_302600_NS6detail15normal_iteratorINS9_10device_ptrIiEEEESE_SE_iNS9_4plusIvEENS9_8equal_toIvEEiEE10hipError_tPvRmT2_T3_T4_T5_mT6_T7_P12ihipStream_tbENKUlT_T0_E_clISt17integral_constantIbLb1EESZ_EEDaSU_SV_EUlSU_E_NS1_11comp_targetILNS1_3genE5ELNS1_11target_archE942ELNS1_3gpuE9ELNS1_3repE0EEENS1_30default_config_static_selectorELNS0_4arch9wavefront6targetE1EEEvT1_
		.amdhsa_group_segment_fixed_size 0
		.amdhsa_private_segment_fixed_size 0
		.amdhsa_kernarg_size 112
		.amdhsa_user_sgpr_count 6
		.amdhsa_user_sgpr_private_segment_buffer 1
		.amdhsa_user_sgpr_dispatch_ptr 0
		.amdhsa_user_sgpr_queue_ptr 0
		.amdhsa_user_sgpr_kernarg_segment_ptr 1
		.amdhsa_user_sgpr_dispatch_id 0
		.amdhsa_user_sgpr_flat_scratch_init 0
		.amdhsa_user_sgpr_kernarg_preload_length 0
		.amdhsa_user_sgpr_kernarg_preload_offset 0
		.amdhsa_user_sgpr_private_segment_size 0
		.amdhsa_uses_dynamic_stack 0
		.amdhsa_system_sgpr_private_segment_wavefront_offset 0
		.amdhsa_system_sgpr_workgroup_id_x 1
		.amdhsa_system_sgpr_workgroup_id_y 0
		.amdhsa_system_sgpr_workgroup_id_z 0
		.amdhsa_system_sgpr_workgroup_info 0
		.amdhsa_system_vgpr_workitem_id 0
		.amdhsa_next_free_vgpr 1
		.amdhsa_next_free_sgpr 0
		.amdhsa_accum_offset 4
		.amdhsa_reserve_vcc 0
		.amdhsa_reserve_flat_scratch 0
		.amdhsa_float_round_mode_32 0
		.amdhsa_float_round_mode_16_64 0
		.amdhsa_float_denorm_mode_32 3
		.amdhsa_float_denorm_mode_16_64 3
		.amdhsa_dx10_clamp 1
		.amdhsa_ieee_mode 1
		.amdhsa_fp16_overflow 0
		.amdhsa_tg_split 0
		.amdhsa_exception_fp_ieee_invalid_op 0
		.amdhsa_exception_fp_denorm_src 0
		.amdhsa_exception_fp_ieee_div_zero 0
		.amdhsa_exception_fp_ieee_overflow 0
		.amdhsa_exception_fp_ieee_underflow 0
		.amdhsa_exception_fp_ieee_inexact 0
		.amdhsa_exception_int_div_zero 0
	.end_amdhsa_kernel
	.section	.text._ZN7rocprim17ROCPRIM_400000_NS6detail17trampoline_kernelINS0_14default_configENS1_27scan_by_key_config_selectorIiiEEZZNS1_16scan_by_key_implILNS1_25lookback_scan_determinismE0ELb0ES3_N6thrust23THRUST_200600_302600_NS6detail15normal_iteratorINS9_10device_ptrIiEEEESE_SE_iNS9_4plusIvEENS9_8equal_toIvEEiEE10hipError_tPvRmT2_T3_T4_T5_mT6_T7_P12ihipStream_tbENKUlT_T0_E_clISt17integral_constantIbLb1EESZ_EEDaSU_SV_EUlSU_E_NS1_11comp_targetILNS1_3genE5ELNS1_11target_archE942ELNS1_3gpuE9ELNS1_3repE0EEENS1_30default_config_static_selectorELNS0_4arch9wavefront6targetE1EEEvT1_,"axG",@progbits,_ZN7rocprim17ROCPRIM_400000_NS6detail17trampoline_kernelINS0_14default_configENS1_27scan_by_key_config_selectorIiiEEZZNS1_16scan_by_key_implILNS1_25lookback_scan_determinismE0ELb0ES3_N6thrust23THRUST_200600_302600_NS6detail15normal_iteratorINS9_10device_ptrIiEEEESE_SE_iNS9_4plusIvEENS9_8equal_toIvEEiEE10hipError_tPvRmT2_T3_T4_T5_mT6_T7_P12ihipStream_tbENKUlT_T0_E_clISt17integral_constantIbLb1EESZ_EEDaSU_SV_EUlSU_E_NS1_11comp_targetILNS1_3genE5ELNS1_11target_archE942ELNS1_3gpuE9ELNS1_3repE0EEENS1_30default_config_static_selectorELNS0_4arch9wavefront6targetE1EEEvT1_,comdat
.Lfunc_end16:
	.size	_ZN7rocprim17ROCPRIM_400000_NS6detail17trampoline_kernelINS0_14default_configENS1_27scan_by_key_config_selectorIiiEEZZNS1_16scan_by_key_implILNS1_25lookback_scan_determinismE0ELb0ES3_N6thrust23THRUST_200600_302600_NS6detail15normal_iteratorINS9_10device_ptrIiEEEESE_SE_iNS9_4plusIvEENS9_8equal_toIvEEiEE10hipError_tPvRmT2_T3_T4_T5_mT6_T7_P12ihipStream_tbENKUlT_T0_E_clISt17integral_constantIbLb1EESZ_EEDaSU_SV_EUlSU_E_NS1_11comp_targetILNS1_3genE5ELNS1_11target_archE942ELNS1_3gpuE9ELNS1_3repE0EEENS1_30default_config_static_selectorELNS0_4arch9wavefront6targetE1EEEvT1_, .Lfunc_end16-_ZN7rocprim17ROCPRIM_400000_NS6detail17trampoline_kernelINS0_14default_configENS1_27scan_by_key_config_selectorIiiEEZZNS1_16scan_by_key_implILNS1_25lookback_scan_determinismE0ELb0ES3_N6thrust23THRUST_200600_302600_NS6detail15normal_iteratorINS9_10device_ptrIiEEEESE_SE_iNS9_4plusIvEENS9_8equal_toIvEEiEE10hipError_tPvRmT2_T3_T4_T5_mT6_T7_P12ihipStream_tbENKUlT_T0_E_clISt17integral_constantIbLb1EESZ_EEDaSU_SV_EUlSU_E_NS1_11comp_targetILNS1_3genE5ELNS1_11target_archE942ELNS1_3gpuE9ELNS1_3repE0EEENS1_30default_config_static_selectorELNS0_4arch9wavefront6targetE1EEEvT1_
                                        ; -- End function
	.section	.AMDGPU.csdata,"",@progbits
; Kernel info:
; codeLenInByte = 0
; NumSgprs: 4
; NumVgprs: 0
; NumAgprs: 0
; TotalNumVgprs: 0
; ScratchSize: 0
; MemoryBound: 0
; FloatMode: 240
; IeeeMode: 1
; LDSByteSize: 0 bytes/workgroup (compile time only)
; SGPRBlocks: 0
; VGPRBlocks: 0
; NumSGPRsForWavesPerEU: 4
; NumVGPRsForWavesPerEU: 1
; AccumOffset: 4
; Occupancy: 8
; WaveLimiterHint : 0
; COMPUTE_PGM_RSRC2:SCRATCH_EN: 0
; COMPUTE_PGM_RSRC2:USER_SGPR: 6
; COMPUTE_PGM_RSRC2:TRAP_HANDLER: 0
; COMPUTE_PGM_RSRC2:TGID_X_EN: 1
; COMPUTE_PGM_RSRC2:TGID_Y_EN: 0
; COMPUTE_PGM_RSRC2:TGID_Z_EN: 0
; COMPUTE_PGM_RSRC2:TIDIG_COMP_CNT: 0
; COMPUTE_PGM_RSRC3_GFX90A:ACCUM_OFFSET: 0
; COMPUTE_PGM_RSRC3_GFX90A:TG_SPLIT: 0
	.section	.text._ZN7rocprim17ROCPRIM_400000_NS6detail17trampoline_kernelINS0_14default_configENS1_27scan_by_key_config_selectorIiiEEZZNS1_16scan_by_key_implILNS1_25lookback_scan_determinismE0ELb0ES3_N6thrust23THRUST_200600_302600_NS6detail15normal_iteratorINS9_10device_ptrIiEEEESE_SE_iNS9_4plusIvEENS9_8equal_toIvEEiEE10hipError_tPvRmT2_T3_T4_T5_mT6_T7_P12ihipStream_tbENKUlT_T0_E_clISt17integral_constantIbLb1EESZ_EEDaSU_SV_EUlSU_E_NS1_11comp_targetILNS1_3genE4ELNS1_11target_archE910ELNS1_3gpuE8ELNS1_3repE0EEENS1_30default_config_static_selectorELNS0_4arch9wavefront6targetE1EEEvT1_,"axG",@progbits,_ZN7rocprim17ROCPRIM_400000_NS6detail17trampoline_kernelINS0_14default_configENS1_27scan_by_key_config_selectorIiiEEZZNS1_16scan_by_key_implILNS1_25lookback_scan_determinismE0ELb0ES3_N6thrust23THRUST_200600_302600_NS6detail15normal_iteratorINS9_10device_ptrIiEEEESE_SE_iNS9_4plusIvEENS9_8equal_toIvEEiEE10hipError_tPvRmT2_T3_T4_T5_mT6_T7_P12ihipStream_tbENKUlT_T0_E_clISt17integral_constantIbLb1EESZ_EEDaSU_SV_EUlSU_E_NS1_11comp_targetILNS1_3genE4ELNS1_11target_archE910ELNS1_3gpuE8ELNS1_3repE0EEENS1_30default_config_static_selectorELNS0_4arch9wavefront6targetE1EEEvT1_,comdat
	.protected	_ZN7rocprim17ROCPRIM_400000_NS6detail17trampoline_kernelINS0_14default_configENS1_27scan_by_key_config_selectorIiiEEZZNS1_16scan_by_key_implILNS1_25lookback_scan_determinismE0ELb0ES3_N6thrust23THRUST_200600_302600_NS6detail15normal_iteratorINS9_10device_ptrIiEEEESE_SE_iNS9_4plusIvEENS9_8equal_toIvEEiEE10hipError_tPvRmT2_T3_T4_T5_mT6_T7_P12ihipStream_tbENKUlT_T0_E_clISt17integral_constantIbLb1EESZ_EEDaSU_SV_EUlSU_E_NS1_11comp_targetILNS1_3genE4ELNS1_11target_archE910ELNS1_3gpuE8ELNS1_3repE0EEENS1_30default_config_static_selectorELNS0_4arch9wavefront6targetE1EEEvT1_ ; -- Begin function _ZN7rocprim17ROCPRIM_400000_NS6detail17trampoline_kernelINS0_14default_configENS1_27scan_by_key_config_selectorIiiEEZZNS1_16scan_by_key_implILNS1_25lookback_scan_determinismE0ELb0ES3_N6thrust23THRUST_200600_302600_NS6detail15normal_iteratorINS9_10device_ptrIiEEEESE_SE_iNS9_4plusIvEENS9_8equal_toIvEEiEE10hipError_tPvRmT2_T3_T4_T5_mT6_T7_P12ihipStream_tbENKUlT_T0_E_clISt17integral_constantIbLb1EESZ_EEDaSU_SV_EUlSU_E_NS1_11comp_targetILNS1_3genE4ELNS1_11target_archE910ELNS1_3gpuE8ELNS1_3repE0EEENS1_30default_config_static_selectorELNS0_4arch9wavefront6targetE1EEEvT1_
	.globl	_ZN7rocprim17ROCPRIM_400000_NS6detail17trampoline_kernelINS0_14default_configENS1_27scan_by_key_config_selectorIiiEEZZNS1_16scan_by_key_implILNS1_25lookback_scan_determinismE0ELb0ES3_N6thrust23THRUST_200600_302600_NS6detail15normal_iteratorINS9_10device_ptrIiEEEESE_SE_iNS9_4plusIvEENS9_8equal_toIvEEiEE10hipError_tPvRmT2_T3_T4_T5_mT6_T7_P12ihipStream_tbENKUlT_T0_E_clISt17integral_constantIbLb1EESZ_EEDaSU_SV_EUlSU_E_NS1_11comp_targetILNS1_3genE4ELNS1_11target_archE910ELNS1_3gpuE8ELNS1_3repE0EEENS1_30default_config_static_selectorELNS0_4arch9wavefront6targetE1EEEvT1_
	.p2align	8
	.type	_ZN7rocprim17ROCPRIM_400000_NS6detail17trampoline_kernelINS0_14default_configENS1_27scan_by_key_config_selectorIiiEEZZNS1_16scan_by_key_implILNS1_25lookback_scan_determinismE0ELb0ES3_N6thrust23THRUST_200600_302600_NS6detail15normal_iteratorINS9_10device_ptrIiEEEESE_SE_iNS9_4plusIvEENS9_8equal_toIvEEiEE10hipError_tPvRmT2_T3_T4_T5_mT6_T7_P12ihipStream_tbENKUlT_T0_E_clISt17integral_constantIbLb1EESZ_EEDaSU_SV_EUlSU_E_NS1_11comp_targetILNS1_3genE4ELNS1_11target_archE910ELNS1_3gpuE8ELNS1_3repE0EEENS1_30default_config_static_selectorELNS0_4arch9wavefront6targetE1EEEvT1_,@function
_ZN7rocprim17ROCPRIM_400000_NS6detail17trampoline_kernelINS0_14default_configENS1_27scan_by_key_config_selectorIiiEEZZNS1_16scan_by_key_implILNS1_25lookback_scan_determinismE0ELb0ES3_N6thrust23THRUST_200600_302600_NS6detail15normal_iteratorINS9_10device_ptrIiEEEESE_SE_iNS9_4plusIvEENS9_8equal_toIvEEiEE10hipError_tPvRmT2_T3_T4_T5_mT6_T7_P12ihipStream_tbENKUlT_T0_E_clISt17integral_constantIbLb1EESZ_EEDaSU_SV_EUlSU_E_NS1_11comp_targetILNS1_3genE4ELNS1_11target_archE910ELNS1_3gpuE8ELNS1_3repE0EEENS1_30default_config_static_selectorELNS0_4arch9wavefront6targetE1EEEvT1_: ; @_ZN7rocprim17ROCPRIM_400000_NS6detail17trampoline_kernelINS0_14default_configENS1_27scan_by_key_config_selectorIiiEEZZNS1_16scan_by_key_implILNS1_25lookback_scan_determinismE0ELb0ES3_N6thrust23THRUST_200600_302600_NS6detail15normal_iteratorINS9_10device_ptrIiEEEESE_SE_iNS9_4plusIvEENS9_8equal_toIvEEiEE10hipError_tPvRmT2_T3_T4_T5_mT6_T7_P12ihipStream_tbENKUlT_T0_E_clISt17integral_constantIbLb1EESZ_EEDaSU_SV_EUlSU_E_NS1_11comp_targetILNS1_3genE4ELNS1_11target_archE910ELNS1_3gpuE8ELNS1_3repE0EEENS1_30default_config_static_selectorELNS0_4arch9wavefront6targetE1EEEvT1_
; %bb.0:
	s_load_dwordx4 s[56:59], s[4:5], 0x28
	s_load_dwordx2 s[60:61], s[4:5], 0x38
	v_cmp_ne_u32_e64 s[36:37], 0, v0
	v_cmp_eq_u32_e64 s[0:1], 0, v0
	s_and_saveexec_b64 s[2:3], s[0:1]
	s_cbranch_execz .LBB17_4
; %bb.1:
	s_mov_b64 s[8:9], exec
	v_mbcnt_lo_u32_b32 v1, s8, 0
	v_mbcnt_hi_u32_b32 v1, s9, v1
	v_cmp_eq_u32_e32 vcc, 0, v1
                                        ; implicit-def: $vgpr2
	s_and_saveexec_b64 s[6:7], vcc
	s_cbranch_execz .LBB17_3
; %bb.2:
	s_load_dwordx2 s[10:11], s[4:5], 0x68
	s_bcnt1_i32_b64 s8, s[8:9]
	v_mov_b32_e32 v2, 0
	v_mov_b32_e32 v3, s8
	s_waitcnt lgkmcnt(0)
	global_atomic_add v2, v2, v3, s[10:11] glc
.LBB17_3:
	s_or_b64 exec, exec, s[6:7]
	s_waitcnt vmcnt(0)
	v_readfirstlane_b32 s6, v2
	v_add_u32_e32 v1, s6, v1
	v_mov_b32_e32 v2, 0
	ds_write_b32 v2, v1
.LBB17_4:
	s_or_b64 exec, exec, s[2:3]
	s_load_dwordx8 s[40:47], s[4:5], 0x0
	s_load_dword s2, s[4:5], 0x40
	s_load_dwordx8 s[48:55], s[4:5], 0x48
	v_mov_b32_e32 v1, 0
	s_waitcnt lgkmcnt(0)
	s_barrier
	ds_read_b32 v1, v1
	s_lshl_b64 s[38:39], s[42:43], 2
	s_add_u32 s4, s40, s38
	s_addc_u32 s5, s41, s39
	s_add_u32 s6, s44, s38
	s_mul_i32 s3, s61, s2
	s_mul_hi_u32 s8, s60, s2
	s_addc_u32 s7, s45, s39
	s_add_i32 s8, s8, s3
	s_waitcnt lgkmcnt(0)
	v_readfirstlane_b32 s59, v1
	s_mul_i32 s9, s60, s2
	s_cmp_lg_u64 s[52:53], 0
	s_mov_b32 s3, 0
	s_mul_i32 s2, s59, 0xe00
	s_cselect_b64 s[44:45], -1, 0
	s_lshl_b64 s[40:41], s[2:3], 2
	s_add_u32 s42, s4, s40
	s_addc_u32 s43, s5, s41
	s_add_u32 s62, s6, s40
	s_addc_u32 s63, s7, s41
	s_add_u32 s52, s9, s59
	s_addc_u32 s53, s8, 0
	s_add_u32 s4, s48, -1
	s_addc_u32 s5, s49, -1
	v_pk_mov_b32 v[2:3], s[4:5], s[4:5] op_sel:[0,1]
	v_cmp_ge_u64_e64 s[2:3], s[52:53], v[2:3]
	s_mov_b64 s[18:19], 0
	s_mov_b64 s[12:13], -1
	s_and_b64 vcc, exec, s[2:3]
	s_mul_i32 s33, s4, 0xfffff200
	s_barrier
	s_barrier
	s_cbranch_vccz .LBB17_81
; %bb.5:
	v_pk_mov_b32 v[2:3], s[42:43], s[42:43] op_sel:[0,1]
	flat_load_dword v1, v[2:3]
	s_add_i32 s64, s33, s58
	v_cmp_gt_u32_e64 s[6:7], s64, v0
	s_waitcnt vmcnt(0) lgkmcnt(0)
	v_mov_b32_e32 v13, v1
	s_and_saveexec_b64 s[4:5], s[6:7]
	s_cbranch_execz .LBB17_7
; %bb.6:
	v_lshlrev_b32_e32 v2, 2, v0
	v_mov_b32_e32 v3, s43
	v_add_co_u32_e32 v2, vcc, s42, v2
	v_addc_co_u32_e32 v3, vcc, 0, v3, vcc
	flat_load_dword v13, v[2:3]
.LBB17_7:
	s_or_b64 exec, exec, s[4:5]
	v_or_b32_e32 v2, 0x100, v0
	v_cmp_gt_u32_e64 s[8:9], s64, v2
	v_mov_b32_e32 v14, v1
	s_and_saveexec_b64 s[4:5], s[8:9]
	s_cbranch_execz .LBB17_9
; %bb.8:
	v_lshlrev_b32_e32 v2, 2, v0
	v_mov_b32_e32 v3, s43
	v_add_co_u32_e32 v2, vcc, s42, v2
	v_addc_co_u32_e32 v3, vcc, 0, v3, vcc
	flat_load_dword v14, v[2:3] offset:1024
.LBB17_9:
	s_or_b64 exec, exec, s[4:5]
	v_or_b32_e32 v2, 0x200, v0
	v_cmp_gt_u32_e64 s[10:11], s64, v2
	v_mov_b32_e32 v15, v1
	s_and_saveexec_b64 s[4:5], s[10:11]
	s_cbranch_execz .LBB17_11
; %bb.10:
	v_lshlrev_b32_e32 v2, 2, v0
	v_mov_b32_e32 v3, s43
	v_add_co_u32_e32 v2, vcc, s42, v2
	v_addc_co_u32_e32 v3, vcc, 0, v3, vcc
	flat_load_dword v15, v[2:3] offset:2048
.LBB17_11:
	;; [unrolled: 13-line block ×3, first 2 shown]
	s_or_b64 exec, exec, s[4:5]
	v_or_b32_e32 v2, 0x400, v0
	v_cmp_gt_u32_e64 s[14:15], s64, v2
	v_mov_b32_e32 v17, v1
	s_and_saveexec_b64 s[4:5], s[14:15]
	s_cbranch_execz .LBB17_15
; %bb.14:
	v_lshlrev_b32_e32 v3, 2, v2
	v_mov_b32_e32 v5, s43
	v_add_co_u32_e32 v4, vcc, s42, v3
	v_addc_co_u32_e32 v5, vcc, 0, v5, vcc
	flat_load_dword v17, v[4:5]
.LBB17_15:
	s_or_b64 exec, exec, s[4:5]
	v_or_b32_e32 v3, 0x500, v0
	v_cmp_gt_u32_e64 s[16:17], s64, v3
	v_mov_b32_e32 v18, v1
	s_and_saveexec_b64 s[4:5], s[16:17]
	s_cbranch_execz .LBB17_17
; %bb.16:
	v_lshlrev_b32_e32 v4, 2, v3
	v_mov_b32_e32 v5, s43
	v_add_co_u32_e32 v4, vcc, s42, v4
	v_addc_co_u32_e32 v5, vcc, 0, v5, vcc
	flat_load_dword v18, v[4:5]
.LBB17_17:
	;; [unrolled: 13-line block ×9, first 2 shown]
	s_or_b64 exec, exec, s[4:5]
	v_or_b32_e32 v11, 0xd00, v0
	v_cmp_gt_u32_e64 s[34:35], s64, v11
	s_and_saveexec_b64 s[4:5], s[34:35]
	s_cbranch_execz .LBB17_33
; %bb.32:
	v_lshlrev_b32_e32 v1, 2, v11
	v_mov_b32_e32 v12, s43
	v_add_co_u32_e32 v26, vcc, s42, v1
	v_addc_co_u32_e32 v27, vcc, 0, v12, vcc
	flat_load_dword v1, v[26:27]
.LBB17_33:
	s_or_b64 exec, exec, s[4:5]
	v_lshlrev_b32_e32 v12, 2, v0
	s_waitcnt vmcnt(0) lgkmcnt(0)
	ds_write2st64_b32 v12, v13, v14 offset1:4
	ds_write2st64_b32 v12, v15, v16 offset0:8 offset1:12
	ds_write2st64_b32 v12, v17, v18 offset0:16 offset1:20
	;; [unrolled: 1-line block ×6, first 2 shown]
	v_mad_u32_u24 v1, v0, 52, v12
	s_waitcnt lgkmcnt(0)
	s_barrier
	ds_read2_b64 v[34:37], v1 offset1:1
	ds_read2_b64 v[30:33], v1 offset0:2 offset1:3
	ds_read2_b64 v[26:29], v1 offset0:4 offset1:5
	ds_read_b64 v[40:41], v1 offset:48
	s_cmp_eq_u64 s[52:53], 0
	s_mov_b64 s[4:5], s[42:43]
	s_cbranch_scc1 .LBB17_37
; %bb.34:
	s_andn2_b64 vcc, exec, s[44:45]
	s_cbranch_vccnz .LBB17_187
; %bb.35:
	s_lshl_b64 s[4:5], s[52:53], 2
	s_add_u32 s4, s54, s4
	s_addc_u32 s5, s55, s5
	s_add_u32 s4, s4, -4
	s_addc_u32 s5, s5, -1
	s_cbranch_execnz .LBB17_37
.LBB17_36:
	s_add_u32 s4, s42, -4
	s_addc_u32 s5, s43, -1
.LBB17_37:
	v_pk_mov_b32 v[14:15], s[4:5], s[4:5] op_sel:[0,1]
	flat_load_dword v44, v[14:15]
	s_movk_i32 s4, 0xffcc
	v_mad_i32_i24 v13, v0, s4, v1
	s_waitcnt lgkmcnt(0)
	ds_write_b32 v13, v41 offset:14336
	s_waitcnt lgkmcnt(0)
	s_barrier
	s_and_saveexec_b64 s[4:5], s[36:37]
	s_cbranch_execz .LBB17_39
; %bb.38:
	v_mul_i32_i24_e32 v13, 0xffffffcc, v0
	v_add_u32_e32 v13, v1, v13
	s_waitcnt vmcnt(0)
	ds_read_b32 v44, v13 offset:14332
.LBB17_39:
	s_or_b64 exec, exec, s[4:5]
	s_waitcnt lgkmcnt(0)
	s_barrier
	s_waitcnt lgkmcnt(0)
                                        ; implicit-def: $vgpr13
	s_and_saveexec_b64 s[4:5], s[6:7]
	s_cbranch_execnz .LBB17_174
; %bb.40:
	s_or_b64 exec, exec, s[4:5]
                                        ; implicit-def: $vgpr14
	s_and_saveexec_b64 s[4:5], s[8:9]
	s_cbranch_execnz .LBB17_175
.LBB17_41:
	s_or_b64 exec, exec, s[4:5]
                                        ; implicit-def: $vgpr15
	s_and_saveexec_b64 s[4:5], s[10:11]
	s_cbranch_execnz .LBB17_176
.LBB17_42:
	s_or_b64 exec, exec, s[4:5]
                                        ; implicit-def: $vgpr16
	s_and_saveexec_b64 s[4:5], s[12:13]
	s_cbranch_execnz .LBB17_177
.LBB17_43:
	s_or_b64 exec, exec, s[4:5]
                                        ; implicit-def: $vgpr17
	s_and_saveexec_b64 s[4:5], s[14:15]
	s_cbranch_execnz .LBB17_178
.LBB17_44:
	s_or_b64 exec, exec, s[4:5]
                                        ; implicit-def: $vgpr2
	s_and_saveexec_b64 s[4:5], s[16:17]
	s_cbranch_execnz .LBB17_179
.LBB17_45:
	s_or_b64 exec, exec, s[4:5]
                                        ; implicit-def: $vgpr3
	s_and_saveexec_b64 s[4:5], s[18:19]
	s_cbranch_execnz .LBB17_180
.LBB17_46:
	s_or_b64 exec, exec, s[4:5]
                                        ; implicit-def: $vgpr4
	s_and_saveexec_b64 s[4:5], s[20:21]
	s_cbranch_execnz .LBB17_181
.LBB17_47:
	s_or_b64 exec, exec, s[4:5]
                                        ; implicit-def: $vgpr5
	s_and_saveexec_b64 s[4:5], s[22:23]
	s_cbranch_execnz .LBB17_182
.LBB17_48:
	s_or_b64 exec, exec, s[4:5]
                                        ; implicit-def: $vgpr6
	s_and_saveexec_b64 s[4:5], s[24:25]
	s_cbranch_execnz .LBB17_183
.LBB17_49:
	s_or_b64 exec, exec, s[4:5]
                                        ; implicit-def: $vgpr7
	s_and_saveexec_b64 s[4:5], s[26:27]
	s_cbranch_execnz .LBB17_184
.LBB17_50:
	s_or_b64 exec, exec, s[4:5]
                                        ; implicit-def: $vgpr8
	s_and_saveexec_b64 s[4:5], s[28:29]
	s_cbranch_execnz .LBB17_185
.LBB17_51:
	s_or_b64 exec, exec, s[4:5]
                                        ; implicit-def: $vgpr9
	s_and_saveexec_b64 s[4:5], s[30:31]
	s_cbranch_execnz .LBB17_186
.LBB17_52:
	s_or_b64 exec, exec, s[4:5]
                                        ; implicit-def: $vgpr10
	s_and_saveexec_b64 s[4:5], s[34:35]
	s_cbranch_execz .LBB17_54
.LBB17_53:
	v_lshlrev_b32_e32 v10, 2, v11
	v_mov_b32_e32 v11, s63
	v_add_co_u32_e32 v10, vcc, s62, v10
	v_addc_co_u32_e32 v11, vcc, 0, v11, vcc
	flat_load_dword v10, v[10:11]
.LBB17_54:
	s_or_b64 exec, exec, s[4:5]
	s_mov_b32 s4, 0
	s_mov_b32 s5, s4
	s_waitcnt vmcnt(0) lgkmcnt(0)
	ds_write2st64_b32 v12, v13, v14 offset1:4
	ds_write2st64_b32 v12, v15, v16 offset0:8 offset1:12
	ds_write2st64_b32 v12, v17, v2 offset0:16 offset1:20
	;; [unrolled: 1-line block ×6, first 2 shown]
	s_mov_b32 s6, s4
	s_mov_b32 s7, s4
	;; [unrolled: 1-line block ×6, first 2 shown]
	v_pk_mov_b32 v[2:3], s[4:5], s[4:5] op_sel:[0,1]
	v_pk_mov_b32 v[8:9], s[10:11], s[10:11] op_sel:[0,1]
	v_mul_u32_u24_e32 v42, 14, v0
	v_pk_mov_b32 v[4:5], s[6:7], s[6:7] op_sel:[0,1]
	v_pk_mov_b32 v[6:7], s[8:9], s[8:9] op_sel:[0,1]
	;; [unrolled: 1-line block ×4, first 2 shown]
	v_cmp_gt_u32_e32 vcc, s64, v42
	s_mov_b64 s[12:13], 0
	v_pk_mov_b32 v[38:39], 0, 0
	s_mov_b64 s[18:19], 0
	v_pk_mov_b32 v[14:15], v[6:7], v[6:7] op_sel:[0,1]
	v_pk_mov_b32 v[12:13], v[4:5], v[4:5] op_sel:[0,1]
	;; [unrolled: 1-line block ×6, first 2 shown]
	s_waitcnt lgkmcnt(0)
	s_barrier
	s_waitcnt lgkmcnt(0)
                                        ; implicit-def: $sgpr16_sgpr17
                                        ; implicit-def: $vgpr43
	s_and_saveexec_b64 s[14:15], vcc
	s_cbranch_execz .LBB17_80
; %bb.55:
	v_or_b32_e32 v2, 1, v42
	ds_read_b32 v38, v1
	v_cmp_ne_u32_e32 vcc, v44, v34
	v_cndmask_b32_e64 v39, 0, 1, vcc
	v_cmp_gt_u32_e32 vcc, s64, v2
	v_pk_mov_b32 v[2:3], s[4:5], s[4:5] op_sel:[0,1]
	v_pk_mov_b32 v[8:9], s[10:11], s[10:11] op_sel:[0,1]
	;; [unrolled: 1-line block ×12, first 2 shown]
                                        ; implicit-def: $sgpr4_sgpr5
                                        ; implicit-def: $vgpr43
	s_and_saveexec_b64 s[16:17], vcc
	s_cbranch_execz .LBB17_79
; %bb.56:
	ds_read2_b32 v[44:45], v1 offset0:1 offset1:2
	s_mov_b32 s4, 0
	s_mov_b32 s10, s4
	;; [unrolled: 1-line block ×8, first 2 shown]
	v_pk_mov_b32 v[16:17], s[10:11], s[10:11] op_sel:[0,1]
	v_add_u32_e32 v2, 2, v42
	v_cmp_ne_u32_e32 vcc, v34, v35
	v_mov_b32_e32 v6, 0
	v_pk_mov_b32 v[14:15], s[8:9], s[8:9] op_sel:[0,1]
	v_pk_mov_b32 v[12:13], s[6:7], s[6:7] op_sel:[0,1]
	;; [unrolled: 1-line block ×4, first 2 shown]
	v_cndmask_b32_e64 v3, 0, 1, vcc
	v_cmp_gt_u32_e32 vcc, s64, v2
	s_waitcnt lgkmcnt(0)
	v_mov_b32_e32 v2, v44
	v_mov_b32_e32 v4, v6
	;; [unrolled: 1-line block ×6, first 2 shown]
	s_mov_b64 s[20:21], 0
	v_pk_mov_b32 v[22:23], v[14:15], v[14:15] op_sel:[0,1]
	v_pk_mov_b32 v[20:21], v[12:13], v[12:13] op_sel:[0,1]
	;; [unrolled: 1-line block ×3, first 2 shown]
                                        ; implicit-def: $sgpr24_sgpr25
                                        ; implicit-def: $vgpr43
	s_and_saveexec_b64 s[18:19], vcc
	s_cbranch_execz .LBB17_78
; %bb.57:
	v_pk_mov_b32 v[16:17], s[10:11], s[10:11] op_sel:[0,1]
	v_add_u32_e32 v2, 3, v42
	v_cmp_ne_u32_e32 vcc, v35, v36
	v_pk_mov_b32 v[14:15], s[8:9], s[8:9] op_sel:[0,1]
	v_pk_mov_b32 v[12:13], s[6:7], s[6:7] op_sel:[0,1]
	;; [unrolled: 1-line block ×4, first 2 shown]
	v_cndmask_b32_e64 v5, 0, 1, vcc
	v_cmp_gt_u32_e32 vcc, s64, v2
	v_mov_b32_e32 v2, v44
	v_mov_b32_e32 v4, v45
	;; [unrolled: 1-line block ×5, first 2 shown]
	s_mov_b64 s[22:23], 0
	v_pk_mov_b32 v[22:23], v[14:15], v[14:15] op_sel:[0,1]
	v_pk_mov_b32 v[20:21], v[12:13], v[12:13] op_sel:[0,1]
	;; [unrolled: 1-line block ×3, first 2 shown]
                                        ; implicit-def: $sgpr4_sgpr5
                                        ; implicit-def: $vgpr43
	s_and_saveexec_b64 s[20:21], vcc
	s_cbranch_execz .LBB17_77
; %bb.58:
	ds_read2_b32 v[34:35], v1 offset0:3 offset1:4
	s_mov_b32 s4, 0
	s_mov_b32 s10, s4
	;; [unrolled: 1-line block ×8, first 2 shown]
	v_pk_mov_b32 v[16:17], s[10:11], s[10:11] op_sel:[0,1]
	v_add_u32_e32 v6, 4, v42
	v_cmp_ne_u32_e32 vcc, v36, v37
	v_pk_mov_b32 v[14:15], s[8:9], s[8:9] op_sel:[0,1]
	v_pk_mov_b32 v[12:13], s[6:7], s[6:7] op_sel:[0,1]
	;; [unrolled: 1-line block ×4, first 2 shown]
	v_cndmask_b32_e64 v7, 0, 1, vcc
	v_cmp_gt_u32_e32 vcc, s64, v6
	s_waitcnt lgkmcnt(0)
	v_mov_b32_e32 v6, v34
	v_mov_b32_e32 v8, s4
	;; [unrolled: 1-line block ×3, first 2 shown]
	s_mov_b64 s[24:25], 0
	v_pk_mov_b32 v[22:23], v[14:15], v[14:15] op_sel:[0,1]
	v_pk_mov_b32 v[20:21], v[12:13], v[12:13] op_sel:[0,1]
	;; [unrolled: 1-line block ×3, first 2 shown]
                                        ; implicit-def: $sgpr26_sgpr27
                                        ; implicit-def: $vgpr43
	s_and_saveexec_b64 s[22:23], vcc
	s_cbranch_execz .LBB17_76
; %bb.59:
	v_pk_mov_b32 v[16:17], s[10:11], s[10:11] op_sel:[0,1]
	v_add_u32_e32 v8, 5, v42
	v_cmp_ne_u32_e32 vcc, v37, v30
	v_pk_mov_b32 v[14:15], s[8:9], s[8:9] op_sel:[0,1]
	v_pk_mov_b32 v[12:13], s[6:7], s[6:7] op_sel:[0,1]
	;; [unrolled: 1-line block ×4, first 2 shown]
	v_cndmask_b32_e64 v9, 0, 1, vcc
	v_cmp_gt_u32_e32 vcc, s64, v8
	v_mov_b32_e32 v8, v35
	s_mov_b64 s[28:29], 0
	v_pk_mov_b32 v[22:23], v[14:15], v[14:15] op_sel:[0,1]
	v_pk_mov_b32 v[20:21], v[12:13], v[12:13] op_sel:[0,1]
	;; [unrolled: 1-line block ×3, first 2 shown]
                                        ; implicit-def: $sgpr4_sgpr5
                                        ; implicit-def: $vgpr43
	s_and_saveexec_b64 s[24:25], vcc
	s_cbranch_execz .LBB17_75
; %bb.60:
	ds_read2_b32 v[34:35], v1 offset0:5 offset1:6
	s_mov_b32 s4, 0
	s_mov_b32 s10, s4
	;; [unrolled: 1-line block ×3, first 2 shown]
	v_add_u32_e32 v10, 6, v42
	v_cmp_ne_u32_e32 vcc, v30, v31
	v_mov_b32_e32 v14, 0
	s_mov_b32 s5, s4
	s_mov_b32 s6, s4
	s_mov_b32 s7, s4
	s_mov_b32 s8, s4
	s_mov_b32 s9, s4
	v_pk_mov_b32 v[24:25], s[10:11], s[10:11] op_sel:[0,1]
	v_cndmask_b32_e64 v11, 0, 1, vcc
	v_cmp_gt_u32_e32 vcc, s64, v10
	s_waitcnt lgkmcnt(0)
	v_mov_b32_e32 v10, v34
	v_mov_b32_e32 v12, v14
	;; [unrolled: 1-line block ×6, first 2 shown]
	v_pk_mov_b32 v[22:23], s[8:9], s[8:9] op_sel:[0,1]
	v_pk_mov_b32 v[20:21], s[6:7], s[6:7] op_sel:[0,1]
	;; [unrolled: 1-line block ×3, first 2 shown]
                                        ; implicit-def: $sgpr34_sgpr35
                                        ; implicit-def: $vgpr43
	s_and_saveexec_b64 s[26:27], vcc
	s_cbranch_execz .LBB17_74
; %bb.61:
	v_add_u32_e32 v10, 7, v42
	v_cmp_ne_u32_e32 vcc, v31, v32
	v_pk_mov_b32 v[24:25], s[10:11], s[10:11] op_sel:[0,1]
	v_cndmask_b32_e64 v13, 0, 1, vcc
	v_cmp_gt_u32_e32 vcc, s64, v10
	v_mov_b32_e32 v10, v34
	v_mov_b32_e32 v12, v35
	;; [unrolled: 1-line block ×5, first 2 shown]
	s_mov_b64 s[30:31], 0
	v_pk_mov_b32 v[22:23], s[8:9], s[8:9] op_sel:[0,1]
	v_pk_mov_b32 v[20:21], s[6:7], s[6:7] op_sel:[0,1]
	;; [unrolled: 1-line block ×3, first 2 shown]
                                        ; implicit-def: $sgpr4_sgpr5
                                        ; implicit-def: $vgpr43
	s_and_saveexec_b64 s[28:29], vcc
	s_cbranch_execz .LBB17_73
; %bb.62:
	ds_read2_b32 v[30:31], v1 offset0:7 offset1:8
	s_mov_b32 s4, 0
	s_mov_b32 s10, s4
	;; [unrolled: 1-line block ×3, first 2 shown]
	v_add_u32_e32 v14, 8, v42
	v_cmp_ne_u32_e32 vcc, v32, v33
	s_mov_b32 s5, s4
	s_mov_b32 s6, s4
	;; [unrolled: 1-line block ×5, first 2 shown]
	v_pk_mov_b32 v[24:25], s[10:11], s[10:11] op_sel:[0,1]
	v_cndmask_b32_e64 v15, 0, 1, vcc
	v_cmp_gt_u32_e32 vcc, s64, v14
	s_waitcnt lgkmcnt(0)
	v_mov_b32_e32 v14, v30
	v_mov_b32_e32 v16, s4
	;; [unrolled: 1-line block ×3, first 2 shown]
	s_mov_b64 s[34:35], 0
	v_pk_mov_b32 v[22:23], s[8:9], s[8:9] op_sel:[0,1]
	v_pk_mov_b32 v[20:21], s[6:7], s[6:7] op_sel:[0,1]
	;; [unrolled: 1-line block ×3, first 2 shown]
                                        ; implicit-def: $sgpr48_sgpr49
                                        ; implicit-def: $vgpr43
	s_and_saveexec_b64 s[30:31], vcc
	s_cbranch_execz .LBB17_72
; %bb.63:
	v_add_u32_e32 v16, 9, v42
	v_cmp_ne_u32_e32 vcc, v33, v26
	v_pk_mov_b32 v[24:25], s[10:11], s[10:11] op_sel:[0,1]
	v_cndmask_b32_e64 v17, 0, 1, vcc
	v_cmp_gt_u32_e32 vcc, s64, v16
	v_mov_b32_e32 v16, v31
	v_pk_mov_b32 v[22:23], s[8:9], s[8:9] op_sel:[0,1]
	v_pk_mov_b32 v[20:21], s[6:7], s[6:7] op_sel:[0,1]
	;; [unrolled: 1-line block ×3, first 2 shown]
                                        ; implicit-def: $sgpr8_sgpr9
                                        ; implicit-def: $vgpr43
	s_and_saveexec_b64 s[6:7], vcc
	s_cbranch_execz .LBB17_71
; %bb.64:
	ds_read2_b32 v[30:31], v1 offset0:9 offset1:10
	v_add_u32_e32 v18, 10, v42
	v_cmp_ne_u32_e32 vcc, v26, v27
	v_mov_b32_e32 v22, 0
	v_cndmask_b32_e64 v19, 0, 1, vcc
	v_cmp_gt_u32_e32 vcc, s64, v18
	s_waitcnt lgkmcnt(0)
	v_mov_b32_e32 v18, v30
	v_mov_b32_e32 v20, v22
	;; [unrolled: 1-line block ×6, first 2 shown]
	s_mov_b64 s[4:5], 0
                                        ; implicit-def: $sgpr10_sgpr11
                                        ; implicit-def: $vgpr43
	s_and_saveexec_b64 s[8:9], vcc
	s_cbranch_execz .LBB17_70
; %bb.65:
	v_add_u32_e32 v18, 11, v42
	v_cmp_ne_u32_e32 vcc, v27, v28
	v_cndmask_b32_e64 v21, 0, 1, vcc
	v_cmp_gt_u32_e32 vcc, s64, v18
	s_mov_b32 s48, 0
	v_mov_b32_e32 v18, v30
	v_mov_b32_e32 v20, v31
	;; [unrolled: 1-line block ×5, first 2 shown]
                                        ; implicit-def: $sgpr34_sgpr35
                                        ; implicit-def: $vgpr43
	s_and_saveexec_b64 s[10:11], vcc
	s_cbranch_execz .LBB17_69
; %bb.66:
	ds_read2_b32 v[26:27], v1 offset0:11 offset1:12
	v_add_u32_e32 v22, 12, v42
	v_cmp_ne_u32_e32 vcc, v28, v29
	v_cndmask_b32_e64 v23, 0, 1, vcc
	v_cmp_gt_u32_e32 vcc, s64, v22
	s_waitcnt lgkmcnt(0)
	v_mov_b32_e32 v22, v26
	v_mov_b32_e32 v24, s48
	;; [unrolled: 1-line block ×3, first 2 shown]
                                        ; implicit-def: $sgpr34_sgpr35
                                        ; implicit-def: $vgpr43
	s_and_saveexec_b64 s[48:49], vcc
	s_xor_b64 s[48:49], exec, s[48:49]
	s_cbranch_execz .LBB17_68
; %bb.67:
	ds_read_b32 v43, v1 offset:52
	v_add_u32_e32 v1, 13, v42
	v_cmp_ne_u32_e64 s[4:5], v29, v40
	v_cmp_ne_u32_e32 vcc, v40, v41
	v_cndmask_b32_e64 v25, 0, 1, s[4:5]
	v_cmp_gt_u32_e64 s[4:5], s64, v1
	v_mov_b32_e32 v24, v27
	s_and_b64 s[34:35], vcc, exec
	s_and_b64 s[4:5], s[4:5], exec
.LBB17_68:
	s_or_b64 exec, exec, s[48:49]
	s_and_b64 s[34:35], s[34:35], exec
	s_and_b64 s[4:5], s[4:5], exec
.LBB17_69:
	s_or_b64 exec, exec, s[10:11]
	s_and_b64 s[10:11], s[34:35], exec
	s_and_b64 s[4:5], s[4:5], exec
.LBB17_70:
	s_or_b64 exec, exec, s[8:9]
	s_and_b64 s[8:9], s[10:11], exec
	s_and_b64 s[34:35], s[4:5], exec
.LBB17_71:
	s_or_b64 exec, exec, s[6:7]
	s_and_b64 s[48:49], s[8:9], exec
	s_and_b64 s[34:35], s[34:35], exec
.LBB17_72:
	s_or_b64 exec, exec, s[30:31]
	s_and_b64 s[4:5], s[48:49], exec
	s_and_b64 s[30:31], s[34:35], exec
.LBB17_73:
	s_or_b64 exec, exec, s[28:29]
	s_and_b64 s[34:35], s[4:5], exec
	s_and_b64 s[28:29], s[30:31], exec
.LBB17_74:
	s_or_b64 exec, exec, s[26:27]
	s_and_b64 s[4:5], s[34:35], exec
	s_and_b64 s[28:29], s[28:29], exec
.LBB17_75:
	s_or_b64 exec, exec, s[24:25]
	s_and_b64 s[26:27], s[4:5], exec
	s_and_b64 s[24:25], s[28:29], exec
.LBB17_76:
	s_or_b64 exec, exec, s[22:23]
	s_and_b64 s[4:5], s[26:27], exec
	s_and_b64 s[22:23], s[24:25], exec
.LBB17_77:
	s_or_b64 exec, exec, s[20:21]
	s_and_b64 s[24:25], s[4:5], exec
	s_and_b64 s[20:21], s[22:23], exec
.LBB17_78:
	s_or_b64 exec, exec, s[18:19]
	s_and_b64 s[4:5], s[24:25], exec
	s_and_b64 s[18:19], s[20:21], exec
.LBB17_79:
	s_or_b64 exec, exec, s[16:17]
	s_and_b64 s[16:17], s[4:5], exec
	s_and_b64 s[18:19], s[18:19], exec
.LBB17_80:
	s_or_b64 exec, exec, s[14:15]
	s_and_b64 vcc, exec, s[12:13]
	v_lshlrev_b32_e32 v50, 2, v0
	s_cbranch_vccnz .LBB17_82
	s_branch .LBB17_90
.LBB17_81:
                                        ; implicit-def: $sgpr16_sgpr17
                                        ; implicit-def: $vgpr2_vgpr3_vgpr4_vgpr5_vgpr6_vgpr7_vgpr8_vgpr9
                                        ; implicit-def: $vgpr10_vgpr11_vgpr12_vgpr13_vgpr14_vgpr15_vgpr16_vgpr17
                                        ; implicit-def: $vgpr18_vgpr19_vgpr20_vgpr21_vgpr22_vgpr23_vgpr24_vgpr25
                                        ; implicit-def: $vgpr43
                                        ; implicit-def: $vgpr38_vgpr39
	s_and_b64 vcc, exec, s[12:13]
	v_lshlrev_b32_e32 v50, 2, v0
	s_cbranch_vccz .LBB17_90
.LBB17_82:
	v_mov_b32_e32 v1, s43
	v_add_co_u32_e32 v2, vcc, s42, v50
	v_addc_co_u32_e32 v3, vcc, 0, v1, vcc
	v_add_co_u32_e32 v4, vcc, 0x1000, v2
	v_addc_co_u32_e32 v5, vcc, 0, v3, vcc
	flat_load_dword v6, v[2:3]
	flat_load_dword v7, v[2:3] offset:1024
	flat_load_dword v8, v[2:3] offset:2048
	;; [unrolled: 1-line block ×3, first 2 shown]
	flat_load_dword v10, v[4:5]
	flat_load_dword v11, v[4:5] offset:1024
	flat_load_dword v12, v[4:5] offset:2048
	;; [unrolled: 1-line block ×3, first 2 shown]
	v_add_co_u32_e32 v4, vcc, 0x2000, v2
	v_addc_co_u32_e32 v5, vcc, 0, v3, vcc
	v_add_co_u32_e32 v2, vcc, 0x3000, v2
	v_addc_co_u32_e32 v3, vcc, 0, v3, vcc
	flat_load_dword v14, v[4:5]
	flat_load_dword v15, v[4:5] offset:1024
	flat_load_dword v16, v[4:5] offset:2048
	flat_load_dword v17, v[4:5] offset:3072
	flat_load_dword v18, v[2:3]
	flat_load_dword v19, v[2:3] offset:1024
	v_mad_u32_u24 v1, v0, 52, v50
	s_cmp_eq_u64 s[52:53], 0
	s_waitcnt vmcnt(0) lgkmcnt(0)
	ds_write2st64_b32 v50, v6, v7 offset1:4
	ds_write2st64_b32 v50, v8, v9 offset0:8 offset1:12
	ds_write2st64_b32 v50, v10, v11 offset0:16 offset1:20
	;; [unrolled: 1-line block ×6, first 2 shown]
	s_waitcnt lgkmcnt(0)
	s_barrier
	ds_read2_b64 v[2:5], v1 offset1:1
	ds_read2_b64 v[10:13], v1 offset0:2 offset1:3
	ds_read2_b64 v[18:21], v1 offset0:4 offset1:5
	ds_read_b64 v[6:7], v1 offset:48
	s_cbranch_scc1 .LBB17_87
; %bb.83:
	s_andn2_b64 vcc, exec, s[44:45]
	s_cbranch_vccnz .LBB17_188
; %bb.84:
	s_lshl_b64 s[4:5], s[52:53], 2
	s_add_u32 s4, s54, s4
	s_addc_u32 s5, s55, s5
	s_add_u32 s4, s4, -4
	s_addc_u32 s5, s5, -1
	s_cbranch_execnz .LBB17_86
.LBB17_85:
	s_add_u32 s4, s42, -4
	s_addc_u32 s5, s43, -1
.LBB17_86:
	s_mov_b64 s[42:43], s[4:5]
.LBB17_87:
	v_pk_mov_b32 v[8:9], s[42:43], s[42:43] op_sel:[0,1]
	flat_load_dword v8, v[8:9]
	s_movk_i32 s4, 0xffcc
	v_mad_i32_i24 v9, v0, s4, v1
	s_waitcnt lgkmcnt(0)
	ds_write_b32 v9, v7 offset:14336
	s_waitcnt lgkmcnt(0)
	s_barrier
	s_and_saveexec_b64 s[4:5], s[36:37]
	s_cbranch_execz .LBB17_89
; %bb.88:
	s_waitcnt vmcnt(0)
	v_mul_i32_i24_e32 v8, 0xffffffcc, v0
	v_add_u32_e32 v8, v1, v8
	ds_read_b32 v8, v8 offset:14332
.LBB17_89:
	s_or_b64 exec, exec, s[4:5]
	v_mov_b32_e32 v9, s63
	v_add_co_u32_e32 v14, vcc, s62, v50
	v_addc_co_u32_e32 v15, vcc, 0, v9, vcc
	s_movk_i32 s4, 0x1000
	v_add_co_u32_e32 v16, vcc, s4, v14
	v_addc_co_u32_e32 v17, vcc, 0, v15, vcc
	s_movk_i32 s4, 0x2000
	s_waitcnt lgkmcnt(0)
	s_barrier
	flat_load_dword v22, v[14:15]
	flat_load_dword v24, v[14:15] offset:1024
	flat_load_dword v26, v[14:15] offset:2048
	;; [unrolled: 1-line block ×3, first 2 shown]
	flat_load_dword v28, v[16:17]
	flat_load_dword v29, v[16:17] offset:1024
	flat_load_dword v30, v[16:17] offset:2048
	;; [unrolled: 1-line block ×3, first 2 shown]
	v_add_co_u32_e32 v16, vcc, s4, v14
	v_addc_co_u32_e32 v17, vcc, 0, v15, vcc
	s_movk_i32 s4, 0x3000
	v_add_co_u32_e32 v14, vcc, s4, v14
	v_addc_co_u32_e32 v15, vcc, 0, v15, vcc
	flat_load_dword v32, v[16:17]
	flat_load_dword v33, v[16:17] offset:1024
	flat_load_dword v34, v[16:17] offset:2048
	;; [unrolled: 1-line block ×3, first 2 shown]
	flat_load_dword v36, v[14:15]
	flat_load_dword v37, v[14:15] offset:1024
	s_waitcnt vmcnt(0)
	v_cmp_ne_u32_e32 vcc, v8, v2
	v_cndmask_b32_e64 v39, 0, 1, vcc
	v_cmp_ne_u32_e32 vcc, v5, v10
	v_cndmask_b32_e64 v9, 0, 1, vcc
	v_cmp_ne_u32_e32 vcc, v4, v5
	v_cmp_ne_u32_e64 s[16:17], v6, v7
	v_cndmask_b32_e64 v7, 0, 1, vcc
	v_cmp_ne_u32_e32 vcc, v3, v4
	v_cndmask_b32_e64 v5, 0, 1, vcc
	v_cmp_ne_u32_e32 vcc, v2, v3
	;; [unrolled: 2-line block ×10, first 2 shown]
	v_cndmask_b32_e64 v19, 0, 1, vcc
	s_mov_b64 s[18:19], -1
                                        ; implicit-def: $sgpr12_sgpr13
	s_waitcnt lgkmcnt(0)
	ds_write2st64_b32 v50, v22, v24 offset1:4
	ds_write2st64_b32 v50, v26, v27 offset0:8 offset1:12
	ds_write2st64_b32 v50, v28, v29 offset0:16 offset1:20
	;; [unrolled: 1-line block ×6, first 2 shown]
	s_waitcnt lgkmcnt(0)
	s_barrier
	ds_read2_b32 v[42:43], v1 offset1:13
	ds_read2_b32 v[26:27], v1 offset0:7 offset1:8
	ds_read2_b32 v[28:29], v1 offset0:5 offset1:6
	;; [unrolled: 1-line block ×6, first 2 shown]
	s_waitcnt lgkmcnt(6)
	v_mov_b32_e32 v38, v42
	s_waitcnt lgkmcnt(4)
	v_mov_b32_e32 v10, v28
	;; [unrolled: 2-line block ×4, first 2 shown]
	v_mov_b32_e32 v4, v33
	v_mov_b32_e32 v8, v31
	;; [unrolled: 1-line block ×5, first 2 shown]
	s_waitcnt lgkmcnt(0)
	v_mov_b32_e32 v18, v36
	v_mov_b32_e32 v20, v37
	;; [unrolled: 1-line block ×4, first 2 shown]
.LBB17_90:
	v_pk_mov_b32 v[40:41], s[12:13], s[12:13] op_sel:[0,1]
	s_and_saveexec_b64 s[4:5], s[18:19]
	s_cbranch_execz .LBB17_92
; %bb.91:
	v_cndmask_b32_e64 v41, 0, 1, s[16:17]
	s_waitcnt lgkmcnt(0)
	v_mov_b32_e32 v40, v43
.LBB17_92:
	s_or_b64 exec, exec, s[4:5]
	s_mov_b32 s4, 0
	s_cmp_lg_u32 s59, 0
	v_mbcnt_lo_u32_b32 v52, -1, 0
	v_lshrrev_b32_e32 v1, 6, v0
	v_or_b32_e32 v51, 63, v0
	s_waitcnt lgkmcnt(0)
	s_barrier
	s_cbranch_scc0 .LBB17_125
; %bb.93:
	s_mov_b32 s5, 1
	v_cmp_gt_u64_e64 s[6:7], s[4:5], v[2:3]
	v_cndmask_b32_e64 v27, 0, v38, s[6:7]
	v_add_u32_e32 v27, v27, v2
	v_cmp_gt_u64_e64 s[8:9], s[4:5], v[4:5]
	v_cndmask_b32_e64 v27, 0, v27, s[8:9]
	v_add_u32_e32 v27, v27, v4
	;; [unrolled: 3-line block ×13, first 2 shown]
	v_or3_b32 v27, v41, v25, v23
	v_or3_b32 v27, v27, v21, v19
	;; [unrolled: 1-line block ×6, first 2 shown]
	v_mov_b32_e32 v26, 0
	v_and_b32_e32 v27, 1, v27
	v_cmp_eq_u64_e32 vcc, 0, v[26:27]
	v_cndmask_b32_e32 v26, 1, v39, vcc
	v_mbcnt_hi_u32_b32 v46, -1, v52
	v_mov_b32_dpp v29, v28 row_shr:1 row_mask:0xf bank_mask:0xf
	v_mov_b32_dpp v30, v26 row_shr:1 row_mask:0xf bank_mask:0xf
	v_cmp_eq_u32_e32 vcc, 0, v26
	v_and_b32_e32 v31, 1, v26
	v_and_b32_e32 v27, 15, v46
	v_cndmask_b32_e32 v29, 0, v29, vcc
	v_and_b32_e32 v30, 1, v30
	v_cmp_eq_u32_e32 vcc, 1, v31
	v_cndmask_b32_e64 v30, v30, 1, vcc
	v_cmp_eq_u32_e32 vcc, 0, v27
	v_cndmask_b32_e32 v26, v30, v26, vcc
	v_and_b32_e32 v31, 1, v26
	v_cmp_eq_u32_e64 s[4:5], 1, v31
	v_mov_b32_dpp v30, v26 row_shr:2 row_mask:0xf bank_mask:0xf
	v_and_b32_e32 v30, 1, v30
	v_cndmask_b32_e64 v30, v30, 1, s[4:5]
	v_cmp_lt_u32_e64 s[4:5], 1, v27
	v_cndmask_b32_e64 v29, v29, 0, vcc
	v_cmp_eq_u32_e32 vcc, 0, v26
	v_cndmask_b32_e64 v26, v26, v30, s[4:5]
	v_add_u32_e32 v28, v29, v28
	v_and_b32_e32 v31, 1, v26
	v_mov_b32_dpp v30, v26 row_shr:4 row_mask:0xf bank_mask:0xf
	v_mov_b32_dpp v29, v28 row_shr:2 row_mask:0xf bank_mask:0xf
	s_and_b64 vcc, s[4:5], vcc
	v_and_b32_e32 v30, 1, v30
	v_cmp_eq_u32_e64 s[4:5], 1, v31
	v_cndmask_b32_e32 v29, 0, v29, vcc
	v_cndmask_b32_e64 v30, v30, 1, s[4:5]
	v_cmp_lt_u32_e64 s[4:5], 3, v27
	v_add_u32_e32 v28, v29, v28
	v_cmp_eq_u32_e32 vcc, 0, v26
	v_cndmask_b32_e64 v26, v26, v30, s[4:5]
	v_mov_b32_dpp v29, v28 row_shr:4 row_mask:0xf bank_mask:0xf
	s_and_b64 vcc, s[4:5], vcc
	v_mov_b32_dpp v30, v26 row_shr:8 row_mask:0xf bank_mask:0xf
	v_and_b32_e32 v31, 1, v26
	v_cndmask_b32_e32 v29, 0, v29, vcc
	v_and_b32_e32 v30, 1, v30
	v_cmp_eq_u32_e64 s[4:5], 1, v31
	v_add_u32_e32 v28, v29, v28
	v_cmp_eq_u32_e32 vcc, 0, v26
	v_cndmask_b32_e64 v30, v30, 1, s[4:5]
	v_cmp_lt_u32_e64 s[4:5], 7, v27
	v_mov_b32_dpp v29, v28 row_shr:8 row_mask:0xf bank_mask:0xf
	s_and_b64 vcc, s[4:5], vcc
	v_cndmask_b32_e32 v27, 0, v29, vcc
	v_cndmask_b32_e64 v26, v26, v30, s[4:5]
	v_add_u32_e32 v27, v27, v28
	v_cmp_eq_u32_e32 vcc, 0, v26
	v_mov_b32_dpp v29, v26 row_bcast:15 row_mask:0xf bank_mask:0xf
	v_mov_b32_dpp v28, v27 row_bcast:15 row_mask:0xf bank_mask:0xf
	v_and_b32_e32 v32, 1, v26
	v_and_b32_e32 v31, 16, v46
	v_cndmask_b32_e32 v28, 0, v28, vcc
	v_and_b32_e32 v29, 1, v29
	v_cmp_eq_u32_e32 vcc, 1, v32
	v_bfe_i32 v30, v46, 4, 1
	v_cndmask_b32_e64 v29, v29, 1, vcc
	v_cmp_eq_u32_e32 vcc, 0, v31
	v_and_b32_e32 v28, v30, v28
	v_cndmask_b32_e32 v26, v29, v26, vcc
	v_add_u32_e32 v27, v28, v27
	v_and_b32_e32 v30, 1, v26
	v_mov_b32_dpp v28, v26 row_bcast:31 row_mask:0xf bank_mask:0xf
	v_and_b32_e32 v28, 1, v28
	v_cmp_eq_u32_e64 s[4:5], 1, v30
	v_cmp_eq_u32_e32 vcc, 0, v26
	v_cndmask_b32_e64 v28, v28, 1, s[4:5]
	v_cmp_lt_u32_e64 s[4:5], 31, v46
	v_mov_b32_dpp v29, v27 row_bcast:31 row_mask:0xf bank_mask:0xf
	s_and_b64 vcc, s[4:5], vcc
	v_cndmask_b32_e64 v28, v26, v28, s[4:5]
	v_cndmask_b32_e32 v26, 0, v29, vcc
	v_add_u32_e32 v29, v26, v27
	v_cmp_eq_u32_e32 vcc, v51, v0
	s_and_saveexec_b64 s[4:5], vcc
	s_cbranch_execz .LBB17_95
; %bb.94:
	v_lshlrev_b32_e32 v26, 3, v1
	ds_write_b32 v26, v29
	ds_write_b8 v26, v28 offset:4
.LBB17_95:
	s_or_b64 exec, exec, s[4:5]
	v_cmp_gt_u32_e32 vcc, 4, v0
	s_waitcnt lgkmcnt(0)
	s_barrier
	s_and_saveexec_b64 s[4:5], vcc
	s_cbranch_execz .LBB17_99
; %bb.96:
	v_lshlrev_b32_e32 v30, 3, v0
	ds_read_b64 v[26:27], v30
	v_and_b32_e32 v31, 3, v46
	v_cmp_ne_u32_e32 vcc, 0, v31
	s_waitcnt lgkmcnt(0)
	v_mov_b32_dpp v32, v26 row_shr:1 row_mask:0xf bank_mask:0xf
	v_mov_b32_dpp v34, v27 row_shr:1 row_mask:0xf bank_mask:0xf
	v_mov_b32_e32 v33, v27
	s_and_saveexec_b64 s[34:35], vcc
	s_cbranch_execz .LBB17_98
; %bb.97:
	v_and_b32_e32 v33, 1, v27
	v_and_b32_e32 v34, 1, v34
	v_cmp_eq_u32_e32 vcc, 1, v33
	v_mov_b32_e32 v33, 0
	v_cndmask_b32_e64 v34, v34, 1, vcc
	v_cmp_eq_u16_sdwa vcc, v27, v33 src0_sel:BYTE_0 src1_sel:DWORD
	v_cndmask_b32_e32 v32, 0, v32, vcc
	v_add_u32_e32 v26, v32, v26
	v_and_b32_e32 v32, 0xffff, v34
	s_movk_i32 s42, 0xff00
	v_and_or_b32 v33, v27, s42, v32
	v_mov_b32_e32 v27, v34
.LBB17_98:
	s_or_b64 exec, exec, s[34:35]
	v_mov_b32_dpp v33, v33 row_shr:2 row_mask:0xf bank_mask:0xf
	v_and_b32_e32 v34, 1, v27
	v_and_b32_e32 v33, 1, v33
	v_cmp_eq_u32_e32 vcc, 1, v34
	v_mov_b32_e32 v34, 0
	v_cndmask_b32_e64 v33, v33, 1, vcc
	v_cmp_eq_u16_sdwa s[34:35], v27, v34 src0_sel:BYTE_0 src1_sel:DWORD
	v_cmp_lt_u32_e32 vcc, 1, v31
	v_mov_b32_dpp v32, v26 row_shr:2 row_mask:0xf bank_mask:0xf
	v_cndmask_b32_e32 v27, v27, v33, vcc
	s_and_b64 vcc, vcc, s[34:35]
	v_cndmask_b32_e32 v31, 0, v32, vcc
	v_add_u32_e32 v26, v31, v26
	ds_write_b32 v30, v26
	ds_write_b8 v30, v27 offset:4
.LBB17_99:
	s_or_b64 exec, exec, s[4:5]
	v_cmp_gt_u32_e32 vcc, 64, v0
	v_cmp_lt_u32_e64 s[4:5], 63, v0
	v_mov_b32_e32 v42, 0
	v_mov_b32_e32 v43, 0
	s_waitcnt lgkmcnt(0)
	s_barrier
	s_and_saveexec_b64 s[34:35], s[4:5]
	s_cbranch_execz .LBB17_101
; %bb.100:
	v_lshl_add_u32 v26, v1, 3, -8
	ds_read_b32 v42, v26
	ds_read_u8 v43, v26 offset:4
	v_and_b32_e32 v27, 1, v28
	v_cmp_eq_u32_e64 s[4:5], 0, v28
	s_waitcnt lgkmcnt(1)
	v_cndmask_b32_e64 v26, 0, v42, s[4:5]
	v_cmp_eq_u32_e64 s[4:5], 1, v27
	v_add_u32_e32 v29, v26, v29
	s_waitcnt lgkmcnt(0)
	v_cndmask_b32_e64 v28, v43, 1, s[4:5]
.LBB17_101:
	s_or_b64 exec, exec, s[34:35]
	v_add_u32_e32 v26, -1, v46
	v_and_b32_e32 v27, 64, v46
	v_cmp_lt_i32_e64 s[4:5], v26, v27
	v_cndmask_b32_e64 v26, v26, v46, s[4:5]
	v_lshlrev_b32_e32 v26, 2, v26
	ds_bpermute_b32 v44, v26, v29
	ds_bpermute_b32 v45, v26, v28
	v_cmp_eq_u32_e64 s[34:35], 0, v46
	s_and_saveexec_b64 s[42:43], vcc
	s_cbranch_execz .LBB17_124
; %bb.102:
	v_mov_b32_e32 v29, 0
	ds_read_b64 v[26:27], v29 offset:24
	s_waitcnt lgkmcnt(0)
	v_readfirstlane_b32 s52, v27
	s_and_saveexec_b64 s[4:5], s[34:35]
	s_cbranch_execz .LBB17_104
; %bb.103:
	s_add_i32 s44, s59, 64
	s_mov_b32 s45, 0
	s_lshl_b64 s[48:49], s[44:45], 4
	s_add_u32 s48, s56, s48
	s_addc_u32 s49, s57, s49
	s_and_b32 s55, s52, 0xff000000
	s_mov_b32 s54, s45
	s_and_b32 s63, s52, 0xff0000
	s_mov_b32 s62, s45
	s_or_b64 s[54:55], s[62:63], s[54:55]
	s_and_b32 s63, s52, 0xff00
	s_or_b64 s[54:55], s[54:55], s[62:63]
	s_and_b32 s63, s52, 0xff
	s_or_b64 s[44:45], s[54:55], s[62:63]
	v_mov_b32_e32 v27, s45
	v_mov_b32_e32 v28, 1
	v_pk_mov_b32 v[30:31], s[48:49], s[48:49] op_sel:[0,1]
	;;#ASMSTART
	global_store_dwordx4 v[30:31], v[26:29] off	
s_waitcnt vmcnt(0)
	;;#ASMEND
.LBB17_104:
	s_or_b64 exec, exec, s[4:5]
	v_xad_u32 v34, v46, -1, s59
	v_add_u32_e32 v28, 64, v34
	v_lshlrev_b64 v[30:31], 4, v[28:29]
	v_mov_b32_e32 v27, s57
	v_add_co_u32_e32 v36, vcc, s56, v30
	v_addc_co_u32_e32 v37, vcc, v27, v31, vcc
	;;#ASMSTART
	global_load_dwordx4 v[30:33], v[36:37] off glc	
s_waitcnt vmcnt(0)
	;;#ASMEND
	v_and_b32_e32 v27, 0xff0000, v30
	v_or_b32_sdwa v27, v30, v27 dst_sel:DWORD dst_unused:UNUSED_PAD src0_sel:WORD_0 src1_sel:DWORD
	v_and_b32_e32 v28, 0xff000000, v30
	v_and_b32_e32 v30, 0xff, v31
	v_or3_b32 v31, 0, 0, v30
	v_or3_b32 v30, v27, v28, 0
	v_cmp_eq_u16_sdwa s[44:45], v32, v29 src0_sel:BYTE_0 src1_sel:DWORD
	s_and_saveexec_b64 s[4:5], s[44:45]
	s_cbranch_execz .LBB17_110
; %bb.105:
	s_mov_b32 s48, 1
	s_mov_b64 s[44:45], 0
	v_mov_b32_e32 v27, 0
.LBB17_106:                             ; =>This Loop Header: Depth=1
                                        ;     Child Loop BB17_107 Depth 2
	s_max_u32 s49, s48, 1
.LBB17_107:                             ;   Parent Loop BB17_106 Depth=1
                                        ; =>  This Inner Loop Header: Depth=2
	s_add_i32 s49, s49, -1
	s_cmp_eq_u32 s49, 0
	s_sleep 1
	s_cbranch_scc0 .LBB17_107
; %bb.108:                              ;   in Loop: Header=BB17_106 Depth=1
	s_cmp_lt_u32 s48, 32
	s_cselect_b64 s[54:55], -1, 0
	s_cmp_lg_u64 s[54:55], 0
	s_addc_u32 s48, s48, 0
	;;#ASMSTART
	global_load_dwordx4 v[30:33], v[36:37] off glc	
s_waitcnt vmcnt(0)
	;;#ASMEND
	v_cmp_ne_u16_sdwa s[54:55], v32, v27 src0_sel:BYTE_0 src1_sel:DWORD
	s_or_b64 s[44:45], s[54:55], s[44:45]
	s_andn2_b64 exec, exec, s[44:45]
	s_cbranch_execnz .LBB17_106
; %bb.109:
	s_or_b64 exec, exec, s[44:45]
	v_and_b32_e32 v31, 0xff, v31
.LBB17_110:
	s_or_b64 exec, exec, s[4:5]
	v_mov_b32_e32 v27, 2
	v_cmp_eq_u16_sdwa s[4:5], v32, v27 src0_sel:BYTE_0 src1_sel:DWORD
	v_lshlrev_b64 v[28:29], v46, -1
	v_and_b32_e32 v33, s5, v29
	v_or_b32_e32 v33, 0x80000000, v33
	v_and_b32_e32 v35, s4, v28
	v_ffbl_b32_e32 v33, v33
	v_and_b32_e32 v47, 63, v46
	v_add_u32_e32 v33, 32, v33
	v_ffbl_b32_e32 v35, v35
	v_cmp_ne_u32_e32 vcc, 63, v47
	v_min_u32_e32 v33, v35, v33
	v_addc_co_u32_e32 v35, vcc, 0, v46, vcc
	v_lshlrev_b32_e32 v48, 2, v35
	ds_bpermute_b32 v35, v48, v31
	ds_bpermute_b32 v36, v48, v30
	s_mov_b32 s44, 0
	v_and_b32_e32 v37, 1, v31
	s_mov_b32 s45, 1
	s_waitcnt lgkmcnt(1)
	v_and_b32_e32 v35, 1, v35
	v_cmp_eq_u32_e32 vcc, 1, v37
	v_cndmask_b32_e64 v35, v35, 1, vcc
	v_cmp_gt_u64_e32 vcc, s[44:45], v[30:31]
	v_cmp_lt_u32_e64 s[4:5], v47, v33
	s_and_b64 vcc, s[4:5], vcc
	v_and_b32_e32 v37, 0xffff, v35
	v_cndmask_b32_e64 v54, v31, v35, s[4:5]
	s_waitcnt lgkmcnt(0)
	v_cndmask_b32_e32 v35, 0, v36, vcc
	v_cmp_gt_u32_e32 vcc, 62, v47
	v_cndmask_b32_e64 v36, 0, 1, vcc
	v_lshlrev_b32_e32 v36, 1, v36
	v_cndmask_b32_e64 v31, v31, v37, s[4:5]
	v_add_lshl_u32 v49, v36, v46, 2
	ds_bpermute_b32 v36, v49, v31
	v_add_u32_e32 v30, v35, v30
	ds_bpermute_b32 v37, v49, v30
	v_and_b32_e32 v35, 1, v54
	v_cmp_eq_u32_e32 vcc, 1, v35
	s_waitcnt lgkmcnt(1)
	v_and_b32_e32 v36, 1, v36
	v_mov_b32_e32 v35, 0
	v_add_u32_e32 v53, 2, v47
	v_cndmask_b32_e64 v36, v36, 1, vcc
	v_cmp_eq_u16_sdwa vcc, v54, v35 src0_sel:BYTE_0 src1_sel:DWORD
	v_and_b32_e32 v55, 0xffff, v36
	s_waitcnt lgkmcnt(0)
	v_cndmask_b32_e32 v37, 0, v37, vcc
	v_cmp_gt_u32_e32 vcc, v53, v33
	v_cndmask_b32_e32 v36, v36, v54, vcc
	v_cndmask_b32_e64 v37, v37, 0, vcc
	v_cndmask_b32_e32 v31, v55, v31, vcc
	v_cmp_gt_u32_e32 vcc, 60, v47
	v_cndmask_b32_e64 v54, 0, 1, vcc
	v_lshlrev_b32_e32 v54, 2, v54
	v_add_lshl_u32 v54, v54, v46, 2
	ds_bpermute_b32 v56, v54, v31
	v_add_u32_e32 v30, v37, v30
	ds_bpermute_b32 v37, v54, v30
	v_and_b32_e32 v57, 1, v36
	v_cmp_eq_u32_e32 vcc, 1, v57
	s_waitcnt lgkmcnt(1)
	v_and_b32_e32 v56, 1, v56
	v_add_u32_e32 v55, 4, v47
	v_cndmask_b32_e64 v56, v56, 1, vcc
	v_cmp_eq_u16_sdwa vcc, v36, v35 src0_sel:BYTE_0 src1_sel:DWORD
	v_and_b32_e32 v57, 0xffff, v56
	s_waitcnt lgkmcnt(0)
	v_cndmask_b32_e32 v37, 0, v37, vcc
	v_cmp_gt_u32_e32 vcc, v55, v33
	v_cndmask_b32_e32 v36, v56, v36, vcc
	v_cndmask_b32_e64 v37, v37, 0, vcc
	v_cndmask_b32_e32 v31, v57, v31, vcc
	v_cmp_gt_u32_e32 vcc, 56, v47
	v_cndmask_b32_e64 v56, 0, 1, vcc
	v_lshlrev_b32_e32 v56, 3, v56
	v_add_lshl_u32 v56, v56, v46, 2
	ds_bpermute_b32 v58, v56, v31
	v_add_u32_e32 v30, v37, v30
	ds_bpermute_b32 v37, v56, v30
	v_and_b32_e32 v59, 1, v36
	v_cmp_eq_u32_e32 vcc, 1, v59
	s_waitcnt lgkmcnt(1)
	v_and_b32_e32 v58, 1, v58
	v_add_u32_e32 v57, 8, v47
	v_cndmask_b32_e64 v58, v58, 1, vcc
	v_cmp_eq_u16_sdwa vcc, v36, v35 src0_sel:BYTE_0 src1_sel:DWORD
	v_and_b32_e32 v59, 0xffff, v58
	s_waitcnt lgkmcnt(0)
	v_cndmask_b32_e32 v37, 0, v37, vcc
	v_cmp_gt_u32_e32 vcc, v57, v33
	v_cndmask_b32_e32 v36, v58, v36, vcc
	v_cndmask_b32_e64 v37, v37, 0, vcc
	v_cndmask_b32_e32 v31, v59, v31, vcc
	v_cmp_gt_u32_e32 vcc, 48, v47
	v_cndmask_b32_e64 v58, 0, 1, vcc
	v_lshlrev_b32_e32 v58, 4, v58
	v_add_lshl_u32 v58, v58, v46, 2
	ds_bpermute_b32 v60, v58, v31
	v_add_u32_e32 v30, v37, v30
	ds_bpermute_b32 v37, v58, v30
	v_and_b32_e32 v61, 1, v36
	v_cmp_eq_u32_e32 vcc, 1, v61
	s_waitcnt lgkmcnt(1)
	v_and_b32_e32 v60, 1, v60
	v_add_u32_e32 v59, 16, v47
	v_cndmask_b32_e64 v60, v60, 1, vcc
	v_cmp_eq_u16_sdwa vcc, v36, v35 src0_sel:BYTE_0 src1_sel:DWORD
	v_and_b32_e32 v61, 0xffff, v60
	s_waitcnt lgkmcnt(0)
	v_cndmask_b32_e32 v37, 0, v37, vcc
	v_cmp_gt_u32_e32 vcc, v59, v33
	v_cndmask_b32_e32 v36, v60, v36, vcc
	v_cndmask_b32_e64 v37, v37, 0, vcc
	v_cndmask_b32_e32 v31, v61, v31, vcc
	v_cmp_gt_u32_e32 vcc, 32, v47
	v_cndmask_b32_e64 v60, 0, 1, vcc
	v_lshlrev_b32_e32 v60, 5, v60
	v_add_lshl_u32 v61, v60, v46, 2
	ds_bpermute_b32 v31, v61, v31
	v_add_u32_e32 v30, v37, v30
	ds_bpermute_b32 v37, v61, v30
	v_and_b32_e32 v46, 1, v36
	v_cmp_eq_u32_e32 vcc, 1, v46
	s_waitcnt lgkmcnt(1)
	v_and_b32_e32 v31, 1, v31
	v_add_u32_e32 v62, 32, v47
	v_cndmask_b32_e64 v31, v31, 1, vcc
	v_cmp_eq_u16_sdwa vcc, v36, v35 src0_sel:BYTE_0 src1_sel:DWORD
	s_waitcnt lgkmcnt(0)
	v_cndmask_b32_e32 v37, 0, v37, vcc
	v_cmp_gt_u32_e32 vcc, v62, v33
	v_cndmask_b32_e64 v33, v37, 0, vcc
	v_cndmask_b32_e32 v31, v31, v36, vcc
	v_add_u32_e32 v30, v33, v30
	s_branch .LBB17_112
.LBB17_111:                             ;   in Loop: Header=BB17_112 Depth=1
	s_or_b64 exec, exec, s[4:5]
	v_cmp_eq_u16_sdwa s[4:5], v32, v27 src0_sel:BYTE_0 src1_sel:DWORD
	v_and_b32_e32 v33, s5, v29
	ds_bpermute_b32 v37, v48, v31
	v_or_b32_e32 v33, 0x80000000, v33
	v_and_b32_e32 v36, s4, v28
	v_ffbl_b32_e32 v33, v33
	v_add_u32_e32 v33, 32, v33
	v_ffbl_b32_e32 v36, v36
	v_min_u32_e32 v33, v36, v33
	ds_bpermute_b32 v36, v48, v30
	v_and_b32_e32 v63, 1, v31
	s_waitcnt lgkmcnt(1)
	v_and_b32_e32 v37, 1, v37
	v_cmp_eq_u32_e32 vcc, 1, v63
	v_cndmask_b32_e64 v37, v37, 1, vcc
	v_cmp_gt_u64_e32 vcc, s[44:45], v[30:31]
	v_and_b32_e32 v63, 0xffff, v37
	v_cmp_lt_u32_e64 s[4:5], v47, v33
	v_cndmask_b32_e64 v37, v31, v37, s[4:5]
	v_cndmask_b32_e64 v31, v31, v63, s[4:5]
	s_and_b64 vcc, s[4:5], vcc
	ds_bpermute_b32 v63, v49, v31
	s_waitcnt lgkmcnt(1)
	v_cndmask_b32_e32 v36, 0, v36, vcc
	v_add_u32_e32 v30, v36, v30
	ds_bpermute_b32 v36, v49, v30
	v_and_b32_e32 v64, 1, v37
	s_waitcnt lgkmcnt(1)
	v_and_b32_e32 v63, 1, v63
	v_cmp_eq_u32_e32 vcc, 1, v64
	v_cndmask_b32_e64 v63, v63, 1, vcc
	v_cmp_eq_u16_sdwa vcc, v37, v35 src0_sel:BYTE_0 src1_sel:DWORD
	v_and_b32_e32 v64, 0xffff, v63
	s_waitcnt lgkmcnt(0)
	v_cndmask_b32_e32 v36, 0, v36, vcc
	v_cmp_gt_u32_e32 vcc, v53, v33
	v_cndmask_b32_e32 v31, v64, v31, vcc
	v_cndmask_b32_e32 v37, v63, v37, vcc
	ds_bpermute_b32 v63, v54, v31
	v_cndmask_b32_e64 v36, v36, 0, vcc
	v_add_u32_e32 v30, v36, v30
	ds_bpermute_b32 v36, v54, v30
	v_and_b32_e32 v64, 1, v37
	s_waitcnt lgkmcnt(1)
	v_and_b32_e32 v63, 1, v63
	v_cmp_eq_u32_e32 vcc, 1, v64
	v_cndmask_b32_e64 v63, v63, 1, vcc
	v_cmp_eq_u16_sdwa vcc, v37, v35 src0_sel:BYTE_0 src1_sel:DWORD
	v_and_b32_e32 v64, 0xffff, v63
	s_waitcnt lgkmcnt(0)
	v_cndmask_b32_e32 v36, 0, v36, vcc
	v_cmp_gt_u32_e32 vcc, v55, v33
	v_cndmask_b32_e32 v31, v64, v31, vcc
	v_cndmask_b32_e32 v37, v63, v37, vcc
	ds_bpermute_b32 v63, v56, v31
	v_cndmask_b32_e64 v36, v36, 0, vcc
	;; [unrolled: 16-line block ×3, first 2 shown]
	v_add_u32_e32 v30, v36, v30
	ds_bpermute_b32 v36, v58, v30
	v_and_b32_e32 v64, 1, v37
	s_waitcnt lgkmcnt(1)
	v_and_b32_e32 v63, 1, v63
	v_cmp_eq_u32_e32 vcc, 1, v64
	v_cndmask_b32_e64 v63, v63, 1, vcc
	v_cmp_eq_u16_sdwa vcc, v37, v35 src0_sel:BYTE_0 src1_sel:DWORD
	v_and_b32_e32 v64, 0xffff, v63
	s_waitcnt lgkmcnt(0)
	v_cndmask_b32_e32 v36, 0, v36, vcc
	v_cmp_gt_u32_e32 vcc, v59, v33
	v_cndmask_b32_e64 v36, v36, 0, vcc
	v_cndmask_b32_e32 v31, v64, v31, vcc
	ds_bpermute_b32 v31, v61, v31
	v_add_u32_e32 v30, v36, v30
	ds_bpermute_b32 v36, v61, v30
	v_cndmask_b32_e32 v37, v63, v37, vcc
	v_and_b32_e32 v63, 1, v37
	v_cmp_eq_u32_e32 vcc, 1, v63
	s_waitcnt lgkmcnt(1)
	v_cndmask_b32_e64 v31, v31, 1, vcc
	v_cmp_eq_u16_sdwa vcc, v37, v35 src0_sel:BYTE_0 src1_sel:DWORD
	s_waitcnt lgkmcnt(0)
	v_cndmask_b32_e32 v36, 0, v36, vcc
	v_cmp_gt_u32_e32 vcc, v62, v33
	v_cndmask_b32_e64 v33, v36, 0, vcc
	v_cndmask_b32_e32 v31, v31, v37, vcc
	v_add_u32_e32 v30, v33, v30
	v_cmp_eq_u16_sdwa vcc, v46, v35 src0_sel:BYTE_0 src1_sel:DWORD
	v_and_b32_e32 v33, 1, v46
	v_cndmask_b32_e32 v30, 0, v30, vcc
	v_and_b32_e32 v31, 1, v31
	v_cmp_eq_u32_e32 vcc, 1, v33
	v_subrev_u32_e32 v34, 64, v34
	v_add_u32_e32 v30, v30, v60
	v_cndmask_b32_e64 v31, v31, 1, vcc
.LBB17_112:                             ; =>This Loop Header: Depth=1
                                        ;     Child Loop BB17_115 Depth 2
                                        ;       Child Loop BB17_116 Depth 3
	v_cmp_ne_u16_sdwa s[4:5], v32, v27 src0_sel:BYTE_0 src1_sel:DWORD
	v_mov_b32_e32 v46, v31
	v_cndmask_b32_e64 v31, 0, 1, s[4:5]
	;;#ASMSTART
	;;#ASMEND
	v_cmp_ne_u32_e32 vcc, 0, v31
	s_cmp_lg_u64 vcc, exec
	v_mov_b32_e32 v60, v30
	s_cbranch_scc1 .LBB17_119
; %bb.113:                              ;   in Loop: Header=BB17_112 Depth=1
	v_lshlrev_b64 v[30:31], 4, v[34:35]
	v_mov_b32_e32 v32, s57
	v_add_co_u32_e32 v36, vcc, s56, v30
	v_addc_co_u32_e32 v37, vcc, v32, v31, vcc
	;;#ASMSTART
	global_load_dwordx4 v[30:33], v[36:37] off glc	
s_waitcnt vmcnt(0)
	;;#ASMEND
	v_and_b32_e32 v33, 0xff0000, v30
	v_or_b32_sdwa v33, v30, v33 dst_sel:DWORD dst_unused:UNUSED_PAD src0_sel:WORD_0 src1_sel:DWORD
	v_and_b32_e32 v30, 0xff000000, v30
	v_and_b32_e32 v31, 0xff, v31
	v_or3_b32 v31, 0, 0, v31
	v_or3_b32 v30, v33, v30, 0
	v_cmp_eq_u16_sdwa s[48:49], v32, v35 src0_sel:BYTE_0 src1_sel:DWORD
	s_and_saveexec_b64 s[4:5], s[48:49]
	s_cbranch_execz .LBB17_111
; %bb.114:                              ;   in Loop: Header=BB17_112 Depth=1
	s_mov_b32 s53, 1
	s_mov_b64 s[48:49], 0
.LBB17_115:                             ;   Parent Loop BB17_112 Depth=1
                                        ; =>  This Loop Header: Depth=2
                                        ;       Child Loop BB17_116 Depth 3
	s_max_u32 s54, s53, 1
.LBB17_116:                             ;   Parent Loop BB17_112 Depth=1
                                        ;     Parent Loop BB17_115 Depth=2
                                        ; =>    This Inner Loop Header: Depth=3
	s_add_i32 s54, s54, -1
	s_cmp_eq_u32 s54, 0
	s_sleep 1
	s_cbranch_scc0 .LBB17_116
; %bb.117:                              ;   in Loop: Header=BB17_115 Depth=2
	s_cmp_lt_u32 s53, 32
	s_cselect_b64 s[54:55], -1, 0
	s_cmp_lg_u64 s[54:55], 0
	s_addc_u32 s53, s53, 0
	;;#ASMSTART
	global_load_dwordx4 v[30:33], v[36:37] off glc	
s_waitcnt vmcnt(0)
	;;#ASMEND
	v_cmp_ne_u16_sdwa s[54:55], v32, v35 src0_sel:BYTE_0 src1_sel:DWORD
	s_or_b64 s[48:49], s[54:55], s[48:49]
	s_andn2_b64 exec, exec, s[48:49]
	s_cbranch_execnz .LBB17_115
; %bb.118:                              ;   in Loop: Header=BB17_112 Depth=1
	s_or_b64 exec, exec, s[48:49]
	v_and_b32_e32 v31, 0xff, v31
	s_branch .LBB17_111
.LBB17_119:                             ;   in Loop: Header=BB17_112 Depth=1
                                        ; implicit-def: $vgpr31
                                        ; implicit-def: $vgpr30
                                        ; implicit-def: $vgpr32
	s_cbranch_execz .LBB17_112
; %bb.120:
	s_and_saveexec_b64 s[4:5], s[34:35]
	s_cbranch_execz .LBB17_122
; %bb.121:
	s_and_b32 s44, s52, 0xff
	s_cmp_eq_u32 s44, 0
	s_cselect_b64 vcc, -1, 0
	s_bitcmp1_b32 s52, 0
	s_mov_b32 s45, 0
	s_cselect_b64 s[48:49], -1, 0
	s_add_i32 s44, s59, 64
	s_lshl_b64 s[44:45], s[44:45], 4
	v_cndmask_b32_e32 v27, 0, v60, vcc
	s_add_u32 s44, s56, s44
	v_add_u32_e32 v26, v27, v26
	v_and_b32_e32 v27, 1, v46
	s_addc_u32 s45, s57, s45
	v_mov_b32_e32 v29, 0
	v_cndmask_b32_e64 v27, v27, 1, s[48:49]
	v_mov_b32_e32 v28, 2
	v_pk_mov_b32 v[30:31], s[44:45], s[44:45] op_sel:[0,1]
	;;#ASMSTART
	global_store_dwordx4 v[30:31], v[26:29] off	
s_waitcnt vmcnt(0)
	;;#ASMEND
.LBB17_122:
	s_or_b64 exec, exec, s[4:5]
	s_and_b64 exec, exec, s[0:1]
	s_cbranch_execz .LBB17_124
; %bb.123:
	v_mov_b32_e32 v26, 0
	ds_write_b32 v26, v60 offset:24
	ds_write_b8 v26, v46 offset:28
.LBB17_124:
	s_or_b64 exec, exec, s[42:43]
	s_mov_b32 s4, 0
	v_mov_b32_e32 v28, 0
	s_mov_b32 s5, 1
	s_waitcnt lgkmcnt(0)
	v_cndmask_b32_e64 v26, v45, v43, s[34:35]
	v_cndmask_b32_e64 v27, v44, v42, s[34:35]
	s_barrier
	ds_read_b32 v29, v28 offset:24
	v_cmp_gt_u64_e32 vcc, s[4:5], v[38:39]
	v_and_b32_e32 v30, 1, v39
	v_cndmask_b32_e32 v27, 0, v27, vcc
	v_and_b32_e32 v26, 1, v26
	v_cmp_eq_u32_e32 vcc, 1, v30
	v_cndmask_b32_e64 v26, v26, 1, vcc
	v_cndmask_b32_e64 v26, v26, v39, s[0:1]
	v_cmp_eq_u16_sdwa vcc, v26, v28 src0_sel:BYTE_0 src1_sel:DWORD
	v_cndmask_b32_e64 v27, v27, 0, s[0:1]
	s_waitcnt lgkmcnt(0)
	v_cndmask_b32_e32 v26, 0, v29, vcc
	v_add3_u32 v26, v27, v38, v26
	v_cndmask_b32_e64 v27, 0, v26, s[6:7]
	v_add_u32_e32 v27, v27, v2
	v_cndmask_b32_e64 v28, 0, v27, s[8:9]
	v_add_u32_e32 v42, v28, v4
	;; [unrolled: 2-line block ×13, first 2 shown]
	s_branch .LBB17_141
.LBB17_125:
                                        ; implicit-def: $vgpr49
                                        ; implicit-def: $vgpr47
                                        ; implicit-def: $vgpr45
                                        ; implicit-def: $vgpr43
                                        ; implicit-def: $vgpr34_vgpr35_vgpr36_vgpr37
                                        ; implicit-def: $vgpr30_vgpr31_vgpr32_vgpr33
                                        ; implicit-def: $vgpr26_vgpr27_vgpr28_vgpr29
	s_cbranch_execz .LBB17_141
; %bb.126:
	s_cmp_lg_u64 s[60:61], 0
	s_cselect_b32 s9, s51, 0
	s_cselect_b32 s8, s50, 0
	s_cmp_lg_u64 s[8:9], 0
	s_cselect_b64 s[6:7], -1, 0
	s_mov_b32 s4, 0
	s_and_b64 s[10:11], s[0:1], s[6:7]
	s_and_saveexec_b64 s[6:7], s[10:11]
	s_cbranch_execz .LBB17_128
; %bb.127:
	v_mov_b32_e32 v26, 0
	global_load_dword v28, v26, s[8:9]
	global_load_ubyte v29, v26, s[8:9] offset:4
	s_mov_b32 s5, 1
	v_and_b32_e32 v27, 1, v39
	v_cmp_gt_u64_e32 vcc, s[4:5], v[38:39]
	s_waitcnt vmcnt(1)
	v_cndmask_b32_e32 v28, 0, v28, vcc
	s_waitcnt vmcnt(0)
	v_and_b32_e32 v29, 1, v29
	v_cmp_eq_u64_e32 vcc, 0, v[26:27]
	v_add_u32_e32 v38, v28, v38
	v_cndmask_b32_e32 v39, 1, v29, vcc
.LBB17_128:
	s_or_b64 exec, exec, s[6:7]
	s_mov_b32 s5, 1
	v_cmp_gt_u64_e32 vcc, s[4:5], v[2:3]
	v_cndmask_b32_e32 v26, 0, v38, vcc
	v_add_u32_e32 v27, v26, v2
	v_cmp_gt_u64_e64 s[6:7], s[4:5], v[4:5]
	v_cndmask_b32_e64 v26, 0, v27, s[6:7]
	v_add_u32_e32 v42, v26, v4
	v_cmp_gt_u64_e64 s[8:9], s[4:5], v[6:7]
	v_cndmask_b32_e64 v26, 0, v42, s[8:9]
	;; [unrolled: 3-line block ×6, first 2 shown]
	v_add_u32_e32 v45, v26, v14
	v_cmp_gt_u64_e64 s[18:19], s[4:5], v[16:17]
	v_mov_b32_e32 v28, 0
	v_cndmask_b32_e64 v26, 0, v45, s[18:19]
	v_or3_b32 v7, v23, v15, v7
	v_add_u32_e32 v34, v26, v16
	v_cmp_gt_u64_e64 s[20:21], s[4:5], v[18:19]
	v_or3_b32 v9, v25, v17, v9
	v_and_b32_e32 v55, 1, v7
	v_mov_b32_e32 v54, v28
	v_cndmask_b32_e64 v26, 0, v34, s[20:21]
	v_or3_b32 v3, v19, v11, v3
	v_and_b32_e32 v37, 1, v9
	v_mov_b32_e32 v36, v28
	v_cmp_ne_u64_e64 s[30:31], 0, v[54:55]
	v_add_u32_e32 v35, v26, v18
	v_cmp_gt_u64_e64 s[22:23], s[4:5], v[20:21]
	v_or3_b32 v5, v21, v13, v5
	v_and_b32_e32 v29, 1, v3
	v_cndmask_b32_e64 v3, 0, 1, s[30:31]
	v_cmp_ne_u64_e64 s[30:31], 0, v[36:37]
	v_cndmask_b32_e64 v26, 0, v35, s[22:23]
	v_and_b32_e32 v33, 1, v5
	v_mov_b32_e32 v32, v28
	v_cndmask_b32_e64 v5, 0, 1, s[30:31]
	v_add_u32_e32 v46, v26, v20
	v_cmp_gt_u64_e64 s[24:25], s[4:5], v[22:23]
	v_lshlrev_b16_e32 v3, 2, v3
	v_lshlrev_b16_e32 v5, 3, v5
	v_cmp_ne_u64_e64 s[30:31], 0, v[32:33]
	v_cndmask_b32_e64 v26, 0, v46, s[24:25]
	v_or_b32_e32 v3, v5, v3
	v_cndmask_b32_e64 v5, 0, 1, s[30:31]
	v_cmp_ne_u64_e64 s[30:31], 0, v[28:29]
	v_add_u32_e32 v47, v26, v22
	v_cmp_gt_u64_e64 s[26:27], s[4:5], v[24:25]
	v_lshlrev_b16_e32 v5, 1, v5
	v_cndmask_b32_e64 v7, 0, 1, s[30:31]
	v_cndmask_b32_e64 v26, 0, v47, s[26:27]
	v_or_b32_e32 v5, v7, v5
	v_add_u32_e32 v48, v26, v24
	v_cmp_gt_u64_e64 s[28:29], s[4:5], v[40:41]
	v_and_b32_e32 v5, 3, v5
	v_cndmask_b32_e64 v26, 0, v48, s[28:29]
	v_or_b32_e32 v3, v5, v3
	v_add_u32_e32 v49, v26, v40
	v_and_b32_e32 v26, 1, v41
	v_and_b32_e32 v3, 15, v3
	v_cmp_eq_u32_e64 s[4:5], 1, v26
	v_cmp_ne_u16_e64 s[30:31], 0, v3
	s_or_b64 s[4:5], s[4:5], s[30:31]
	v_cndmask_b32_e64 v5, v39, 1, s[4:5]
	v_mbcnt_hi_u32_b32 v3, -1, v52
	v_mov_b32_dpp v9, v49 row_shr:1 row_mask:0xf bank_mask:0xf
	v_mov_b32_dpp v11, v5 row_shr:1 row_mask:0xf bank_mask:0xf
	v_cmp_eq_u32_e64 s[4:5], 0, v5
	v_and_b32_e32 v13, 1, v5
	v_and_b32_e32 v7, 15, v3
	v_cndmask_b32_e64 v9, 0, v9, s[4:5]
	v_and_b32_e32 v11, 1, v11
	v_cmp_eq_u32_e64 s[4:5], 1, v13
	v_cndmask_b32_e64 v11, v11, 1, s[4:5]
	v_cmp_eq_u32_e64 s[4:5], 0, v7
	v_cndmask_b32_e64 v5, v11, v5, s[4:5]
	v_and_b32_e32 v15, 1, v5
	v_cmp_eq_u32_e64 s[30:31], 1, v15
	v_mov_b32_dpp v13, v5 row_shr:2 row_mask:0xf bank_mask:0xf
	v_and_b32_e32 v13, 1, v13
	v_cndmask_b32_e64 v13, v13, 1, s[30:31]
	v_cmp_lt_u32_e64 s[30:31], 1, v7
	v_cndmask_b32_e64 v9, v9, 0, s[4:5]
	v_cmp_eq_u32_e64 s[4:5], 0, v5
	v_cndmask_b32_e64 v5, v5, v13, s[30:31]
	v_add_u32_e32 v9, v49, v9
	v_and_b32_e32 v15, 1, v5
	v_mov_b32_dpp v13, v5 row_shr:4 row_mask:0xf bank_mask:0xf
	v_mov_b32_dpp v11, v9 row_shr:2 row_mask:0xf bank_mask:0xf
	s_and_b64 s[4:5], s[30:31], s[4:5]
	v_and_b32_e32 v13, 1, v13
	v_cmp_eq_u32_e64 s[30:31], 1, v15
	v_cndmask_b32_e64 v11, 0, v11, s[4:5]
	v_cndmask_b32_e64 v13, v13, 1, s[30:31]
	v_cmp_lt_u32_e64 s[30:31], 3, v7
	v_add_u32_e32 v9, v9, v11
	v_cmp_eq_u32_e64 s[4:5], 0, v5
	v_cndmask_b32_e64 v5, v5, v13, s[30:31]
	v_mov_b32_dpp v11, v9 row_shr:4 row_mask:0xf bank_mask:0xf
	s_and_b64 s[4:5], s[30:31], s[4:5]
	v_mov_b32_dpp v13, v5 row_shr:8 row_mask:0xf bank_mask:0xf
	v_and_b32_e32 v15, 1, v5
	v_cndmask_b32_e64 v11, 0, v11, s[4:5]
	v_and_b32_e32 v13, 1, v13
	v_cmp_eq_u32_e64 s[30:31], 1, v15
	v_add_u32_e32 v9, v9, v11
	v_cmp_eq_u32_e64 s[4:5], 0, v5
	v_cndmask_b32_e64 v13, v13, 1, s[30:31]
	v_cmp_lt_u32_e64 s[30:31], 7, v7
	v_mov_b32_dpp v11, v9 row_shr:8 row_mask:0xf bank_mask:0xf
	s_and_b64 s[4:5], s[30:31], s[4:5]
	v_cndmask_b32_e64 v7, 0, v11, s[4:5]
	v_cndmask_b32_e64 v5, v5, v13, s[30:31]
	v_add_u32_e32 v7, v9, v7
	v_cmp_eq_u32_e64 s[4:5], 0, v5
	v_mov_b32_dpp v11, v5 row_bcast:15 row_mask:0xf bank_mask:0xf
	v_mov_b32_dpp v9, v7 row_bcast:15 row_mask:0xf bank_mask:0xf
	v_and_b32_e32 v17, 1, v5
	v_and_b32_e32 v15, 16, v3
	v_cndmask_b32_e64 v9, 0, v9, s[4:5]
	v_and_b32_e32 v11, 1, v11
	v_cmp_eq_u32_e64 s[4:5], 1, v17
	v_bfe_i32 v13, v3, 4, 1
	v_cndmask_b32_e64 v11, v11, 1, s[4:5]
	v_cmp_eq_u32_e64 s[4:5], 0, v15
	v_and_b32_e32 v9, v13, v9
	v_cndmask_b32_e64 v5, v11, v5, s[4:5]
	v_add_u32_e32 v9, v7, v9
	v_and_b32_e32 v13, 1, v5
	v_mov_b32_dpp v7, v5 row_bcast:31 row_mask:0xf bank_mask:0xf
	v_and_b32_e32 v7, 1, v7
	v_cmp_eq_u32_e64 s[30:31], 1, v13
	v_cmp_eq_u32_e64 s[4:5], 0, v5
	v_cndmask_b32_e64 v7, v7, 1, s[30:31]
	v_cmp_lt_u32_e64 s[30:31], 31, v3
	v_mov_b32_dpp v11, v9 row_bcast:31 row_mask:0xf bank_mask:0xf
	s_and_b64 s[4:5], s[30:31], s[4:5]
	v_cndmask_b32_e64 v7, v5, v7, s[30:31]
	v_cndmask_b32_e64 v5, 0, v11, s[4:5]
	v_add_u32_e32 v5, v9, v5
	v_cmp_eq_u32_e64 s[4:5], v51, v0
	s_and_saveexec_b64 s[30:31], s[4:5]
	s_cbranch_execz .LBB17_130
; %bb.129:
	v_lshlrev_b32_e32 v9, 3, v1
	ds_write_b32 v9, v5
	ds_write_b8 v9, v7 offset:4
.LBB17_130:
	s_or_b64 exec, exec, s[30:31]
	v_cmp_gt_u32_e64 s[4:5], 4, v0
	s_waitcnt lgkmcnt(0)
	s_barrier
	s_and_saveexec_b64 s[30:31], s[4:5]
	s_cbranch_execz .LBB17_134
; %bb.131:
	v_lshlrev_b32_e32 v9, 3, v0
	ds_read_b64 v[28:29], v9
	v_and_b32_e32 v11, 3, v3
	v_cmp_ne_u32_e64 s[4:5], 0, v11
	s_waitcnt lgkmcnt(0)
	v_mov_b32_dpp v13, v28 row_shr:1 row_mask:0xf bank_mask:0xf
	v_mov_b32_dpp v17, v29 row_shr:1 row_mask:0xf bank_mask:0xf
	v_mov_b32_e32 v15, v29
	s_and_saveexec_b64 s[34:35], s[4:5]
	s_cbranch_execz .LBB17_133
; %bb.132:
	v_and_b32_e32 v15, 1, v29
	v_and_b32_e32 v17, 1, v17
	v_cmp_eq_u32_e64 s[4:5], 1, v15
	v_mov_b32_e32 v15, 0
	v_cndmask_b32_e64 v17, v17, 1, s[4:5]
	v_cmp_eq_u16_sdwa s[4:5], v29, v15 src0_sel:BYTE_0 src1_sel:DWORD
	v_cndmask_b32_e64 v13, 0, v13, s[4:5]
	v_add_u32_e32 v28, v13, v28
	v_and_b32_e32 v13, 0xffff, v17
	s_movk_i32 s4, 0xff00
	v_and_or_b32 v15, v29, s4, v13
	v_mov_b32_e32 v29, v17
.LBB17_133:
	s_or_b64 exec, exec, s[34:35]
	v_mov_b32_dpp v15, v15 row_shr:2 row_mask:0xf bank_mask:0xf
	v_and_b32_e32 v17, 1, v29
	v_and_b32_e32 v15, 1, v15
	v_cmp_eq_u32_e64 s[4:5], 1, v17
	v_mov_b32_e32 v17, 0
	v_cndmask_b32_e64 v15, v15, 1, s[4:5]
	v_cmp_eq_u16_sdwa s[34:35], v29, v17 src0_sel:BYTE_0 src1_sel:DWORD
	v_cmp_lt_u32_e64 s[4:5], 1, v11
	v_mov_b32_dpp v13, v28 row_shr:2 row_mask:0xf bank_mask:0xf
	v_cndmask_b32_e64 v11, v29, v15, s[4:5]
	s_and_b64 s[4:5], s[4:5], s[34:35]
	v_cndmask_b32_e64 v13, 0, v13, s[4:5]
	v_add_u32_e32 v13, v13, v28
	ds_write_b32 v9, v13
	ds_write_b8 v9, v11 offset:4
.LBB17_134:
	s_or_b64 exec, exec, s[30:31]
	v_cmp_lt_u32_e64 s[4:5], 63, v0
	v_mov_b32_e32 v9, 0
	s_waitcnt lgkmcnt(0)
	s_barrier
	s_and_saveexec_b64 s[30:31], s[4:5]
	s_cbranch_execz .LBB17_136
; %bb.135:
	v_lshl_add_u32 v1, v1, 3, -8
	ds_read_b32 v9, v1
	v_cmp_eq_u32_e64 s[4:5], 0, v7
	s_waitcnt lgkmcnt(0)
	v_cndmask_b32_e64 v1, 0, v9, s[4:5]
	v_add_u32_e32 v5, v1, v5
.LBB17_136:
	s_or_b64 exec, exec, s[30:31]
	v_add_u32_e32 v1, -1, v3
	v_and_b32_e32 v7, 64, v3
	v_cmp_lt_i32_e64 s[4:5], v1, v7
	v_cndmask_b32_e64 v1, v1, v3, s[4:5]
	v_lshlrev_b32_e32 v1, 2, v1
	ds_bpermute_b32 v1, v1, v5
	s_and_saveexec_b64 s[30:31], s[36:37]
	s_cbranch_execz .LBB17_138
; %bb.137:
	v_and_b32_e32 v27, 0xff, v39
	v_mov_b32_e32 v26, 0
	v_cmp_eq_u32_e64 s[4:5], 0, v3
	s_waitcnt lgkmcnt(0)
	v_cndmask_b32_e64 v1, v1, v9, s[4:5]
	v_cmp_eq_u64_e64 s[4:5], 0, v[26:27]
	v_cndmask_b32_e64 v1, 0, v1, s[4:5]
	v_add_u32_e32 v38, v1, v38
	v_cndmask_b32_e32 v1, 0, v38, vcc
	v_add_u32_e32 v27, v1, v2
	v_cndmask_b32_e64 v1, 0, v27, s[6:7]
	v_add_u32_e32 v42, v1, v4
	v_cndmask_b32_e64 v1, 0, v42, s[8:9]
	;; [unrolled: 2-line block ×12, first 2 shown]
	v_add_u32_e32 v49, v1, v40
	;;#ASMSTART
	;;#ASMEND
.LBB17_138:
	s_or_b64 exec, exec, s[30:31]
	s_and_saveexec_b64 s[4:5], s[0:1]
	s_cbranch_execz .LBB17_140
; %bb.139:
	v_mov_b32_e32 v5, 0
	ds_read_b32 v2, v5 offset:24
	ds_read_u8 v3, v5 offset:28
	s_add_u32 s0, s56, 0x400
	s_addc_u32 s1, s57, 0
	v_mov_b32_e32 v4, 2
	v_pk_mov_b32 v[6:7], s[0:1], s[0:1] op_sel:[0,1]
	s_waitcnt lgkmcnt(0)
	;;#ASMSTART
	global_store_dwordx4 v[6:7], v[2:5] off	
s_waitcnt vmcnt(0)
	;;#ASMEND
.LBB17_140:
	s_or_b64 exec, exec, s[4:5]
	v_mov_b32_e32 v26, v38
.LBB17_141:
	s_add_u32 s0, s46, s38
	s_addc_u32 s1, s47, s39
	s_add_u32 s4, s0, s40
	s_waitcnt lgkmcnt(0)
	v_mul_u32_u24_e32 v1, 14, v0
	s_addc_u32 s5, s1, s41
	s_and_b64 vcc, exec, s[2:3]
	v_lshlrev_b32_e32 v2, 2, v1
	s_cbranch_vccz .LBB17_169
; %bb.142:
	s_movk_i32 s0, 0xffcc
	v_mad_i32_i24 v3, v0, s0, v2
	s_barrier
	ds_write2_b64 v2, v[26:27], v[42:43] offset1:1
	ds_write2_b64 v2, v[30:31], v[44:45] offset0:2 offset1:3
	ds_write2_b64 v2, v[34:35], v[46:47] offset0:4 offset1:5
	ds_write_b64 v2, v[48:49] offset:48
	s_waitcnt lgkmcnt(0)
	s_barrier
	ds_read2st64_b32 v[16:17], v3 offset0:4 offset1:8
	ds_read2st64_b32 v[14:15], v3 offset0:12 offset1:16
	;; [unrolled: 1-line block ×6, first 2 shown]
	ds_read_b32 v3, v3 offset:13312
	v_mov_b32_e32 v7, s5
	v_add_co_u32_e32 v6, vcc, s4, v50
	s_add_i32 s33, s33, s58
	v_addc_co_u32_e32 v7, vcc, 0, v7, vcc
	v_mov_b32_e32 v1, 0
	v_cmp_gt_u32_e32 vcc, s33, v0
	s_and_saveexec_b64 s[0:1], vcc
	s_cbranch_execz .LBB17_144
; %bb.143:
	v_mul_i32_i24_e32 v18, 0xffffffcc, v0
	v_add_u32_e32 v18, v2, v18
	ds_read_b32 v18, v18
	s_waitcnt lgkmcnt(0)
	flat_store_dword v[6:7], v18
.LBB17_144:
	s_or_b64 exec, exec, s[0:1]
	v_or_b32_e32 v18, 0x100, v0
	v_cmp_gt_u32_e32 vcc, s33, v18
	s_and_saveexec_b64 s[0:1], vcc
	s_cbranch_execz .LBB17_146
; %bb.145:
	s_waitcnt lgkmcnt(0)
	flat_store_dword v[6:7], v16 offset:1024
.LBB17_146:
	s_or_b64 exec, exec, s[0:1]
	s_waitcnt lgkmcnt(0)
	v_or_b32_e32 v16, 0x200, v0
	v_cmp_gt_u32_e32 vcc, s33, v16
	s_and_saveexec_b64 s[0:1], vcc
	s_cbranch_execz .LBB17_148
; %bb.147:
	flat_store_dword v[6:7], v17 offset:2048
.LBB17_148:
	s_or_b64 exec, exec, s[0:1]
	v_or_b32_e32 v16, 0x300, v0
	v_cmp_gt_u32_e32 vcc, s33, v16
	s_and_saveexec_b64 s[0:1], vcc
	s_cbranch_execz .LBB17_150
; %bb.149:
	flat_store_dword v[6:7], v14 offset:3072
.LBB17_150:
	s_or_b64 exec, exec, s[0:1]
	v_or_b32_e32 v14, 0x400, v0
	v_cmp_gt_u32_e32 vcc, s33, v14
	s_and_saveexec_b64 s[0:1], vcc
	s_cbranch_execz .LBB17_152
; %bb.151:
	v_add_co_u32_e32 v16, vcc, 0x1000, v6
	v_addc_co_u32_e32 v17, vcc, 0, v7, vcc
	flat_store_dword v[16:17], v15
.LBB17_152:
	s_or_b64 exec, exec, s[0:1]
	v_or_b32_e32 v14, 0x500, v0
	v_cmp_gt_u32_e32 vcc, s33, v14
	s_and_saveexec_b64 s[0:1], vcc
	s_cbranch_execz .LBB17_154
; %bb.153:
	v_add_co_u32_e32 v14, vcc, 0x1000, v6
	v_addc_co_u32_e32 v15, vcc, 0, v7, vcc
	flat_store_dword v[14:15], v12 offset:1024
.LBB17_154:
	s_or_b64 exec, exec, s[0:1]
	v_or_b32_e32 v12, 0x600, v0
	v_cmp_gt_u32_e32 vcc, s33, v12
	s_and_saveexec_b64 s[0:1], vcc
	s_cbranch_execz .LBB17_156
; %bb.155:
	v_add_co_u32_e32 v14, vcc, 0x1000, v6
	v_addc_co_u32_e32 v15, vcc, 0, v7, vcc
	flat_store_dword v[14:15], v13 offset:2048
.LBB17_156:
	;; [unrolled: 10-line block ×3, first 2 shown]
	s_or_b64 exec, exec, s[0:1]
	v_or_b32_e32 v10, 0x800, v0
	v_cmp_gt_u32_e32 vcc, s33, v10
	s_and_saveexec_b64 s[0:1], vcc
	s_cbranch_execz .LBB17_160
; %bb.159:
	v_add_co_u32_e32 v12, vcc, 0x2000, v6
	v_addc_co_u32_e32 v13, vcc, 0, v7, vcc
	flat_store_dword v[12:13], v11
.LBB17_160:
	s_or_b64 exec, exec, s[0:1]
	v_or_b32_e32 v10, 0x900, v0
	v_cmp_gt_u32_e32 vcc, s33, v10
	s_and_saveexec_b64 s[0:1], vcc
	s_cbranch_execz .LBB17_162
; %bb.161:
	v_add_co_u32_e32 v10, vcc, 0x2000, v6
	v_addc_co_u32_e32 v11, vcc, 0, v7, vcc
	flat_store_dword v[10:11], v8 offset:1024
.LBB17_162:
	s_or_b64 exec, exec, s[0:1]
	v_or_b32_e32 v8, 0xa00, v0
	v_cmp_gt_u32_e32 vcc, s33, v8
	s_and_saveexec_b64 s[0:1], vcc
	s_cbranch_execz .LBB17_164
; %bb.163:
	v_add_co_u32_e32 v10, vcc, 0x2000, v6
	v_addc_co_u32_e32 v11, vcc, 0, v7, vcc
	flat_store_dword v[10:11], v9 offset:2048
.LBB17_164:
	;; [unrolled: 10-line block ×3, first 2 shown]
	s_or_b64 exec, exec, s[0:1]
	v_or_b32_e32 v4, 0xc00, v0
	v_cmp_gt_u32_e32 vcc, s33, v4
	s_and_saveexec_b64 s[0:1], vcc
	s_cbranch_execz .LBB17_168
; %bb.167:
	v_add_co_u32_e32 v6, vcc, 0x3000, v6
	v_addc_co_u32_e32 v7, vcc, 0, v7, vcc
	flat_store_dword v[6:7], v5
.LBB17_168:
	s_or_b64 exec, exec, s[0:1]
	v_or_b32_e32 v4, 0xd00, v0
	v_cmp_gt_u32_e64 s[0:1], s33, v4
	s_branch .LBB17_171
.LBB17_169:
	s_mov_b64 s[0:1], 0
                                        ; implicit-def: $vgpr3
	s_cbranch_execz .LBB17_171
; %bb.170:
	s_movk_i32 s2, 0xffcc
	s_waitcnt lgkmcnt(0)
	s_barrier
	ds_write2_b64 v2, v[26:27], v[42:43] offset1:1
	ds_write2_b64 v2, v[30:31], v[44:45] offset0:2 offset1:3
	ds_write2_b64 v2, v[34:35], v[46:47] offset0:4 offset1:5
	ds_write_b64 v2, v[48:49] offset:48
	v_mad_i32_i24 v2, v0, s2, v2
	v_mov_b32_e32 v17, s5
	v_add_co_u32_e32 v16, vcc, s4, v50
	s_waitcnt lgkmcnt(0)
	s_barrier
	ds_read2st64_b32 v[4:5], v2 offset1:4
	ds_read2st64_b32 v[6:7], v2 offset0:8 offset1:12
	ds_read2st64_b32 v[8:9], v2 offset0:16 offset1:20
	;; [unrolled: 1-line block ×6, first 2 shown]
	v_addc_co_u32_e32 v17, vcc, 0, v17, vcc
	s_movk_i32 s2, 0x1000
	s_waitcnt lgkmcnt(0)
	flat_store_dword v[16:17], v4
	flat_store_dword v[16:17], v5 offset:1024
	flat_store_dword v[16:17], v6 offset:2048
	;; [unrolled: 1-line block ×3, first 2 shown]
	v_add_co_u32_e32 v4, vcc, s2, v16
	v_addc_co_u32_e32 v5, vcc, 0, v17, vcc
	flat_store_dword v[4:5], v8
	flat_store_dword v[4:5], v9 offset:1024
	flat_store_dword v[4:5], v10 offset:2048
	;; [unrolled: 1-line block ×3, first 2 shown]
	v_add_co_u32_e32 v4, vcc, 0x2000, v16
	v_addc_co_u32_e32 v5, vcc, 0, v17, vcc
	flat_store_dword v[4:5], v12
	flat_store_dword v[4:5], v13 offset:1024
	flat_store_dword v[4:5], v14 offset:2048
	;; [unrolled: 1-line block ×3, first 2 shown]
	v_add_co_u32_e32 v4, vcc, 0x3000, v16
	v_mov_b32_e32 v1, 0
	v_addc_co_u32_e32 v5, vcc, 0, v17, vcc
	s_or_b64 s[0:1], s[0:1], exec
	flat_store_dword v[4:5], v2
.LBB17_171:
	s_and_saveexec_b64 s[2:3], s[0:1]
	s_cbranch_execnz .LBB17_173
; %bb.172:
	s_endpgm
.LBB17_173:
	v_lshlrev_b64 v[0:1], 2, v[0:1]
	v_mov_b32_e32 v2, s5
	v_add_co_u32_e32 v0, vcc, s4, v0
	v_addc_co_u32_e32 v1, vcc, v2, v1, vcc
	v_add_co_u32_e32 v0, vcc, 0x3000, v0
	v_addc_co_u32_e32 v1, vcc, 0, v1, vcc
	flat_store_dword v[0:1], v3 offset:1024
	s_endpgm
.LBB17_174:
	v_mov_b32_e32 v13, s63
	v_add_co_u32_e32 v14, vcc, s62, v12
	v_addc_co_u32_e32 v15, vcc, 0, v13, vcc
	flat_load_dword v13, v[14:15]
	s_or_b64 exec, exec, s[4:5]
                                        ; implicit-def: $vgpr14
	s_and_saveexec_b64 s[4:5], s[8:9]
	s_cbranch_execz .LBB17_41
.LBB17_175:
	v_mov_b32_e32 v15, s63
	v_add_co_u32_e32 v14, vcc, s62, v12
	v_addc_co_u32_e32 v15, vcc, 0, v15, vcc
	flat_load_dword v14, v[14:15] offset:1024
	s_or_b64 exec, exec, s[4:5]
                                        ; implicit-def: $vgpr15
	s_and_saveexec_b64 s[4:5], s[10:11]
	s_cbranch_execz .LBB17_42
.LBB17_176:
	v_mov_b32_e32 v15, s63
	v_add_co_u32_e32 v16, vcc, s62, v12
	v_addc_co_u32_e32 v17, vcc, 0, v15, vcc
	flat_load_dword v15, v[16:17] offset:2048
	s_or_b64 exec, exec, s[4:5]
                                        ; implicit-def: $vgpr16
	s_and_saveexec_b64 s[4:5], s[12:13]
	s_cbranch_execz .LBB17_43
.LBB17_177:
	v_mov_b32_e32 v17, s63
	v_add_co_u32_e32 v16, vcc, s62, v12
	v_addc_co_u32_e32 v17, vcc, 0, v17, vcc
	flat_load_dword v16, v[16:17] offset:3072
	s_or_b64 exec, exec, s[4:5]
                                        ; implicit-def: $vgpr17
	s_and_saveexec_b64 s[4:5], s[14:15]
	s_cbranch_execz .LBB17_44
.LBB17_178:
	v_lshlrev_b32_e32 v2, 2, v2
	v_mov_b32_e32 v17, s63
	v_add_co_u32_e32 v18, vcc, s62, v2
	v_addc_co_u32_e32 v19, vcc, 0, v17, vcc
	flat_load_dword v17, v[18:19]
	s_or_b64 exec, exec, s[4:5]
                                        ; implicit-def: $vgpr2
	s_and_saveexec_b64 s[4:5], s[16:17]
	s_cbranch_execz .LBB17_45
.LBB17_179:
	v_lshlrev_b32_e32 v2, 2, v3
	v_mov_b32_e32 v3, s63
	v_add_co_u32_e32 v2, vcc, s62, v2
	v_addc_co_u32_e32 v3, vcc, 0, v3, vcc
	flat_load_dword v2, v[2:3]
	s_or_b64 exec, exec, s[4:5]
                                        ; implicit-def: $vgpr3
	s_and_saveexec_b64 s[4:5], s[18:19]
	s_cbranch_execz .LBB17_46
.LBB17_180:
	v_lshlrev_b32_e32 v3, 2, v4
	v_mov_b32_e32 v4, s63
	v_add_co_u32_e32 v18, vcc, s62, v3
	v_addc_co_u32_e32 v19, vcc, 0, v4, vcc
	flat_load_dword v3, v[18:19]
	s_or_b64 exec, exec, s[4:5]
                                        ; implicit-def: $vgpr4
	s_and_saveexec_b64 s[4:5], s[20:21]
	s_cbranch_execz .LBB17_47
.LBB17_181:
	v_lshlrev_b32_e32 v4, 2, v5
	v_mov_b32_e32 v5, s63
	v_add_co_u32_e32 v4, vcc, s62, v4
	v_addc_co_u32_e32 v5, vcc, 0, v5, vcc
	flat_load_dword v4, v[4:5]
	s_or_b64 exec, exec, s[4:5]
                                        ; implicit-def: $vgpr5
	s_and_saveexec_b64 s[4:5], s[22:23]
	s_cbranch_execz .LBB17_48
.LBB17_182:
	v_lshlrev_b32_e32 v5, 2, v6
	v_mov_b32_e32 v6, s63
	v_add_co_u32_e32 v18, vcc, s62, v5
	v_addc_co_u32_e32 v19, vcc, 0, v6, vcc
	flat_load_dword v5, v[18:19]
	s_or_b64 exec, exec, s[4:5]
                                        ; implicit-def: $vgpr6
	s_and_saveexec_b64 s[4:5], s[24:25]
	s_cbranch_execz .LBB17_49
.LBB17_183:
	v_lshlrev_b32_e32 v6, 2, v7
	v_mov_b32_e32 v7, s63
	v_add_co_u32_e32 v6, vcc, s62, v6
	v_addc_co_u32_e32 v7, vcc, 0, v7, vcc
	flat_load_dword v6, v[6:7]
	s_or_b64 exec, exec, s[4:5]
                                        ; implicit-def: $vgpr7
	s_and_saveexec_b64 s[4:5], s[26:27]
	s_cbranch_execz .LBB17_50
.LBB17_184:
	v_lshlrev_b32_e32 v7, 2, v8
	v_mov_b32_e32 v8, s63
	v_add_co_u32_e32 v18, vcc, s62, v7
	v_addc_co_u32_e32 v19, vcc, 0, v8, vcc
	flat_load_dword v7, v[18:19]
	s_or_b64 exec, exec, s[4:5]
                                        ; implicit-def: $vgpr8
	s_and_saveexec_b64 s[4:5], s[28:29]
	s_cbranch_execz .LBB17_51
.LBB17_185:
	v_lshlrev_b32_e32 v8, 2, v9
	v_mov_b32_e32 v9, s63
	v_add_co_u32_e32 v8, vcc, s62, v8
	v_addc_co_u32_e32 v9, vcc, 0, v9, vcc
	flat_load_dword v8, v[8:9]
	s_or_b64 exec, exec, s[4:5]
                                        ; implicit-def: $vgpr9
	s_and_saveexec_b64 s[4:5], s[30:31]
	s_cbranch_execz .LBB17_52
.LBB17_186:
	v_lshlrev_b32_e32 v9, 2, v10
	v_mov_b32_e32 v10, s63
	v_add_co_u32_e32 v18, vcc, s62, v9
	v_addc_co_u32_e32 v19, vcc, 0, v10, vcc
	flat_load_dword v9, v[18:19]
	s_or_b64 exec, exec, s[4:5]
                                        ; implicit-def: $vgpr10
	s_and_saveexec_b64 s[4:5], s[34:35]
	s_cbranch_execnz .LBB17_53
	s_branch .LBB17_54
.LBB17_187:
                                        ; implicit-def: $sgpr4_sgpr5
	s_branch .LBB17_36
.LBB17_188:
                                        ; implicit-def: $sgpr4_sgpr5
	s_branch .LBB17_85
	.section	.rodata,"a",@progbits
	.p2align	6, 0x0
	.amdhsa_kernel _ZN7rocprim17ROCPRIM_400000_NS6detail17trampoline_kernelINS0_14default_configENS1_27scan_by_key_config_selectorIiiEEZZNS1_16scan_by_key_implILNS1_25lookback_scan_determinismE0ELb0ES3_N6thrust23THRUST_200600_302600_NS6detail15normal_iteratorINS9_10device_ptrIiEEEESE_SE_iNS9_4plusIvEENS9_8equal_toIvEEiEE10hipError_tPvRmT2_T3_T4_T5_mT6_T7_P12ihipStream_tbENKUlT_T0_E_clISt17integral_constantIbLb1EESZ_EEDaSU_SV_EUlSU_E_NS1_11comp_targetILNS1_3genE4ELNS1_11target_archE910ELNS1_3gpuE8ELNS1_3repE0EEENS1_30default_config_static_selectorELNS0_4arch9wavefront6targetE1EEEvT1_
		.amdhsa_group_segment_fixed_size 16384
		.amdhsa_private_segment_fixed_size 0
		.amdhsa_kernarg_size 112
		.amdhsa_user_sgpr_count 6
		.amdhsa_user_sgpr_private_segment_buffer 1
		.amdhsa_user_sgpr_dispatch_ptr 0
		.amdhsa_user_sgpr_queue_ptr 0
		.amdhsa_user_sgpr_kernarg_segment_ptr 1
		.amdhsa_user_sgpr_dispatch_id 0
		.amdhsa_user_sgpr_flat_scratch_init 0
		.amdhsa_user_sgpr_kernarg_preload_length 0
		.amdhsa_user_sgpr_kernarg_preload_offset 0
		.amdhsa_user_sgpr_private_segment_size 0
		.amdhsa_uses_dynamic_stack 0
		.amdhsa_system_sgpr_private_segment_wavefront_offset 0
		.amdhsa_system_sgpr_workgroup_id_x 1
		.amdhsa_system_sgpr_workgroup_id_y 0
		.amdhsa_system_sgpr_workgroup_id_z 0
		.amdhsa_system_sgpr_workgroup_info 0
		.amdhsa_system_vgpr_workitem_id 0
		.amdhsa_next_free_vgpr 65
		.amdhsa_next_free_sgpr 65
		.amdhsa_accum_offset 68
		.amdhsa_reserve_vcc 1
		.amdhsa_reserve_flat_scratch 0
		.amdhsa_float_round_mode_32 0
		.amdhsa_float_round_mode_16_64 0
		.amdhsa_float_denorm_mode_32 3
		.amdhsa_float_denorm_mode_16_64 3
		.amdhsa_dx10_clamp 1
		.amdhsa_ieee_mode 1
		.amdhsa_fp16_overflow 0
		.amdhsa_tg_split 0
		.amdhsa_exception_fp_ieee_invalid_op 0
		.amdhsa_exception_fp_denorm_src 0
		.amdhsa_exception_fp_ieee_div_zero 0
		.amdhsa_exception_fp_ieee_overflow 0
		.amdhsa_exception_fp_ieee_underflow 0
		.amdhsa_exception_fp_ieee_inexact 0
		.amdhsa_exception_int_div_zero 0
	.end_amdhsa_kernel
	.section	.text._ZN7rocprim17ROCPRIM_400000_NS6detail17trampoline_kernelINS0_14default_configENS1_27scan_by_key_config_selectorIiiEEZZNS1_16scan_by_key_implILNS1_25lookback_scan_determinismE0ELb0ES3_N6thrust23THRUST_200600_302600_NS6detail15normal_iteratorINS9_10device_ptrIiEEEESE_SE_iNS9_4plusIvEENS9_8equal_toIvEEiEE10hipError_tPvRmT2_T3_T4_T5_mT6_T7_P12ihipStream_tbENKUlT_T0_E_clISt17integral_constantIbLb1EESZ_EEDaSU_SV_EUlSU_E_NS1_11comp_targetILNS1_3genE4ELNS1_11target_archE910ELNS1_3gpuE8ELNS1_3repE0EEENS1_30default_config_static_selectorELNS0_4arch9wavefront6targetE1EEEvT1_,"axG",@progbits,_ZN7rocprim17ROCPRIM_400000_NS6detail17trampoline_kernelINS0_14default_configENS1_27scan_by_key_config_selectorIiiEEZZNS1_16scan_by_key_implILNS1_25lookback_scan_determinismE0ELb0ES3_N6thrust23THRUST_200600_302600_NS6detail15normal_iteratorINS9_10device_ptrIiEEEESE_SE_iNS9_4plusIvEENS9_8equal_toIvEEiEE10hipError_tPvRmT2_T3_T4_T5_mT6_T7_P12ihipStream_tbENKUlT_T0_E_clISt17integral_constantIbLb1EESZ_EEDaSU_SV_EUlSU_E_NS1_11comp_targetILNS1_3genE4ELNS1_11target_archE910ELNS1_3gpuE8ELNS1_3repE0EEENS1_30default_config_static_selectorELNS0_4arch9wavefront6targetE1EEEvT1_,comdat
.Lfunc_end17:
	.size	_ZN7rocprim17ROCPRIM_400000_NS6detail17trampoline_kernelINS0_14default_configENS1_27scan_by_key_config_selectorIiiEEZZNS1_16scan_by_key_implILNS1_25lookback_scan_determinismE0ELb0ES3_N6thrust23THRUST_200600_302600_NS6detail15normal_iteratorINS9_10device_ptrIiEEEESE_SE_iNS9_4plusIvEENS9_8equal_toIvEEiEE10hipError_tPvRmT2_T3_T4_T5_mT6_T7_P12ihipStream_tbENKUlT_T0_E_clISt17integral_constantIbLb1EESZ_EEDaSU_SV_EUlSU_E_NS1_11comp_targetILNS1_3genE4ELNS1_11target_archE910ELNS1_3gpuE8ELNS1_3repE0EEENS1_30default_config_static_selectorELNS0_4arch9wavefront6targetE1EEEvT1_, .Lfunc_end17-_ZN7rocprim17ROCPRIM_400000_NS6detail17trampoline_kernelINS0_14default_configENS1_27scan_by_key_config_selectorIiiEEZZNS1_16scan_by_key_implILNS1_25lookback_scan_determinismE0ELb0ES3_N6thrust23THRUST_200600_302600_NS6detail15normal_iteratorINS9_10device_ptrIiEEEESE_SE_iNS9_4plusIvEENS9_8equal_toIvEEiEE10hipError_tPvRmT2_T3_T4_T5_mT6_T7_P12ihipStream_tbENKUlT_T0_E_clISt17integral_constantIbLb1EESZ_EEDaSU_SV_EUlSU_E_NS1_11comp_targetILNS1_3genE4ELNS1_11target_archE910ELNS1_3gpuE8ELNS1_3repE0EEENS1_30default_config_static_selectorELNS0_4arch9wavefront6targetE1EEEvT1_
                                        ; -- End function
	.section	.AMDGPU.csdata,"",@progbits
; Kernel info:
; codeLenInByte = 11144
; NumSgprs: 69
; NumVgprs: 65
; NumAgprs: 0
; TotalNumVgprs: 65
; ScratchSize: 0
; MemoryBound: 0
; FloatMode: 240
; IeeeMode: 1
; LDSByteSize: 16384 bytes/workgroup (compile time only)
; SGPRBlocks: 8
; VGPRBlocks: 8
; NumSGPRsForWavesPerEU: 69
; NumVGPRsForWavesPerEU: 65
; AccumOffset: 68
; Occupancy: 4
; WaveLimiterHint : 1
; COMPUTE_PGM_RSRC2:SCRATCH_EN: 0
; COMPUTE_PGM_RSRC2:USER_SGPR: 6
; COMPUTE_PGM_RSRC2:TRAP_HANDLER: 0
; COMPUTE_PGM_RSRC2:TGID_X_EN: 1
; COMPUTE_PGM_RSRC2:TGID_Y_EN: 0
; COMPUTE_PGM_RSRC2:TGID_Z_EN: 0
; COMPUTE_PGM_RSRC2:TIDIG_COMP_CNT: 0
; COMPUTE_PGM_RSRC3_GFX90A:ACCUM_OFFSET: 16
; COMPUTE_PGM_RSRC3_GFX90A:TG_SPLIT: 0
	.section	.text._ZN7rocprim17ROCPRIM_400000_NS6detail17trampoline_kernelINS0_14default_configENS1_27scan_by_key_config_selectorIiiEEZZNS1_16scan_by_key_implILNS1_25lookback_scan_determinismE0ELb0ES3_N6thrust23THRUST_200600_302600_NS6detail15normal_iteratorINS9_10device_ptrIiEEEESE_SE_iNS9_4plusIvEENS9_8equal_toIvEEiEE10hipError_tPvRmT2_T3_T4_T5_mT6_T7_P12ihipStream_tbENKUlT_T0_E_clISt17integral_constantIbLb1EESZ_EEDaSU_SV_EUlSU_E_NS1_11comp_targetILNS1_3genE3ELNS1_11target_archE908ELNS1_3gpuE7ELNS1_3repE0EEENS1_30default_config_static_selectorELNS0_4arch9wavefront6targetE1EEEvT1_,"axG",@progbits,_ZN7rocprim17ROCPRIM_400000_NS6detail17trampoline_kernelINS0_14default_configENS1_27scan_by_key_config_selectorIiiEEZZNS1_16scan_by_key_implILNS1_25lookback_scan_determinismE0ELb0ES3_N6thrust23THRUST_200600_302600_NS6detail15normal_iteratorINS9_10device_ptrIiEEEESE_SE_iNS9_4plusIvEENS9_8equal_toIvEEiEE10hipError_tPvRmT2_T3_T4_T5_mT6_T7_P12ihipStream_tbENKUlT_T0_E_clISt17integral_constantIbLb1EESZ_EEDaSU_SV_EUlSU_E_NS1_11comp_targetILNS1_3genE3ELNS1_11target_archE908ELNS1_3gpuE7ELNS1_3repE0EEENS1_30default_config_static_selectorELNS0_4arch9wavefront6targetE1EEEvT1_,comdat
	.protected	_ZN7rocprim17ROCPRIM_400000_NS6detail17trampoline_kernelINS0_14default_configENS1_27scan_by_key_config_selectorIiiEEZZNS1_16scan_by_key_implILNS1_25lookback_scan_determinismE0ELb0ES3_N6thrust23THRUST_200600_302600_NS6detail15normal_iteratorINS9_10device_ptrIiEEEESE_SE_iNS9_4plusIvEENS9_8equal_toIvEEiEE10hipError_tPvRmT2_T3_T4_T5_mT6_T7_P12ihipStream_tbENKUlT_T0_E_clISt17integral_constantIbLb1EESZ_EEDaSU_SV_EUlSU_E_NS1_11comp_targetILNS1_3genE3ELNS1_11target_archE908ELNS1_3gpuE7ELNS1_3repE0EEENS1_30default_config_static_selectorELNS0_4arch9wavefront6targetE1EEEvT1_ ; -- Begin function _ZN7rocprim17ROCPRIM_400000_NS6detail17trampoline_kernelINS0_14default_configENS1_27scan_by_key_config_selectorIiiEEZZNS1_16scan_by_key_implILNS1_25lookback_scan_determinismE0ELb0ES3_N6thrust23THRUST_200600_302600_NS6detail15normal_iteratorINS9_10device_ptrIiEEEESE_SE_iNS9_4plusIvEENS9_8equal_toIvEEiEE10hipError_tPvRmT2_T3_T4_T5_mT6_T7_P12ihipStream_tbENKUlT_T0_E_clISt17integral_constantIbLb1EESZ_EEDaSU_SV_EUlSU_E_NS1_11comp_targetILNS1_3genE3ELNS1_11target_archE908ELNS1_3gpuE7ELNS1_3repE0EEENS1_30default_config_static_selectorELNS0_4arch9wavefront6targetE1EEEvT1_
	.globl	_ZN7rocprim17ROCPRIM_400000_NS6detail17trampoline_kernelINS0_14default_configENS1_27scan_by_key_config_selectorIiiEEZZNS1_16scan_by_key_implILNS1_25lookback_scan_determinismE0ELb0ES3_N6thrust23THRUST_200600_302600_NS6detail15normal_iteratorINS9_10device_ptrIiEEEESE_SE_iNS9_4plusIvEENS9_8equal_toIvEEiEE10hipError_tPvRmT2_T3_T4_T5_mT6_T7_P12ihipStream_tbENKUlT_T0_E_clISt17integral_constantIbLb1EESZ_EEDaSU_SV_EUlSU_E_NS1_11comp_targetILNS1_3genE3ELNS1_11target_archE908ELNS1_3gpuE7ELNS1_3repE0EEENS1_30default_config_static_selectorELNS0_4arch9wavefront6targetE1EEEvT1_
	.p2align	8
	.type	_ZN7rocprim17ROCPRIM_400000_NS6detail17trampoline_kernelINS0_14default_configENS1_27scan_by_key_config_selectorIiiEEZZNS1_16scan_by_key_implILNS1_25lookback_scan_determinismE0ELb0ES3_N6thrust23THRUST_200600_302600_NS6detail15normal_iteratorINS9_10device_ptrIiEEEESE_SE_iNS9_4plusIvEENS9_8equal_toIvEEiEE10hipError_tPvRmT2_T3_T4_T5_mT6_T7_P12ihipStream_tbENKUlT_T0_E_clISt17integral_constantIbLb1EESZ_EEDaSU_SV_EUlSU_E_NS1_11comp_targetILNS1_3genE3ELNS1_11target_archE908ELNS1_3gpuE7ELNS1_3repE0EEENS1_30default_config_static_selectorELNS0_4arch9wavefront6targetE1EEEvT1_,@function
_ZN7rocprim17ROCPRIM_400000_NS6detail17trampoline_kernelINS0_14default_configENS1_27scan_by_key_config_selectorIiiEEZZNS1_16scan_by_key_implILNS1_25lookback_scan_determinismE0ELb0ES3_N6thrust23THRUST_200600_302600_NS6detail15normal_iteratorINS9_10device_ptrIiEEEESE_SE_iNS9_4plusIvEENS9_8equal_toIvEEiEE10hipError_tPvRmT2_T3_T4_T5_mT6_T7_P12ihipStream_tbENKUlT_T0_E_clISt17integral_constantIbLb1EESZ_EEDaSU_SV_EUlSU_E_NS1_11comp_targetILNS1_3genE3ELNS1_11target_archE908ELNS1_3gpuE7ELNS1_3repE0EEENS1_30default_config_static_selectorELNS0_4arch9wavefront6targetE1EEEvT1_: ; @_ZN7rocprim17ROCPRIM_400000_NS6detail17trampoline_kernelINS0_14default_configENS1_27scan_by_key_config_selectorIiiEEZZNS1_16scan_by_key_implILNS1_25lookback_scan_determinismE0ELb0ES3_N6thrust23THRUST_200600_302600_NS6detail15normal_iteratorINS9_10device_ptrIiEEEESE_SE_iNS9_4plusIvEENS9_8equal_toIvEEiEE10hipError_tPvRmT2_T3_T4_T5_mT6_T7_P12ihipStream_tbENKUlT_T0_E_clISt17integral_constantIbLb1EESZ_EEDaSU_SV_EUlSU_E_NS1_11comp_targetILNS1_3genE3ELNS1_11target_archE908ELNS1_3gpuE7ELNS1_3repE0EEENS1_30default_config_static_selectorELNS0_4arch9wavefront6targetE1EEEvT1_
; %bb.0:
	.section	.rodata,"a",@progbits
	.p2align	6, 0x0
	.amdhsa_kernel _ZN7rocprim17ROCPRIM_400000_NS6detail17trampoline_kernelINS0_14default_configENS1_27scan_by_key_config_selectorIiiEEZZNS1_16scan_by_key_implILNS1_25lookback_scan_determinismE0ELb0ES3_N6thrust23THRUST_200600_302600_NS6detail15normal_iteratorINS9_10device_ptrIiEEEESE_SE_iNS9_4plusIvEENS9_8equal_toIvEEiEE10hipError_tPvRmT2_T3_T4_T5_mT6_T7_P12ihipStream_tbENKUlT_T0_E_clISt17integral_constantIbLb1EESZ_EEDaSU_SV_EUlSU_E_NS1_11comp_targetILNS1_3genE3ELNS1_11target_archE908ELNS1_3gpuE7ELNS1_3repE0EEENS1_30default_config_static_selectorELNS0_4arch9wavefront6targetE1EEEvT1_
		.amdhsa_group_segment_fixed_size 0
		.amdhsa_private_segment_fixed_size 0
		.amdhsa_kernarg_size 112
		.amdhsa_user_sgpr_count 6
		.amdhsa_user_sgpr_private_segment_buffer 1
		.amdhsa_user_sgpr_dispatch_ptr 0
		.amdhsa_user_sgpr_queue_ptr 0
		.amdhsa_user_sgpr_kernarg_segment_ptr 1
		.amdhsa_user_sgpr_dispatch_id 0
		.amdhsa_user_sgpr_flat_scratch_init 0
		.amdhsa_user_sgpr_kernarg_preload_length 0
		.amdhsa_user_sgpr_kernarg_preload_offset 0
		.amdhsa_user_sgpr_private_segment_size 0
		.amdhsa_uses_dynamic_stack 0
		.amdhsa_system_sgpr_private_segment_wavefront_offset 0
		.amdhsa_system_sgpr_workgroup_id_x 1
		.amdhsa_system_sgpr_workgroup_id_y 0
		.amdhsa_system_sgpr_workgroup_id_z 0
		.amdhsa_system_sgpr_workgroup_info 0
		.amdhsa_system_vgpr_workitem_id 0
		.amdhsa_next_free_vgpr 1
		.amdhsa_next_free_sgpr 0
		.amdhsa_accum_offset 4
		.amdhsa_reserve_vcc 0
		.amdhsa_reserve_flat_scratch 0
		.amdhsa_float_round_mode_32 0
		.amdhsa_float_round_mode_16_64 0
		.amdhsa_float_denorm_mode_32 3
		.amdhsa_float_denorm_mode_16_64 3
		.amdhsa_dx10_clamp 1
		.amdhsa_ieee_mode 1
		.amdhsa_fp16_overflow 0
		.amdhsa_tg_split 0
		.amdhsa_exception_fp_ieee_invalid_op 0
		.amdhsa_exception_fp_denorm_src 0
		.amdhsa_exception_fp_ieee_div_zero 0
		.amdhsa_exception_fp_ieee_overflow 0
		.amdhsa_exception_fp_ieee_underflow 0
		.amdhsa_exception_fp_ieee_inexact 0
		.amdhsa_exception_int_div_zero 0
	.end_amdhsa_kernel
	.section	.text._ZN7rocprim17ROCPRIM_400000_NS6detail17trampoline_kernelINS0_14default_configENS1_27scan_by_key_config_selectorIiiEEZZNS1_16scan_by_key_implILNS1_25lookback_scan_determinismE0ELb0ES3_N6thrust23THRUST_200600_302600_NS6detail15normal_iteratorINS9_10device_ptrIiEEEESE_SE_iNS9_4plusIvEENS9_8equal_toIvEEiEE10hipError_tPvRmT2_T3_T4_T5_mT6_T7_P12ihipStream_tbENKUlT_T0_E_clISt17integral_constantIbLb1EESZ_EEDaSU_SV_EUlSU_E_NS1_11comp_targetILNS1_3genE3ELNS1_11target_archE908ELNS1_3gpuE7ELNS1_3repE0EEENS1_30default_config_static_selectorELNS0_4arch9wavefront6targetE1EEEvT1_,"axG",@progbits,_ZN7rocprim17ROCPRIM_400000_NS6detail17trampoline_kernelINS0_14default_configENS1_27scan_by_key_config_selectorIiiEEZZNS1_16scan_by_key_implILNS1_25lookback_scan_determinismE0ELb0ES3_N6thrust23THRUST_200600_302600_NS6detail15normal_iteratorINS9_10device_ptrIiEEEESE_SE_iNS9_4plusIvEENS9_8equal_toIvEEiEE10hipError_tPvRmT2_T3_T4_T5_mT6_T7_P12ihipStream_tbENKUlT_T0_E_clISt17integral_constantIbLb1EESZ_EEDaSU_SV_EUlSU_E_NS1_11comp_targetILNS1_3genE3ELNS1_11target_archE908ELNS1_3gpuE7ELNS1_3repE0EEENS1_30default_config_static_selectorELNS0_4arch9wavefront6targetE1EEEvT1_,comdat
.Lfunc_end18:
	.size	_ZN7rocprim17ROCPRIM_400000_NS6detail17trampoline_kernelINS0_14default_configENS1_27scan_by_key_config_selectorIiiEEZZNS1_16scan_by_key_implILNS1_25lookback_scan_determinismE0ELb0ES3_N6thrust23THRUST_200600_302600_NS6detail15normal_iteratorINS9_10device_ptrIiEEEESE_SE_iNS9_4plusIvEENS9_8equal_toIvEEiEE10hipError_tPvRmT2_T3_T4_T5_mT6_T7_P12ihipStream_tbENKUlT_T0_E_clISt17integral_constantIbLb1EESZ_EEDaSU_SV_EUlSU_E_NS1_11comp_targetILNS1_3genE3ELNS1_11target_archE908ELNS1_3gpuE7ELNS1_3repE0EEENS1_30default_config_static_selectorELNS0_4arch9wavefront6targetE1EEEvT1_, .Lfunc_end18-_ZN7rocprim17ROCPRIM_400000_NS6detail17trampoline_kernelINS0_14default_configENS1_27scan_by_key_config_selectorIiiEEZZNS1_16scan_by_key_implILNS1_25lookback_scan_determinismE0ELb0ES3_N6thrust23THRUST_200600_302600_NS6detail15normal_iteratorINS9_10device_ptrIiEEEESE_SE_iNS9_4plusIvEENS9_8equal_toIvEEiEE10hipError_tPvRmT2_T3_T4_T5_mT6_T7_P12ihipStream_tbENKUlT_T0_E_clISt17integral_constantIbLb1EESZ_EEDaSU_SV_EUlSU_E_NS1_11comp_targetILNS1_3genE3ELNS1_11target_archE908ELNS1_3gpuE7ELNS1_3repE0EEENS1_30default_config_static_selectorELNS0_4arch9wavefront6targetE1EEEvT1_
                                        ; -- End function
	.section	.AMDGPU.csdata,"",@progbits
; Kernel info:
; codeLenInByte = 0
; NumSgprs: 4
; NumVgprs: 0
; NumAgprs: 0
; TotalNumVgprs: 0
; ScratchSize: 0
; MemoryBound: 0
; FloatMode: 240
; IeeeMode: 1
; LDSByteSize: 0 bytes/workgroup (compile time only)
; SGPRBlocks: 0
; VGPRBlocks: 0
; NumSGPRsForWavesPerEU: 4
; NumVGPRsForWavesPerEU: 1
; AccumOffset: 4
; Occupancy: 8
; WaveLimiterHint : 0
; COMPUTE_PGM_RSRC2:SCRATCH_EN: 0
; COMPUTE_PGM_RSRC2:USER_SGPR: 6
; COMPUTE_PGM_RSRC2:TRAP_HANDLER: 0
; COMPUTE_PGM_RSRC2:TGID_X_EN: 1
; COMPUTE_PGM_RSRC2:TGID_Y_EN: 0
; COMPUTE_PGM_RSRC2:TGID_Z_EN: 0
; COMPUTE_PGM_RSRC2:TIDIG_COMP_CNT: 0
; COMPUTE_PGM_RSRC3_GFX90A:ACCUM_OFFSET: 0
; COMPUTE_PGM_RSRC3_GFX90A:TG_SPLIT: 0
	.section	.text._ZN7rocprim17ROCPRIM_400000_NS6detail17trampoline_kernelINS0_14default_configENS1_27scan_by_key_config_selectorIiiEEZZNS1_16scan_by_key_implILNS1_25lookback_scan_determinismE0ELb0ES3_N6thrust23THRUST_200600_302600_NS6detail15normal_iteratorINS9_10device_ptrIiEEEESE_SE_iNS9_4plusIvEENS9_8equal_toIvEEiEE10hipError_tPvRmT2_T3_T4_T5_mT6_T7_P12ihipStream_tbENKUlT_T0_E_clISt17integral_constantIbLb1EESZ_EEDaSU_SV_EUlSU_E_NS1_11comp_targetILNS1_3genE2ELNS1_11target_archE906ELNS1_3gpuE6ELNS1_3repE0EEENS1_30default_config_static_selectorELNS0_4arch9wavefront6targetE1EEEvT1_,"axG",@progbits,_ZN7rocprim17ROCPRIM_400000_NS6detail17trampoline_kernelINS0_14default_configENS1_27scan_by_key_config_selectorIiiEEZZNS1_16scan_by_key_implILNS1_25lookback_scan_determinismE0ELb0ES3_N6thrust23THRUST_200600_302600_NS6detail15normal_iteratorINS9_10device_ptrIiEEEESE_SE_iNS9_4plusIvEENS9_8equal_toIvEEiEE10hipError_tPvRmT2_T3_T4_T5_mT6_T7_P12ihipStream_tbENKUlT_T0_E_clISt17integral_constantIbLb1EESZ_EEDaSU_SV_EUlSU_E_NS1_11comp_targetILNS1_3genE2ELNS1_11target_archE906ELNS1_3gpuE6ELNS1_3repE0EEENS1_30default_config_static_selectorELNS0_4arch9wavefront6targetE1EEEvT1_,comdat
	.protected	_ZN7rocprim17ROCPRIM_400000_NS6detail17trampoline_kernelINS0_14default_configENS1_27scan_by_key_config_selectorIiiEEZZNS1_16scan_by_key_implILNS1_25lookback_scan_determinismE0ELb0ES3_N6thrust23THRUST_200600_302600_NS6detail15normal_iteratorINS9_10device_ptrIiEEEESE_SE_iNS9_4plusIvEENS9_8equal_toIvEEiEE10hipError_tPvRmT2_T3_T4_T5_mT6_T7_P12ihipStream_tbENKUlT_T0_E_clISt17integral_constantIbLb1EESZ_EEDaSU_SV_EUlSU_E_NS1_11comp_targetILNS1_3genE2ELNS1_11target_archE906ELNS1_3gpuE6ELNS1_3repE0EEENS1_30default_config_static_selectorELNS0_4arch9wavefront6targetE1EEEvT1_ ; -- Begin function _ZN7rocprim17ROCPRIM_400000_NS6detail17trampoline_kernelINS0_14default_configENS1_27scan_by_key_config_selectorIiiEEZZNS1_16scan_by_key_implILNS1_25lookback_scan_determinismE0ELb0ES3_N6thrust23THRUST_200600_302600_NS6detail15normal_iteratorINS9_10device_ptrIiEEEESE_SE_iNS9_4plusIvEENS9_8equal_toIvEEiEE10hipError_tPvRmT2_T3_T4_T5_mT6_T7_P12ihipStream_tbENKUlT_T0_E_clISt17integral_constantIbLb1EESZ_EEDaSU_SV_EUlSU_E_NS1_11comp_targetILNS1_3genE2ELNS1_11target_archE906ELNS1_3gpuE6ELNS1_3repE0EEENS1_30default_config_static_selectorELNS0_4arch9wavefront6targetE1EEEvT1_
	.globl	_ZN7rocprim17ROCPRIM_400000_NS6detail17trampoline_kernelINS0_14default_configENS1_27scan_by_key_config_selectorIiiEEZZNS1_16scan_by_key_implILNS1_25lookback_scan_determinismE0ELb0ES3_N6thrust23THRUST_200600_302600_NS6detail15normal_iteratorINS9_10device_ptrIiEEEESE_SE_iNS9_4plusIvEENS9_8equal_toIvEEiEE10hipError_tPvRmT2_T3_T4_T5_mT6_T7_P12ihipStream_tbENKUlT_T0_E_clISt17integral_constantIbLb1EESZ_EEDaSU_SV_EUlSU_E_NS1_11comp_targetILNS1_3genE2ELNS1_11target_archE906ELNS1_3gpuE6ELNS1_3repE0EEENS1_30default_config_static_selectorELNS0_4arch9wavefront6targetE1EEEvT1_
	.p2align	8
	.type	_ZN7rocprim17ROCPRIM_400000_NS6detail17trampoline_kernelINS0_14default_configENS1_27scan_by_key_config_selectorIiiEEZZNS1_16scan_by_key_implILNS1_25lookback_scan_determinismE0ELb0ES3_N6thrust23THRUST_200600_302600_NS6detail15normal_iteratorINS9_10device_ptrIiEEEESE_SE_iNS9_4plusIvEENS9_8equal_toIvEEiEE10hipError_tPvRmT2_T3_T4_T5_mT6_T7_P12ihipStream_tbENKUlT_T0_E_clISt17integral_constantIbLb1EESZ_EEDaSU_SV_EUlSU_E_NS1_11comp_targetILNS1_3genE2ELNS1_11target_archE906ELNS1_3gpuE6ELNS1_3repE0EEENS1_30default_config_static_selectorELNS0_4arch9wavefront6targetE1EEEvT1_,@function
_ZN7rocprim17ROCPRIM_400000_NS6detail17trampoline_kernelINS0_14default_configENS1_27scan_by_key_config_selectorIiiEEZZNS1_16scan_by_key_implILNS1_25lookback_scan_determinismE0ELb0ES3_N6thrust23THRUST_200600_302600_NS6detail15normal_iteratorINS9_10device_ptrIiEEEESE_SE_iNS9_4plusIvEENS9_8equal_toIvEEiEE10hipError_tPvRmT2_T3_T4_T5_mT6_T7_P12ihipStream_tbENKUlT_T0_E_clISt17integral_constantIbLb1EESZ_EEDaSU_SV_EUlSU_E_NS1_11comp_targetILNS1_3genE2ELNS1_11target_archE906ELNS1_3gpuE6ELNS1_3repE0EEENS1_30default_config_static_selectorELNS0_4arch9wavefront6targetE1EEEvT1_: ; @_ZN7rocprim17ROCPRIM_400000_NS6detail17trampoline_kernelINS0_14default_configENS1_27scan_by_key_config_selectorIiiEEZZNS1_16scan_by_key_implILNS1_25lookback_scan_determinismE0ELb0ES3_N6thrust23THRUST_200600_302600_NS6detail15normal_iteratorINS9_10device_ptrIiEEEESE_SE_iNS9_4plusIvEENS9_8equal_toIvEEiEE10hipError_tPvRmT2_T3_T4_T5_mT6_T7_P12ihipStream_tbENKUlT_T0_E_clISt17integral_constantIbLb1EESZ_EEDaSU_SV_EUlSU_E_NS1_11comp_targetILNS1_3genE2ELNS1_11target_archE906ELNS1_3gpuE6ELNS1_3repE0EEENS1_30default_config_static_selectorELNS0_4arch9wavefront6targetE1EEEvT1_
; %bb.0:
	.section	.rodata,"a",@progbits
	.p2align	6, 0x0
	.amdhsa_kernel _ZN7rocprim17ROCPRIM_400000_NS6detail17trampoline_kernelINS0_14default_configENS1_27scan_by_key_config_selectorIiiEEZZNS1_16scan_by_key_implILNS1_25lookback_scan_determinismE0ELb0ES3_N6thrust23THRUST_200600_302600_NS6detail15normal_iteratorINS9_10device_ptrIiEEEESE_SE_iNS9_4plusIvEENS9_8equal_toIvEEiEE10hipError_tPvRmT2_T3_T4_T5_mT6_T7_P12ihipStream_tbENKUlT_T0_E_clISt17integral_constantIbLb1EESZ_EEDaSU_SV_EUlSU_E_NS1_11comp_targetILNS1_3genE2ELNS1_11target_archE906ELNS1_3gpuE6ELNS1_3repE0EEENS1_30default_config_static_selectorELNS0_4arch9wavefront6targetE1EEEvT1_
		.amdhsa_group_segment_fixed_size 0
		.amdhsa_private_segment_fixed_size 0
		.amdhsa_kernarg_size 112
		.amdhsa_user_sgpr_count 6
		.amdhsa_user_sgpr_private_segment_buffer 1
		.amdhsa_user_sgpr_dispatch_ptr 0
		.amdhsa_user_sgpr_queue_ptr 0
		.amdhsa_user_sgpr_kernarg_segment_ptr 1
		.amdhsa_user_sgpr_dispatch_id 0
		.amdhsa_user_sgpr_flat_scratch_init 0
		.amdhsa_user_sgpr_kernarg_preload_length 0
		.amdhsa_user_sgpr_kernarg_preload_offset 0
		.amdhsa_user_sgpr_private_segment_size 0
		.amdhsa_uses_dynamic_stack 0
		.amdhsa_system_sgpr_private_segment_wavefront_offset 0
		.amdhsa_system_sgpr_workgroup_id_x 1
		.amdhsa_system_sgpr_workgroup_id_y 0
		.amdhsa_system_sgpr_workgroup_id_z 0
		.amdhsa_system_sgpr_workgroup_info 0
		.amdhsa_system_vgpr_workitem_id 0
		.amdhsa_next_free_vgpr 1
		.amdhsa_next_free_sgpr 0
		.amdhsa_accum_offset 4
		.amdhsa_reserve_vcc 0
		.amdhsa_reserve_flat_scratch 0
		.amdhsa_float_round_mode_32 0
		.amdhsa_float_round_mode_16_64 0
		.amdhsa_float_denorm_mode_32 3
		.amdhsa_float_denorm_mode_16_64 3
		.amdhsa_dx10_clamp 1
		.amdhsa_ieee_mode 1
		.amdhsa_fp16_overflow 0
		.amdhsa_tg_split 0
		.amdhsa_exception_fp_ieee_invalid_op 0
		.amdhsa_exception_fp_denorm_src 0
		.amdhsa_exception_fp_ieee_div_zero 0
		.amdhsa_exception_fp_ieee_overflow 0
		.amdhsa_exception_fp_ieee_underflow 0
		.amdhsa_exception_fp_ieee_inexact 0
		.amdhsa_exception_int_div_zero 0
	.end_amdhsa_kernel
	.section	.text._ZN7rocprim17ROCPRIM_400000_NS6detail17trampoline_kernelINS0_14default_configENS1_27scan_by_key_config_selectorIiiEEZZNS1_16scan_by_key_implILNS1_25lookback_scan_determinismE0ELb0ES3_N6thrust23THRUST_200600_302600_NS6detail15normal_iteratorINS9_10device_ptrIiEEEESE_SE_iNS9_4plusIvEENS9_8equal_toIvEEiEE10hipError_tPvRmT2_T3_T4_T5_mT6_T7_P12ihipStream_tbENKUlT_T0_E_clISt17integral_constantIbLb1EESZ_EEDaSU_SV_EUlSU_E_NS1_11comp_targetILNS1_3genE2ELNS1_11target_archE906ELNS1_3gpuE6ELNS1_3repE0EEENS1_30default_config_static_selectorELNS0_4arch9wavefront6targetE1EEEvT1_,"axG",@progbits,_ZN7rocprim17ROCPRIM_400000_NS6detail17trampoline_kernelINS0_14default_configENS1_27scan_by_key_config_selectorIiiEEZZNS1_16scan_by_key_implILNS1_25lookback_scan_determinismE0ELb0ES3_N6thrust23THRUST_200600_302600_NS6detail15normal_iteratorINS9_10device_ptrIiEEEESE_SE_iNS9_4plusIvEENS9_8equal_toIvEEiEE10hipError_tPvRmT2_T3_T4_T5_mT6_T7_P12ihipStream_tbENKUlT_T0_E_clISt17integral_constantIbLb1EESZ_EEDaSU_SV_EUlSU_E_NS1_11comp_targetILNS1_3genE2ELNS1_11target_archE906ELNS1_3gpuE6ELNS1_3repE0EEENS1_30default_config_static_selectorELNS0_4arch9wavefront6targetE1EEEvT1_,comdat
.Lfunc_end19:
	.size	_ZN7rocprim17ROCPRIM_400000_NS6detail17trampoline_kernelINS0_14default_configENS1_27scan_by_key_config_selectorIiiEEZZNS1_16scan_by_key_implILNS1_25lookback_scan_determinismE0ELb0ES3_N6thrust23THRUST_200600_302600_NS6detail15normal_iteratorINS9_10device_ptrIiEEEESE_SE_iNS9_4plusIvEENS9_8equal_toIvEEiEE10hipError_tPvRmT2_T3_T4_T5_mT6_T7_P12ihipStream_tbENKUlT_T0_E_clISt17integral_constantIbLb1EESZ_EEDaSU_SV_EUlSU_E_NS1_11comp_targetILNS1_3genE2ELNS1_11target_archE906ELNS1_3gpuE6ELNS1_3repE0EEENS1_30default_config_static_selectorELNS0_4arch9wavefront6targetE1EEEvT1_, .Lfunc_end19-_ZN7rocprim17ROCPRIM_400000_NS6detail17trampoline_kernelINS0_14default_configENS1_27scan_by_key_config_selectorIiiEEZZNS1_16scan_by_key_implILNS1_25lookback_scan_determinismE0ELb0ES3_N6thrust23THRUST_200600_302600_NS6detail15normal_iteratorINS9_10device_ptrIiEEEESE_SE_iNS9_4plusIvEENS9_8equal_toIvEEiEE10hipError_tPvRmT2_T3_T4_T5_mT6_T7_P12ihipStream_tbENKUlT_T0_E_clISt17integral_constantIbLb1EESZ_EEDaSU_SV_EUlSU_E_NS1_11comp_targetILNS1_3genE2ELNS1_11target_archE906ELNS1_3gpuE6ELNS1_3repE0EEENS1_30default_config_static_selectorELNS0_4arch9wavefront6targetE1EEEvT1_
                                        ; -- End function
	.section	.AMDGPU.csdata,"",@progbits
; Kernel info:
; codeLenInByte = 0
; NumSgprs: 4
; NumVgprs: 0
; NumAgprs: 0
; TotalNumVgprs: 0
; ScratchSize: 0
; MemoryBound: 0
; FloatMode: 240
; IeeeMode: 1
; LDSByteSize: 0 bytes/workgroup (compile time only)
; SGPRBlocks: 0
; VGPRBlocks: 0
; NumSGPRsForWavesPerEU: 4
; NumVGPRsForWavesPerEU: 1
; AccumOffset: 4
; Occupancy: 8
; WaveLimiterHint : 0
; COMPUTE_PGM_RSRC2:SCRATCH_EN: 0
; COMPUTE_PGM_RSRC2:USER_SGPR: 6
; COMPUTE_PGM_RSRC2:TRAP_HANDLER: 0
; COMPUTE_PGM_RSRC2:TGID_X_EN: 1
; COMPUTE_PGM_RSRC2:TGID_Y_EN: 0
; COMPUTE_PGM_RSRC2:TGID_Z_EN: 0
; COMPUTE_PGM_RSRC2:TIDIG_COMP_CNT: 0
; COMPUTE_PGM_RSRC3_GFX90A:ACCUM_OFFSET: 0
; COMPUTE_PGM_RSRC3_GFX90A:TG_SPLIT: 0
	.section	.text._ZN7rocprim17ROCPRIM_400000_NS6detail17trampoline_kernelINS0_14default_configENS1_27scan_by_key_config_selectorIiiEEZZNS1_16scan_by_key_implILNS1_25lookback_scan_determinismE0ELb0ES3_N6thrust23THRUST_200600_302600_NS6detail15normal_iteratorINS9_10device_ptrIiEEEESE_SE_iNS9_4plusIvEENS9_8equal_toIvEEiEE10hipError_tPvRmT2_T3_T4_T5_mT6_T7_P12ihipStream_tbENKUlT_T0_E_clISt17integral_constantIbLb1EESZ_EEDaSU_SV_EUlSU_E_NS1_11comp_targetILNS1_3genE10ELNS1_11target_archE1200ELNS1_3gpuE4ELNS1_3repE0EEENS1_30default_config_static_selectorELNS0_4arch9wavefront6targetE1EEEvT1_,"axG",@progbits,_ZN7rocprim17ROCPRIM_400000_NS6detail17trampoline_kernelINS0_14default_configENS1_27scan_by_key_config_selectorIiiEEZZNS1_16scan_by_key_implILNS1_25lookback_scan_determinismE0ELb0ES3_N6thrust23THRUST_200600_302600_NS6detail15normal_iteratorINS9_10device_ptrIiEEEESE_SE_iNS9_4plusIvEENS9_8equal_toIvEEiEE10hipError_tPvRmT2_T3_T4_T5_mT6_T7_P12ihipStream_tbENKUlT_T0_E_clISt17integral_constantIbLb1EESZ_EEDaSU_SV_EUlSU_E_NS1_11comp_targetILNS1_3genE10ELNS1_11target_archE1200ELNS1_3gpuE4ELNS1_3repE0EEENS1_30default_config_static_selectorELNS0_4arch9wavefront6targetE1EEEvT1_,comdat
	.protected	_ZN7rocprim17ROCPRIM_400000_NS6detail17trampoline_kernelINS0_14default_configENS1_27scan_by_key_config_selectorIiiEEZZNS1_16scan_by_key_implILNS1_25lookback_scan_determinismE0ELb0ES3_N6thrust23THRUST_200600_302600_NS6detail15normal_iteratorINS9_10device_ptrIiEEEESE_SE_iNS9_4plusIvEENS9_8equal_toIvEEiEE10hipError_tPvRmT2_T3_T4_T5_mT6_T7_P12ihipStream_tbENKUlT_T0_E_clISt17integral_constantIbLb1EESZ_EEDaSU_SV_EUlSU_E_NS1_11comp_targetILNS1_3genE10ELNS1_11target_archE1200ELNS1_3gpuE4ELNS1_3repE0EEENS1_30default_config_static_selectorELNS0_4arch9wavefront6targetE1EEEvT1_ ; -- Begin function _ZN7rocprim17ROCPRIM_400000_NS6detail17trampoline_kernelINS0_14default_configENS1_27scan_by_key_config_selectorIiiEEZZNS1_16scan_by_key_implILNS1_25lookback_scan_determinismE0ELb0ES3_N6thrust23THRUST_200600_302600_NS6detail15normal_iteratorINS9_10device_ptrIiEEEESE_SE_iNS9_4plusIvEENS9_8equal_toIvEEiEE10hipError_tPvRmT2_T3_T4_T5_mT6_T7_P12ihipStream_tbENKUlT_T0_E_clISt17integral_constantIbLb1EESZ_EEDaSU_SV_EUlSU_E_NS1_11comp_targetILNS1_3genE10ELNS1_11target_archE1200ELNS1_3gpuE4ELNS1_3repE0EEENS1_30default_config_static_selectorELNS0_4arch9wavefront6targetE1EEEvT1_
	.globl	_ZN7rocprim17ROCPRIM_400000_NS6detail17trampoline_kernelINS0_14default_configENS1_27scan_by_key_config_selectorIiiEEZZNS1_16scan_by_key_implILNS1_25lookback_scan_determinismE0ELb0ES3_N6thrust23THRUST_200600_302600_NS6detail15normal_iteratorINS9_10device_ptrIiEEEESE_SE_iNS9_4plusIvEENS9_8equal_toIvEEiEE10hipError_tPvRmT2_T3_T4_T5_mT6_T7_P12ihipStream_tbENKUlT_T0_E_clISt17integral_constantIbLb1EESZ_EEDaSU_SV_EUlSU_E_NS1_11comp_targetILNS1_3genE10ELNS1_11target_archE1200ELNS1_3gpuE4ELNS1_3repE0EEENS1_30default_config_static_selectorELNS0_4arch9wavefront6targetE1EEEvT1_
	.p2align	8
	.type	_ZN7rocprim17ROCPRIM_400000_NS6detail17trampoline_kernelINS0_14default_configENS1_27scan_by_key_config_selectorIiiEEZZNS1_16scan_by_key_implILNS1_25lookback_scan_determinismE0ELb0ES3_N6thrust23THRUST_200600_302600_NS6detail15normal_iteratorINS9_10device_ptrIiEEEESE_SE_iNS9_4plusIvEENS9_8equal_toIvEEiEE10hipError_tPvRmT2_T3_T4_T5_mT6_T7_P12ihipStream_tbENKUlT_T0_E_clISt17integral_constantIbLb1EESZ_EEDaSU_SV_EUlSU_E_NS1_11comp_targetILNS1_3genE10ELNS1_11target_archE1200ELNS1_3gpuE4ELNS1_3repE0EEENS1_30default_config_static_selectorELNS0_4arch9wavefront6targetE1EEEvT1_,@function
_ZN7rocprim17ROCPRIM_400000_NS6detail17trampoline_kernelINS0_14default_configENS1_27scan_by_key_config_selectorIiiEEZZNS1_16scan_by_key_implILNS1_25lookback_scan_determinismE0ELb0ES3_N6thrust23THRUST_200600_302600_NS6detail15normal_iteratorINS9_10device_ptrIiEEEESE_SE_iNS9_4plusIvEENS9_8equal_toIvEEiEE10hipError_tPvRmT2_T3_T4_T5_mT6_T7_P12ihipStream_tbENKUlT_T0_E_clISt17integral_constantIbLb1EESZ_EEDaSU_SV_EUlSU_E_NS1_11comp_targetILNS1_3genE10ELNS1_11target_archE1200ELNS1_3gpuE4ELNS1_3repE0EEENS1_30default_config_static_selectorELNS0_4arch9wavefront6targetE1EEEvT1_: ; @_ZN7rocprim17ROCPRIM_400000_NS6detail17trampoline_kernelINS0_14default_configENS1_27scan_by_key_config_selectorIiiEEZZNS1_16scan_by_key_implILNS1_25lookback_scan_determinismE0ELb0ES3_N6thrust23THRUST_200600_302600_NS6detail15normal_iteratorINS9_10device_ptrIiEEEESE_SE_iNS9_4plusIvEENS9_8equal_toIvEEiEE10hipError_tPvRmT2_T3_T4_T5_mT6_T7_P12ihipStream_tbENKUlT_T0_E_clISt17integral_constantIbLb1EESZ_EEDaSU_SV_EUlSU_E_NS1_11comp_targetILNS1_3genE10ELNS1_11target_archE1200ELNS1_3gpuE4ELNS1_3repE0EEENS1_30default_config_static_selectorELNS0_4arch9wavefront6targetE1EEEvT1_
; %bb.0:
	.section	.rodata,"a",@progbits
	.p2align	6, 0x0
	.amdhsa_kernel _ZN7rocprim17ROCPRIM_400000_NS6detail17trampoline_kernelINS0_14default_configENS1_27scan_by_key_config_selectorIiiEEZZNS1_16scan_by_key_implILNS1_25lookback_scan_determinismE0ELb0ES3_N6thrust23THRUST_200600_302600_NS6detail15normal_iteratorINS9_10device_ptrIiEEEESE_SE_iNS9_4plusIvEENS9_8equal_toIvEEiEE10hipError_tPvRmT2_T3_T4_T5_mT6_T7_P12ihipStream_tbENKUlT_T0_E_clISt17integral_constantIbLb1EESZ_EEDaSU_SV_EUlSU_E_NS1_11comp_targetILNS1_3genE10ELNS1_11target_archE1200ELNS1_3gpuE4ELNS1_3repE0EEENS1_30default_config_static_selectorELNS0_4arch9wavefront6targetE1EEEvT1_
		.amdhsa_group_segment_fixed_size 0
		.amdhsa_private_segment_fixed_size 0
		.amdhsa_kernarg_size 112
		.amdhsa_user_sgpr_count 6
		.amdhsa_user_sgpr_private_segment_buffer 1
		.amdhsa_user_sgpr_dispatch_ptr 0
		.amdhsa_user_sgpr_queue_ptr 0
		.amdhsa_user_sgpr_kernarg_segment_ptr 1
		.amdhsa_user_sgpr_dispatch_id 0
		.amdhsa_user_sgpr_flat_scratch_init 0
		.amdhsa_user_sgpr_kernarg_preload_length 0
		.amdhsa_user_sgpr_kernarg_preload_offset 0
		.amdhsa_user_sgpr_private_segment_size 0
		.amdhsa_uses_dynamic_stack 0
		.amdhsa_system_sgpr_private_segment_wavefront_offset 0
		.amdhsa_system_sgpr_workgroup_id_x 1
		.amdhsa_system_sgpr_workgroup_id_y 0
		.amdhsa_system_sgpr_workgroup_id_z 0
		.amdhsa_system_sgpr_workgroup_info 0
		.amdhsa_system_vgpr_workitem_id 0
		.amdhsa_next_free_vgpr 1
		.amdhsa_next_free_sgpr 0
		.amdhsa_accum_offset 4
		.amdhsa_reserve_vcc 0
		.amdhsa_reserve_flat_scratch 0
		.amdhsa_float_round_mode_32 0
		.amdhsa_float_round_mode_16_64 0
		.amdhsa_float_denorm_mode_32 3
		.amdhsa_float_denorm_mode_16_64 3
		.amdhsa_dx10_clamp 1
		.amdhsa_ieee_mode 1
		.amdhsa_fp16_overflow 0
		.amdhsa_tg_split 0
		.amdhsa_exception_fp_ieee_invalid_op 0
		.amdhsa_exception_fp_denorm_src 0
		.amdhsa_exception_fp_ieee_div_zero 0
		.amdhsa_exception_fp_ieee_overflow 0
		.amdhsa_exception_fp_ieee_underflow 0
		.amdhsa_exception_fp_ieee_inexact 0
		.amdhsa_exception_int_div_zero 0
	.end_amdhsa_kernel
	.section	.text._ZN7rocprim17ROCPRIM_400000_NS6detail17trampoline_kernelINS0_14default_configENS1_27scan_by_key_config_selectorIiiEEZZNS1_16scan_by_key_implILNS1_25lookback_scan_determinismE0ELb0ES3_N6thrust23THRUST_200600_302600_NS6detail15normal_iteratorINS9_10device_ptrIiEEEESE_SE_iNS9_4plusIvEENS9_8equal_toIvEEiEE10hipError_tPvRmT2_T3_T4_T5_mT6_T7_P12ihipStream_tbENKUlT_T0_E_clISt17integral_constantIbLb1EESZ_EEDaSU_SV_EUlSU_E_NS1_11comp_targetILNS1_3genE10ELNS1_11target_archE1200ELNS1_3gpuE4ELNS1_3repE0EEENS1_30default_config_static_selectorELNS0_4arch9wavefront6targetE1EEEvT1_,"axG",@progbits,_ZN7rocprim17ROCPRIM_400000_NS6detail17trampoline_kernelINS0_14default_configENS1_27scan_by_key_config_selectorIiiEEZZNS1_16scan_by_key_implILNS1_25lookback_scan_determinismE0ELb0ES3_N6thrust23THRUST_200600_302600_NS6detail15normal_iteratorINS9_10device_ptrIiEEEESE_SE_iNS9_4plusIvEENS9_8equal_toIvEEiEE10hipError_tPvRmT2_T3_T4_T5_mT6_T7_P12ihipStream_tbENKUlT_T0_E_clISt17integral_constantIbLb1EESZ_EEDaSU_SV_EUlSU_E_NS1_11comp_targetILNS1_3genE10ELNS1_11target_archE1200ELNS1_3gpuE4ELNS1_3repE0EEENS1_30default_config_static_selectorELNS0_4arch9wavefront6targetE1EEEvT1_,comdat
.Lfunc_end20:
	.size	_ZN7rocprim17ROCPRIM_400000_NS6detail17trampoline_kernelINS0_14default_configENS1_27scan_by_key_config_selectorIiiEEZZNS1_16scan_by_key_implILNS1_25lookback_scan_determinismE0ELb0ES3_N6thrust23THRUST_200600_302600_NS6detail15normal_iteratorINS9_10device_ptrIiEEEESE_SE_iNS9_4plusIvEENS9_8equal_toIvEEiEE10hipError_tPvRmT2_T3_T4_T5_mT6_T7_P12ihipStream_tbENKUlT_T0_E_clISt17integral_constantIbLb1EESZ_EEDaSU_SV_EUlSU_E_NS1_11comp_targetILNS1_3genE10ELNS1_11target_archE1200ELNS1_3gpuE4ELNS1_3repE0EEENS1_30default_config_static_selectorELNS0_4arch9wavefront6targetE1EEEvT1_, .Lfunc_end20-_ZN7rocprim17ROCPRIM_400000_NS6detail17trampoline_kernelINS0_14default_configENS1_27scan_by_key_config_selectorIiiEEZZNS1_16scan_by_key_implILNS1_25lookback_scan_determinismE0ELb0ES3_N6thrust23THRUST_200600_302600_NS6detail15normal_iteratorINS9_10device_ptrIiEEEESE_SE_iNS9_4plusIvEENS9_8equal_toIvEEiEE10hipError_tPvRmT2_T3_T4_T5_mT6_T7_P12ihipStream_tbENKUlT_T0_E_clISt17integral_constantIbLb1EESZ_EEDaSU_SV_EUlSU_E_NS1_11comp_targetILNS1_3genE10ELNS1_11target_archE1200ELNS1_3gpuE4ELNS1_3repE0EEENS1_30default_config_static_selectorELNS0_4arch9wavefront6targetE1EEEvT1_
                                        ; -- End function
	.section	.AMDGPU.csdata,"",@progbits
; Kernel info:
; codeLenInByte = 0
; NumSgprs: 4
; NumVgprs: 0
; NumAgprs: 0
; TotalNumVgprs: 0
; ScratchSize: 0
; MemoryBound: 0
; FloatMode: 240
; IeeeMode: 1
; LDSByteSize: 0 bytes/workgroup (compile time only)
; SGPRBlocks: 0
; VGPRBlocks: 0
; NumSGPRsForWavesPerEU: 4
; NumVGPRsForWavesPerEU: 1
; AccumOffset: 4
; Occupancy: 8
; WaveLimiterHint : 0
; COMPUTE_PGM_RSRC2:SCRATCH_EN: 0
; COMPUTE_PGM_RSRC2:USER_SGPR: 6
; COMPUTE_PGM_RSRC2:TRAP_HANDLER: 0
; COMPUTE_PGM_RSRC2:TGID_X_EN: 1
; COMPUTE_PGM_RSRC2:TGID_Y_EN: 0
; COMPUTE_PGM_RSRC2:TGID_Z_EN: 0
; COMPUTE_PGM_RSRC2:TIDIG_COMP_CNT: 0
; COMPUTE_PGM_RSRC3_GFX90A:ACCUM_OFFSET: 0
; COMPUTE_PGM_RSRC3_GFX90A:TG_SPLIT: 0
	.section	.text._ZN7rocprim17ROCPRIM_400000_NS6detail17trampoline_kernelINS0_14default_configENS1_27scan_by_key_config_selectorIiiEEZZNS1_16scan_by_key_implILNS1_25lookback_scan_determinismE0ELb0ES3_N6thrust23THRUST_200600_302600_NS6detail15normal_iteratorINS9_10device_ptrIiEEEESE_SE_iNS9_4plusIvEENS9_8equal_toIvEEiEE10hipError_tPvRmT2_T3_T4_T5_mT6_T7_P12ihipStream_tbENKUlT_T0_E_clISt17integral_constantIbLb1EESZ_EEDaSU_SV_EUlSU_E_NS1_11comp_targetILNS1_3genE9ELNS1_11target_archE1100ELNS1_3gpuE3ELNS1_3repE0EEENS1_30default_config_static_selectorELNS0_4arch9wavefront6targetE1EEEvT1_,"axG",@progbits,_ZN7rocprim17ROCPRIM_400000_NS6detail17trampoline_kernelINS0_14default_configENS1_27scan_by_key_config_selectorIiiEEZZNS1_16scan_by_key_implILNS1_25lookback_scan_determinismE0ELb0ES3_N6thrust23THRUST_200600_302600_NS6detail15normal_iteratorINS9_10device_ptrIiEEEESE_SE_iNS9_4plusIvEENS9_8equal_toIvEEiEE10hipError_tPvRmT2_T3_T4_T5_mT6_T7_P12ihipStream_tbENKUlT_T0_E_clISt17integral_constantIbLb1EESZ_EEDaSU_SV_EUlSU_E_NS1_11comp_targetILNS1_3genE9ELNS1_11target_archE1100ELNS1_3gpuE3ELNS1_3repE0EEENS1_30default_config_static_selectorELNS0_4arch9wavefront6targetE1EEEvT1_,comdat
	.protected	_ZN7rocprim17ROCPRIM_400000_NS6detail17trampoline_kernelINS0_14default_configENS1_27scan_by_key_config_selectorIiiEEZZNS1_16scan_by_key_implILNS1_25lookback_scan_determinismE0ELb0ES3_N6thrust23THRUST_200600_302600_NS6detail15normal_iteratorINS9_10device_ptrIiEEEESE_SE_iNS9_4plusIvEENS9_8equal_toIvEEiEE10hipError_tPvRmT2_T3_T4_T5_mT6_T7_P12ihipStream_tbENKUlT_T0_E_clISt17integral_constantIbLb1EESZ_EEDaSU_SV_EUlSU_E_NS1_11comp_targetILNS1_3genE9ELNS1_11target_archE1100ELNS1_3gpuE3ELNS1_3repE0EEENS1_30default_config_static_selectorELNS0_4arch9wavefront6targetE1EEEvT1_ ; -- Begin function _ZN7rocprim17ROCPRIM_400000_NS6detail17trampoline_kernelINS0_14default_configENS1_27scan_by_key_config_selectorIiiEEZZNS1_16scan_by_key_implILNS1_25lookback_scan_determinismE0ELb0ES3_N6thrust23THRUST_200600_302600_NS6detail15normal_iteratorINS9_10device_ptrIiEEEESE_SE_iNS9_4plusIvEENS9_8equal_toIvEEiEE10hipError_tPvRmT2_T3_T4_T5_mT6_T7_P12ihipStream_tbENKUlT_T0_E_clISt17integral_constantIbLb1EESZ_EEDaSU_SV_EUlSU_E_NS1_11comp_targetILNS1_3genE9ELNS1_11target_archE1100ELNS1_3gpuE3ELNS1_3repE0EEENS1_30default_config_static_selectorELNS0_4arch9wavefront6targetE1EEEvT1_
	.globl	_ZN7rocprim17ROCPRIM_400000_NS6detail17trampoline_kernelINS0_14default_configENS1_27scan_by_key_config_selectorIiiEEZZNS1_16scan_by_key_implILNS1_25lookback_scan_determinismE0ELb0ES3_N6thrust23THRUST_200600_302600_NS6detail15normal_iteratorINS9_10device_ptrIiEEEESE_SE_iNS9_4plusIvEENS9_8equal_toIvEEiEE10hipError_tPvRmT2_T3_T4_T5_mT6_T7_P12ihipStream_tbENKUlT_T0_E_clISt17integral_constantIbLb1EESZ_EEDaSU_SV_EUlSU_E_NS1_11comp_targetILNS1_3genE9ELNS1_11target_archE1100ELNS1_3gpuE3ELNS1_3repE0EEENS1_30default_config_static_selectorELNS0_4arch9wavefront6targetE1EEEvT1_
	.p2align	8
	.type	_ZN7rocprim17ROCPRIM_400000_NS6detail17trampoline_kernelINS0_14default_configENS1_27scan_by_key_config_selectorIiiEEZZNS1_16scan_by_key_implILNS1_25lookback_scan_determinismE0ELb0ES3_N6thrust23THRUST_200600_302600_NS6detail15normal_iteratorINS9_10device_ptrIiEEEESE_SE_iNS9_4plusIvEENS9_8equal_toIvEEiEE10hipError_tPvRmT2_T3_T4_T5_mT6_T7_P12ihipStream_tbENKUlT_T0_E_clISt17integral_constantIbLb1EESZ_EEDaSU_SV_EUlSU_E_NS1_11comp_targetILNS1_3genE9ELNS1_11target_archE1100ELNS1_3gpuE3ELNS1_3repE0EEENS1_30default_config_static_selectorELNS0_4arch9wavefront6targetE1EEEvT1_,@function
_ZN7rocprim17ROCPRIM_400000_NS6detail17trampoline_kernelINS0_14default_configENS1_27scan_by_key_config_selectorIiiEEZZNS1_16scan_by_key_implILNS1_25lookback_scan_determinismE0ELb0ES3_N6thrust23THRUST_200600_302600_NS6detail15normal_iteratorINS9_10device_ptrIiEEEESE_SE_iNS9_4plusIvEENS9_8equal_toIvEEiEE10hipError_tPvRmT2_T3_T4_T5_mT6_T7_P12ihipStream_tbENKUlT_T0_E_clISt17integral_constantIbLb1EESZ_EEDaSU_SV_EUlSU_E_NS1_11comp_targetILNS1_3genE9ELNS1_11target_archE1100ELNS1_3gpuE3ELNS1_3repE0EEENS1_30default_config_static_selectorELNS0_4arch9wavefront6targetE1EEEvT1_: ; @_ZN7rocprim17ROCPRIM_400000_NS6detail17trampoline_kernelINS0_14default_configENS1_27scan_by_key_config_selectorIiiEEZZNS1_16scan_by_key_implILNS1_25lookback_scan_determinismE0ELb0ES3_N6thrust23THRUST_200600_302600_NS6detail15normal_iteratorINS9_10device_ptrIiEEEESE_SE_iNS9_4plusIvEENS9_8equal_toIvEEiEE10hipError_tPvRmT2_T3_T4_T5_mT6_T7_P12ihipStream_tbENKUlT_T0_E_clISt17integral_constantIbLb1EESZ_EEDaSU_SV_EUlSU_E_NS1_11comp_targetILNS1_3genE9ELNS1_11target_archE1100ELNS1_3gpuE3ELNS1_3repE0EEENS1_30default_config_static_selectorELNS0_4arch9wavefront6targetE1EEEvT1_
; %bb.0:
	.section	.rodata,"a",@progbits
	.p2align	6, 0x0
	.amdhsa_kernel _ZN7rocprim17ROCPRIM_400000_NS6detail17trampoline_kernelINS0_14default_configENS1_27scan_by_key_config_selectorIiiEEZZNS1_16scan_by_key_implILNS1_25lookback_scan_determinismE0ELb0ES3_N6thrust23THRUST_200600_302600_NS6detail15normal_iteratorINS9_10device_ptrIiEEEESE_SE_iNS9_4plusIvEENS9_8equal_toIvEEiEE10hipError_tPvRmT2_T3_T4_T5_mT6_T7_P12ihipStream_tbENKUlT_T0_E_clISt17integral_constantIbLb1EESZ_EEDaSU_SV_EUlSU_E_NS1_11comp_targetILNS1_3genE9ELNS1_11target_archE1100ELNS1_3gpuE3ELNS1_3repE0EEENS1_30default_config_static_selectorELNS0_4arch9wavefront6targetE1EEEvT1_
		.amdhsa_group_segment_fixed_size 0
		.amdhsa_private_segment_fixed_size 0
		.amdhsa_kernarg_size 112
		.amdhsa_user_sgpr_count 6
		.amdhsa_user_sgpr_private_segment_buffer 1
		.amdhsa_user_sgpr_dispatch_ptr 0
		.amdhsa_user_sgpr_queue_ptr 0
		.amdhsa_user_sgpr_kernarg_segment_ptr 1
		.amdhsa_user_sgpr_dispatch_id 0
		.amdhsa_user_sgpr_flat_scratch_init 0
		.amdhsa_user_sgpr_kernarg_preload_length 0
		.amdhsa_user_sgpr_kernarg_preload_offset 0
		.amdhsa_user_sgpr_private_segment_size 0
		.amdhsa_uses_dynamic_stack 0
		.amdhsa_system_sgpr_private_segment_wavefront_offset 0
		.amdhsa_system_sgpr_workgroup_id_x 1
		.amdhsa_system_sgpr_workgroup_id_y 0
		.amdhsa_system_sgpr_workgroup_id_z 0
		.amdhsa_system_sgpr_workgroup_info 0
		.amdhsa_system_vgpr_workitem_id 0
		.amdhsa_next_free_vgpr 1
		.amdhsa_next_free_sgpr 0
		.amdhsa_accum_offset 4
		.amdhsa_reserve_vcc 0
		.amdhsa_reserve_flat_scratch 0
		.amdhsa_float_round_mode_32 0
		.amdhsa_float_round_mode_16_64 0
		.amdhsa_float_denorm_mode_32 3
		.amdhsa_float_denorm_mode_16_64 3
		.amdhsa_dx10_clamp 1
		.amdhsa_ieee_mode 1
		.amdhsa_fp16_overflow 0
		.amdhsa_tg_split 0
		.amdhsa_exception_fp_ieee_invalid_op 0
		.amdhsa_exception_fp_denorm_src 0
		.amdhsa_exception_fp_ieee_div_zero 0
		.amdhsa_exception_fp_ieee_overflow 0
		.amdhsa_exception_fp_ieee_underflow 0
		.amdhsa_exception_fp_ieee_inexact 0
		.amdhsa_exception_int_div_zero 0
	.end_amdhsa_kernel
	.section	.text._ZN7rocprim17ROCPRIM_400000_NS6detail17trampoline_kernelINS0_14default_configENS1_27scan_by_key_config_selectorIiiEEZZNS1_16scan_by_key_implILNS1_25lookback_scan_determinismE0ELb0ES3_N6thrust23THRUST_200600_302600_NS6detail15normal_iteratorINS9_10device_ptrIiEEEESE_SE_iNS9_4plusIvEENS9_8equal_toIvEEiEE10hipError_tPvRmT2_T3_T4_T5_mT6_T7_P12ihipStream_tbENKUlT_T0_E_clISt17integral_constantIbLb1EESZ_EEDaSU_SV_EUlSU_E_NS1_11comp_targetILNS1_3genE9ELNS1_11target_archE1100ELNS1_3gpuE3ELNS1_3repE0EEENS1_30default_config_static_selectorELNS0_4arch9wavefront6targetE1EEEvT1_,"axG",@progbits,_ZN7rocprim17ROCPRIM_400000_NS6detail17trampoline_kernelINS0_14default_configENS1_27scan_by_key_config_selectorIiiEEZZNS1_16scan_by_key_implILNS1_25lookback_scan_determinismE0ELb0ES3_N6thrust23THRUST_200600_302600_NS6detail15normal_iteratorINS9_10device_ptrIiEEEESE_SE_iNS9_4plusIvEENS9_8equal_toIvEEiEE10hipError_tPvRmT2_T3_T4_T5_mT6_T7_P12ihipStream_tbENKUlT_T0_E_clISt17integral_constantIbLb1EESZ_EEDaSU_SV_EUlSU_E_NS1_11comp_targetILNS1_3genE9ELNS1_11target_archE1100ELNS1_3gpuE3ELNS1_3repE0EEENS1_30default_config_static_selectorELNS0_4arch9wavefront6targetE1EEEvT1_,comdat
.Lfunc_end21:
	.size	_ZN7rocprim17ROCPRIM_400000_NS6detail17trampoline_kernelINS0_14default_configENS1_27scan_by_key_config_selectorIiiEEZZNS1_16scan_by_key_implILNS1_25lookback_scan_determinismE0ELb0ES3_N6thrust23THRUST_200600_302600_NS6detail15normal_iteratorINS9_10device_ptrIiEEEESE_SE_iNS9_4plusIvEENS9_8equal_toIvEEiEE10hipError_tPvRmT2_T3_T4_T5_mT6_T7_P12ihipStream_tbENKUlT_T0_E_clISt17integral_constantIbLb1EESZ_EEDaSU_SV_EUlSU_E_NS1_11comp_targetILNS1_3genE9ELNS1_11target_archE1100ELNS1_3gpuE3ELNS1_3repE0EEENS1_30default_config_static_selectorELNS0_4arch9wavefront6targetE1EEEvT1_, .Lfunc_end21-_ZN7rocprim17ROCPRIM_400000_NS6detail17trampoline_kernelINS0_14default_configENS1_27scan_by_key_config_selectorIiiEEZZNS1_16scan_by_key_implILNS1_25lookback_scan_determinismE0ELb0ES3_N6thrust23THRUST_200600_302600_NS6detail15normal_iteratorINS9_10device_ptrIiEEEESE_SE_iNS9_4plusIvEENS9_8equal_toIvEEiEE10hipError_tPvRmT2_T3_T4_T5_mT6_T7_P12ihipStream_tbENKUlT_T0_E_clISt17integral_constantIbLb1EESZ_EEDaSU_SV_EUlSU_E_NS1_11comp_targetILNS1_3genE9ELNS1_11target_archE1100ELNS1_3gpuE3ELNS1_3repE0EEENS1_30default_config_static_selectorELNS0_4arch9wavefront6targetE1EEEvT1_
                                        ; -- End function
	.section	.AMDGPU.csdata,"",@progbits
; Kernel info:
; codeLenInByte = 0
; NumSgprs: 4
; NumVgprs: 0
; NumAgprs: 0
; TotalNumVgprs: 0
; ScratchSize: 0
; MemoryBound: 0
; FloatMode: 240
; IeeeMode: 1
; LDSByteSize: 0 bytes/workgroup (compile time only)
; SGPRBlocks: 0
; VGPRBlocks: 0
; NumSGPRsForWavesPerEU: 4
; NumVGPRsForWavesPerEU: 1
; AccumOffset: 4
; Occupancy: 8
; WaveLimiterHint : 0
; COMPUTE_PGM_RSRC2:SCRATCH_EN: 0
; COMPUTE_PGM_RSRC2:USER_SGPR: 6
; COMPUTE_PGM_RSRC2:TRAP_HANDLER: 0
; COMPUTE_PGM_RSRC2:TGID_X_EN: 1
; COMPUTE_PGM_RSRC2:TGID_Y_EN: 0
; COMPUTE_PGM_RSRC2:TGID_Z_EN: 0
; COMPUTE_PGM_RSRC2:TIDIG_COMP_CNT: 0
; COMPUTE_PGM_RSRC3_GFX90A:ACCUM_OFFSET: 0
; COMPUTE_PGM_RSRC3_GFX90A:TG_SPLIT: 0
	.section	.text._ZN7rocprim17ROCPRIM_400000_NS6detail17trampoline_kernelINS0_14default_configENS1_27scan_by_key_config_selectorIiiEEZZNS1_16scan_by_key_implILNS1_25lookback_scan_determinismE0ELb0ES3_N6thrust23THRUST_200600_302600_NS6detail15normal_iteratorINS9_10device_ptrIiEEEESE_SE_iNS9_4plusIvEENS9_8equal_toIvEEiEE10hipError_tPvRmT2_T3_T4_T5_mT6_T7_P12ihipStream_tbENKUlT_T0_E_clISt17integral_constantIbLb1EESZ_EEDaSU_SV_EUlSU_E_NS1_11comp_targetILNS1_3genE8ELNS1_11target_archE1030ELNS1_3gpuE2ELNS1_3repE0EEENS1_30default_config_static_selectorELNS0_4arch9wavefront6targetE1EEEvT1_,"axG",@progbits,_ZN7rocprim17ROCPRIM_400000_NS6detail17trampoline_kernelINS0_14default_configENS1_27scan_by_key_config_selectorIiiEEZZNS1_16scan_by_key_implILNS1_25lookback_scan_determinismE0ELb0ES3_N6thrust23THRUST_200600_302600_NS6detail15normal_iteratorINS9_10device_ptrIiEEEESE_SE_iNS9_4plusIvEENS9_8equal_toIvEEiEE10hipError_tPvRmT2_T3_T4_T5_mT6_T7_P12ihipStream_tbENKUlT_T0_E_clISt17integral_constantIbLb1EESZ_EEDaSU_SV_EUlSU_E_NS1_11comp_targetILNS1_3genE8ELNS1_11target_archE1030ELNS1_3gpuE2ELNS1_3repE0EEENS1_30default_config_static_selectorELNS0_4arch9wavefront6targetE1EEEvT1_,comdat
	.protected	_ZN7rocprim17ROCPRIM_400000_NS6detail17trampoline_kernelINS0_14default_configENS1_27scan_by_key_config_selectorIiiEEZZNS1_16scan_by_key_implILNS1_25lookback_scan_determinismE0ELb0ES3_N6thrust23THRUST_200600_302600_NS6detail15normal_iteratorINS9_10device_ptrIiEEEESE_SE_iNS9_4plusIvEENS9_8equal_toIvEEiEE10hipError_tPvRmT2_T3_T4_T5_mT6_T7_P12ihipStream_tbENKUlT_T0_E_clISt17integral_constantIbLb1EESZ_EEDaSU_SV_EUlSU_E_NS1_11comp_targetILNS1_3genE8ELNS1_11target_archE1030ELNS1_3gpuE2ELNS1_3repE0EEENS1_30default_config_static_selectorELNS0_4arch9wavefront6targetE1EEEvT1_ ; -- Begin function _ZN7rocprim17ROCPRIM_400000_NS6detail17trampoline_kernelINS0_14default_configENS1_27scan_by_key_config_selectorIiiEEZZNS1_16scan_by_key_implILNS1_25lookback_scan_determinismE0ELb0ES3_N6thrust23THRUST_200600_302600_NS6detail15normal_iteratorINS9_10device_ptrIiEEEESE_SE_iNS9_4plusIvEENS9_8equal_toIvEEiEE10hipError_tPvRmT2_T3_T4_T5_mT6_T7_P12ihipStream_tbENKUlT_T0_E_clISt17integral_constantIbLb1EESZ_EEDaSU_SV_EUlSU_E_NS1_11comp_targetILNS1_3genE8ELNS1_11target_archE1030ELNS1_3gpuE2ELNS1_3repE0EEENS1_30default_config_static_selectorELNS0_4arch9wavefront6targetE1EEEvT1_
	.globl	_ZN7rocprim17ROCPRIM_400000_NS6detail17trampoline_kernelINS0_14default_configENS1_27scan_by_key_config_selectorIiiEEZZNS1_16scan_by_key_implILNS1_25lookback_scan_determinismE0ELb0ES3_N6thrust23THRUST_200600_302600_NS6detail15normal_iteratorINS9_10device_ptrIiEEEESE_SE_iNS9_4plusIvEENS9_8equal_toIvEEiEE10hipError_tPvRmT2_T3_T4_T5_mT6_T7_P12ihipStream_tbENKUlT_T0_E_clISt17integral_constantIbLb1EESZ_EEDaSU_SV_EUlSU_E_NS1_11comp_targetILNS1_3genE8ELNS1_11target_archE1030ELNS1_3gpuE2ELNS1_3repE0EEENS1_30default_config_static_selectorELNS0_4arch9wavefront6targetE1EEEvT1_
	.p2align	8
	.type	_ZN7rocprim17ROCPRIM_400000_NS6detail17trampoline_kernelINS0_14default_configENS1_27scan_by_key_config_selectorIiiEEZZNS1_16scan_by_key_implILNS1_25lookback_scan_determinismE0ELb0ES3_N6thrust23THRUST_200600_302600_NS6detail15normal_iteratorINS9_10device_ptrIiEEEESE_SE_iNS9_4plusIvEENS9_8equal_toIvEEiEE10hipError_tPvRmT2_T3_T4_T5_mT6_T7_P12ihipStream_tbENKUlT_T0_E_clISt17integral_constantIbLb1EESZ_EEDaSU_SV_EUlSU_E_NS1_11comp_targetILNS1_3genE8ELNS1_11target_archE1030ELNS1_3gpuE2ELNS1_3repE0EEENS1_30default_config_static_selectorELNS0_4arch9wavefront6targetE1EEEvT1_,@function
_ZN7rocprim17ROCPRIM_400000_NS6detail17trampoline_kernelINS0_14default_configENS1_27scan_by_key_config_selectorIiiEEZZNS1_16scan_by_key_implILNS1_25lookback_scan_determinismE0ELb0ES3_N6thrust23THRUST_200600_302600_NS6detail15normal_iteratorINS9_10device_ptrIiEEEESE_SE_iNS9_4plusIvEENS9_8equal_toIvEEiEE10hipError_tPvRmT2_T3_T4_T5_mT6_T7_P12ihipStream_tbENKUlT_T0_E_clISt17integral_constantIbLb1EESZ_EEDaSU_SV_EUlSU_E_NS1_11comp_targetILNS1_3genE8ELNS1_11target_archE1030ELNS1_3gpuE2ELNS1_3repE0EEENS1_30default_config_static_selectorELNS0_4arch9wavefront6targetE1EEEvT1_: ; @_ZN7rocprim17ROCPRIM_400000_NS6detail17trampoline_kernelINS0_14default_configENS1_27scan_by_key_config_selectorIiiEEZZNS1_16scan_by_key_implILNS1_25lookback_scan_determinismE0ELb0ES3_N6thrust23THRUST_200600_302600_NS6detail15normal_iteratorINS9_10device_ptrIiEEEESE_SE_iNS9_4plusIvEENS9_8equal_toIvEEiEE10hipError_tPvRmT2_T3_T4_T5_mT6_T7_P12ihipStream_tbENKUlT_T0_E_clISt17integral_constantIbLb1EESZ_EEDaSU_SV_EUlSU_E_NS1_11comp_targetILNS1_3genE8ELNS1_11target_archE1030ELNS1_3gpuE2ELNS1_3repE0EEENS1_30default_config_static_selectorELNS0_4arch9wavefront6targetE1EEEvT1_
; %bb.0:
	.section	.rodata,"a",@progbits
	.p2align	6, 0x0
	.amdhsa_kernel _ZN7rocprim17ROCPRIM_400000_NS6detail17trampoline_kernelINS0_14default_configENS1_27scan_by_key_config_selectorIiiEEZZNS1_16scan_by_key_implILNS1_25lookback_scan_determinismE0ELb0ES3_N6thrust23THRUST_200600_302600_NS6detail15normal_iteratorINS9_10device_ptrIiEEEESE_SE_iNS9_4plusIvEENS9_8equal_toIvEEiEE10hipError_tPvRmT2_T3_T4_T5_mT6_T7_P12ihipStream_tbENKUlT_T0_E_clISt17integral_constantIbLb1EESZ_EEDaSU_SV_EUlSU_E_NS1_11comp_targetILNS1_3genE8ELNS1_11target_archE1030ELNS1_3gpuE2ELNS1_3repE0EEENS1_30default_config_static_selectorELNS0_4arch9wavefront6targetE1EEEvT1_
		.amdhsa_group_segment_fixed_size 0
		.amdhsa_private_segment_fixed_size 0
		.amdhsa_kernarg_size 112
		.amdhsa_user_sgpr_count 6
		.amdhsa_user_sgpr_private_segment_buffer 1
		.amdhsa_user_sgpr_dispatch_ptr 0
		.amdhsa_user_sgpr_queue_ptr 0
		.amdhsa_user_sgpr_kernarg_segment_ptr 1
		.amdhsa_user_sgpr_dispatch_id 0
		.amdhsa_user_sgpr_flat_scratch_init 0
		.amdhsa_user_sgpr_kernarg_preload_length 0
		.amdhsa_user_sgpr_kernarg_preload_offset 0
		.amdhsa_user_sgpr_private_segment_size 0
		.amdhsa_uses_dynamic_stack 0
		.amdhsa_system_sgpr_private_segment_wavefront_offset 0
		.amdhsa_system_sgpr_workgroup_id_x 1
		.amdhsa_system_sgpr_workgroup_id_y 0
		.amdhsa_system_sgpr_workgroup_id_z 0
		.amdhsa_system_sgpr_workgroup_info 0
		.amdhsa_system_vgpr_workitem_id 0
		.amdhsa_next_free_vgpr 1
		.amdhsa_next_free_sgpr 0
		.amdhsa_accum_offset 4
		.amdhsa_reserve_vcc 0
		.amdhsa_reserve_flat_scratch 0
		.amdhsa_float_round_mode_32 0
		.amdhsa_float_round_mode_16_64 0
		.amdhsa_float_denorm_mode_32 3
		.amdhsa_float_denorm_mode_16_64 3
		.amdhsa_dx10_clamp 1
		.amdhsa_ieee_mode 1
		.amdhsa_fp16_overflow 0
		.amdhsa_tg_split 0
		.amdhsa_exception_fp_ieee_invalid_op 0
		.amdhsa_exception_fp_denorm_src 0
		.amdhsa_exception_fp_ieee_div_zero 0
		.amdhsa_exception_fp_ieee_overflow 0
		.amdhsa_exception_fp_ieee_underflow 0
		.amdhsa_exception_fp_ieee_inexact 0
		.amdhsa_exception_int_div_zero 0
	.end_amdhsa_kernel
	.section	.text._ZN7rocprim17ROCPRIM_400000_NS6detail17trampoline_kernelINS0_14default_configENS1_27scan_by_key_config_selectorIiiEEZZNS1_16scan_by_key_implILNS1_25lookback_scan_determinismE0ELb0ES3_N6thrust23THRUST_200600_302600_NS6detail15normal_iteratorINS9_10device_ptrIiEEEESE_SE_iNS9_4plusIvEENS9_8equal_toIvEEiEE10hipError_tPvRmT2_T3_T4_T5_mT6_T7_P12ihipStream_tbENKUlT_T0_E_clISt17integral_constantIbLb1EESZ_EEDaSU_SV_EUlSU_E_NS1_11comp_targetILNS1_3genE8ELNS1_11target_archE1030ELNS1_3gpuE2ELNS1_3repE0EEENS1_30default_config_static_selectorELNS0_4arch9wavefront6targetE1EEEvT1_,"axG",@progbits,_ZN7rocprim17ROCPRIM_400000_NS6detail17trampoline_kernelINS0_14default_configENS1_27scan_by_key_config_selectorIiiEEZZNS1_16scan_by_key_implILNS1_25lookback_scan_determinismE0ELb0ES3_N6thrust23THRUST_200600_302600_NS6detail15normal_iteratorINS9_10device_ptrIiEEEESE_SE_iNS9_4plusIvEENS9_8equal_toIvEEiEE10hipError_tPvRmT2_T3_T4_T5_mT6_T7_P12ihipStream_tbENKUlT_T0_E_clISt17integral_constantIbLb1EESZ_EEDaSU_SV_EUlSU_E_NS1_11comp_targetILNS1_3genE8ELNS1_11target_archE1030ELNS1_3gpuE2ELNS1_3repE0EEENS1_30default_config_static_selectorELNS0_4arch9wavefront6targetE1EEEvT1_,comdat
.Lfunc_end22:
	.size	_ZN7rocprim17ROCPRIM_400000_NS6detail17trampoline_kernelINS0_14default_configENS1_27scan_by_key_config_selectorIiiEEZZNS1_16scan_by_key_implILNS1_25lookback_scan_determinismE0ELb0ES3_N6thrust23THRUST_200600_302600_NS6detail15normal_iteratorINS9_10device_ptrIiEEEESE_SE_iNS9_4plusIvEENS9_8equal_toIvEEiEE10hipError_tPvRmT2_T3_T4_T5_mT6_T7_P12ihipStream_tbENKUlT_T0_E_clISt17integral_constantIbLb1EESZ_EEDaSU_SV_EUlSU_E_NS1_11comp_targetILNS1_3genE8ELNS1_11target_archE1030ELNS1_3gpuE2ELNS1_3repE0EEENS1_30default_config_static_selectorELNS0_4arch9wavefront6targetE1EEEvT1_, .Lfunc_end22-_ZN7rocprim17ROCPRIM_400000_NS6detail17trampoline_kernelINS0_14default_configENS1_27scan_by_key_config_selectorIiiEEZZNS1_16scan_by_key_implILNS1_25lookback_scan_determinismE0ELb0ES3_N6thrust23THRUST_200600_302600_NS6detail15normal_iteratorINS9_10device_ptrIiEEEESE_SE_iNS9_4plusIvEENS9_8equal_toIvEEiEE10hipError_tPvRmT2_T3_T4_T5_mT6_T7_P12ihipStream_tbENKUlT_T0_E_clISt17integral_constantIbLb1EESZ_EEDaSU_SV_EUlSU_E_NS1_11comp_targetILNS1_3genE8ELNS1_11target_archE1030ELNS1_3gpuE2ELNS1_3repE0EEENS1_30default_config_static_selectorELNS0_4arch9wavefront6targetE1EEEvT1_
                                        ; -- End function
	.section	.AMDGPU.csdata,"",@progbits
; Kernel info:
; codeLenInByte = 0
; NumSgprs: 4
; NumVgprs: 0
; NumAgprs: 0
; TotalNumVgprs: 0
; ScratchSize: 0
; MemoryBound: 0
; FloatMode: 240
; IeeeMode: 1
; LDSByteSize: 0 bytes/workgroup (compile time only)
; SGPRBlocks: 0
; VGPRBlocks: 0
; NumSGPRsForWavesPerEU: 4
; NumVGPRsForWavesPerEU: 1
; AccumOffset: 4
; Occupancy: 8
; WaveLimiterHint : 0
; COMPUTE_PGM_RSRC2:SCRATCH_EN: 0
; COMPUTE_PGM_RSRC2:USER_SGPR: 6
; COMPUTE_PGM_RSRC2:TRAP_HANDLER: 0
; COMPUTE_PGM_RSRC2:TGID_X_EN: 1
; COMPUTE_PGM_RSRC2:TGID_Y_EN: 0
; COMPUTE_PGM_RSRC2:TGID_Z_EN: 0
; COMPUTE_PGM_RSRC2:TIDIG_COMP_CNT: 0
; COMPUTE_PGM_RSRC3_GFX90A:ACCUM_OFFSET: 0
; COMPUTE_PGM_RSRC3_GFX90A:TG_SPLIT: 0
	.section	.text._ZN7rocprim17ROCPRIM_400000_NS6detail30init_device_scan_by_key_kernelINS1_19lookback_scan_stateINS0_5tupleIJibEEELb1ELb1EEEN6thrust23THRUST_200600_302600_NS6detail15normal_iteratorINS8_10device_ptrIiEEEEjNS1_16block_id_wrapperIjLb0EEEEEvT_jjPNSG_10value_typeET0_PNSt15iterator_traitsISJ_E10value_typeEmT1_T2_,"axG",@progbits,_ZN7rocprim17ROCPRIM_400000_NS6detail30init_device_scan_by_key_kernelINS1_19lookback_scan_stateINS0_5tupleIJibEEELb1ELb1EEEN6thrust23THRUST_200600_302600_NS6detail15normal_iteratorINS8_10device_ptrIiEEEEjNS1_16block_id_wrapperIjLb0EEEEEvT_jjPNSG_10value_typeET0_PNSt15iterator_traitsISJ_E10value_typeEmT1_T2_,comdat
	.protected	_ZN7rocprim17ROCPRIM_400000_NS6detail30init_device_scan_by_key_kernelINS1_19lookback_scan_stateINS0_5tupleIJibEEELb1ELb1EEEN6thrust23THRUST_200600_302600_NS6detail15normal_iteratorINS8_10device_ptrIiEEEEjNS1_16block_id_wrapperIjLb0EEEEEvT_jjPNSG_10value_typeET0_PNSt15iterator_traitsISJ_E10value_typeEmT1_T2_ ; -- Begin function _ZN7rocprim17ROCPRIM_400000_NS6detail30init_device_scan_by_key_kernelINS1_19lookback_scan_stateINS0_5tupleIJibEEELb1ELb1EEEN6thrust23THRUST_200600_302600_NS6detail15normal_iteratorINS8_10device_ptrIiEEEEjNS1_16block_id_wrapperIjLb0EEEEEvT_jjPNSG_10value_typeET0_PNSt15iterator_traitsISJ_E10value_typeEmT1_T2_
	.globl	_ZN7rocprim17ROCPRIM_400000_NS6detail30init_device_scan_by_key_kernelINS1_19lookback_scan_stateINS0_5tupleIJibEEELb1ELb1EEEN6thrust23THRUST_200600_302600_NS6detail15normal_iteratorINS8_10device_ptrIiEEEEjNS1_16block_id_wrapperIjLb0EEEEEvT_jjPNSG_10value_typeET0_PNSt15iterator_traitsISJ_E10value_typeEmT1_T2_
	.p2align	8
	.type	_ZN7rocprim17ROCPRIM_400000_NS6detail30init_device_scan_by_key_kernelINS1_19lookback_scan_stateINS0_5tupleIJibEEELb1ELb1EEEN6thrust23THRUST_200600_302600_NS6detail15normal_iteratorINS8_10device_ptrIiEEEEjNS1_16block_id_wrapperIjLb0EEEEEvT_jjPNSG_10value_typeET0_PNSt15iterator_traitsISJ_E10value_typeEmT1_T2_,@function
_ZN7rocprim17ROCPRIM_400000_NS6detail30init_device_scan_by_key_kernelINS1_19lookback_scan_stateINS0_5tupleIJibEEELb1ELb1EEEN6thrust23THRUST_200600_302600_NS6detail15normal_iteratorINS8_10device_ptrIiEEEEjNS1_16block_id_wrapperIjLb0EEEEEvT_jjPNSG_10value_typeET0_PNSt15iterator_traitsISJ_E10value_typeEmT1_T2_: ; @_ZN7rocprim17ROCPRIM_400000_NS6detail30init_device_scan_by_key_kernelINS1_19lookback_scan_stateINS0_5tupleIJibEEELb1ELb1EEEN6thrust23THRUST_200600_302600_NS6detail15normal_iteratorINS8_10device_ptrIiEEEEjNS1_16block_id_wrapperIjLb0EEEEEvT_jjPNSG_10value_typeET0_PNSt15iterator_traitsISJ_E10value_typeEmT1_T2_
; %bb.0:
	s_load_dword s0, s[4:5], 0x44
	s_load_dwordx8 s[8:15], s[4:5], 0x0
	s_load_dword s18, s[4:5], 0x38
	s_waitcnt lgkmcnt(0)
	s_and_b32 s19, s0, 0xffff
	s_mul_i32 s6, s6, s19
	s_cmp_eq_u64 s[12:13], 0
	v_add_u32_e32 v4, s6, v0
	s_cbranch_scc1 .LBB23_10
; %bb.1:
	s_cmp_lt_u32 s11, s10
	s_cselect_b32 s0, s11, 0
	s_mov_b32 s3, 0
	v_cmp_eq_u32_e32 vcc, s0, v4
	s_and_saveexec_b64 s[0:1], vcc
	s_cbranch_execz .LBB23_9
; %bb.2:
	s_add_i32 s2, s11, 64
	s_lshl_b64 s[2:3], s[2:3], 4
	s_add_u32 s16, s8, s2
	s_addc_u32 s17, s9, s3
	v_pk_mov_b32 v[0:1], s[16:17], s[16:17] op_sel:[0,1]
	;;#ASMSTART
	global_load_dwordx4 v[0:3], v[0:1] off glc	
s_waitcnt vmcnt(0)
	;;#ASMEND
	v_mov_b32_e32 v7, 0
	v_and_b32_e32 v6, 0xff, v2
	s_mov_b64 s[6:7], 0
	v_cmp_eq_u64_e32 vcc, 0, v[6:7]
	s_and_saveexec_b64 s[2:3], vcc
	s_cbranch_execz .LBB23_8
; %bb.3:
	s_mov_b32 s11, 1
	v_pk_mov_b32 v[8:9], s[16:17], s[16:17] op_sel:[0,1]
.LBB23_4:                               ; =>This Loop Header: Depth=1
                                        ;     Child Loop BB23_5 Depth 2
	s_max_u32 s16, s11, 1
.LBB23_5:                               ;   Parent Loop BB23_4 Depth=1
                                        ; =>  This Inner Loop Header: Depth=2
	s_add_i32 s16, s16, -1
	s_cmp_eq_u32 s16, 0
	s_sleep 1
	s_cbranch_scc0 .LBB23_5
; %bb.6:                                ;   in Loop: Header=BB23_4 Depth=1
	s_cmp_lt_u32 s11, 32
	s_cselect_b64 s[16:17], -1, 0
	s_cmp_lg_u64 s[16:17], 0
	;;#ASMSTART
	global_load_dwordx4 v[0:3], v[8:9] off glc	
s_waitcnt vmcnt(0)
	;;#ASMEND
	v_and_b32_e32 v6, 0xff, v2
	s_addc_u32 s11, s11, 0
	v_cmp_ne_u64_e32 vcc, 0, v[6:7]
	s_or_b64 s[6:7], vcc, s[6:7]
	s_andn2_b64 exec, exec, s[6:7]
	s_cbranch_execnz .LBB23_4
; %bb.7:
	s_or_b64 exec, exec, s[6:7]
.LBB23_8:
	s_or_b64 exec, exec, s[2:3]
	v_mov_b32_e32 v2, 0
	global_store_dword v2, v0, s[12:13]
	global_store_byte v2, v1, s[12:13] offset:4
.LBB23_9:
	s_or_b64 exec, exec, s[0:1]
.LBB23_10:
	v_cmp_gt_u32_e32 vcc, s10, v4
	s_and_saveexec_b64 s[0:1], vcc
	s_cbranch_execz .LBB23_12
; %bb.11:
	v_add_u32_e32 v0, 64, v4
	v_mov_b32_e32 v1, 0
	v_lshlrev_b64 v[2:3], 4, v[0:1]
	v_mov_b32_e32 v0, s9
	v_add_co_u32_e32 v6, vcc, s8, v2
	v_addc_co_u32_e32 v7, vcc, v0, v3, vcc
	v_mov_b32_e32 v0, v1
	v_mov_b32_e32 v2, v1
	;; [unrolled: 1-line block ×3, first 2 shown]
	global_store_dwordx4 v[6:7], v[0:3], off
.LBB23_12:
	s_or_b64 exec, exec, s[0:1]
	v_cmp_gt_u32_e32 vcc, 64, v4
	v_mov_b32_e32 v5, 0
	s_and_saveexec_b64 s[0:1], vcc
	s_cbranch_execz .LBB23_14
; %bb.13:
	v_lshlrev_b64 v[0:1], 4, v[4:5]
	v_mov_b32_e32 v2, s9
	v_add_co_u32_e32 v6, vcc, s8, v0
	v_addc_co_u32_e32 v7, vcc, v2, v1, vcc
	v_mov_b32_e32 v2, 0xff
	v_mov_b32_e32 v0, v5
	;; [unrolled: 1-line block ×4, first 2 shown]
	global_store_dwordx4 v[6:7], v[0:3], off
.LBB23_14:
	s_or_b64 exec, exec, s[0:1]
	s_load_dwordx2 s[0:1], s[4:5], 0x28
	s_waitcnt lgkmcnt(0)
	v_cmp_gt_u64_e32 vcc, s[0:1], v[4:5]
	s_and_saveexec_b64 s[2:3], vcc
	s_cbranch_execz .LBB23_17
; %bb.15:
	s_load_dword s10, s[4:5], 0x30
	s_load_dwordx2 s[6:7], s[4:5], 0x20
	s_mov_b32 s5, 0
	s_mov_b32 s3, s5
	s_mul_i32 s2, s18, s19
	s_waitcnt lgkmcnt(0)
	s_add_i32 s4, s10, -1
	s_lshl_b64 s[4:5], s[4:5], 2
	v_mad_u64_u32 v[0:1], s[8:9], s10, v4, 0
	s_add_u32 s4, s14, s4
	v_lshlrev_b64 v[0:1], 2, v[0:1]
	s_addc_u32 s5, s15, s5
	v_mov_b32_e32 v2, s5
	v_add_co_u32_e32 v0, vcc, s4, v0
	v_addc_co_u32_e32 v1, vcc, v2, v1, vcc
	s_mul_hi_u32 s5, s10, s2
	s_mul_i32 s4, s10, s2
	v_lshlrev_b64 v[2:3], 2, v[4:5]
	s_lshl_b64 s[4:5], s[4:5], 2
	v_mov_b32_e32 v6, s7
	v_add_co_u32_e32 v2, vcc, s6, v2
	s_lshl_b64 s[6:7], s[2:3], 2
	v_addc_co_u32_e32 v3, vcc, v6, v3, vcc
	s_mov_b64 s[8:9], 0
	v_mov_b32_e32 v6, s3
	v_mov_b32_e32 v7, s5
	;; [unrolled: 1-line block ×3, first 2 shown]
.LBB23_16:                              ; =>This Inner Loop Header: Depth=1
	global_load_dword v9, v[0:1], off
	v_add_co_u32_e32 v4, vcc, s2, v4
	v_addc_co_u32_e32 v5, vcc, v5, v6, vcc
	v_add_co_u32_e32 v0, vcc, s4, v0
	v_addc_co_u32_e32 v1, vcc, v1, v7, vcc
	v_cmp_le_u64_e32 vcc, s[0:1], v[4:5]
	s_or_b64 s[8:9], vcc, s[8:9]
	s_waitcnt vmcnt(0)
	global_store_dword v[2:3], v9, off
	v_add_co_u32_e32 v2, vcc, s6, v2
	v_addc_co_u32_e32 v3, vcc, v3, v8, vcc
	s_andn2_b64 exec, exec, s[8:9]
	s_cbranch_execnz .LBB23_16
.LBB23_17:
	s_endpgm
	.section	.rodata,"a",@progbits
	.p2align	6, 0x0
	.amdhsa_kernel _ZN7rocprim17ROCPRIM_400000_NS6detail30init_device_scan_by_key_kernelINS1_19lookback_scan_stateINS0_5tupleIJibEEELb1ELb1EEEN6thrust23THRUST_200600_302600_NS6detail15normal_iteratorINS8_10device_ptrIiEEEEjNS1_16block_id_wrapperIjLb0EEEEEvT_jjPNSG_10value_typeET0_PNSt15iterator_traitsISJ_E10value_typeEmT1_T2_
		.amdhsa_group_segment_fixed_size 0
		.amdhsa_private_segment_fixed_size 0
		.amdhsa_kernarg_size 312
		.amdhsa_user_sgpr_count 6
		.amdhsa_user_sgpr_private_segment_buffer 1
		.amdhsa_user_sgpr_dispatch_ptr 0
		.amdhsa_user_sgpr_queue_ptr 0
		.amdhsa_user_sgpr_kernarg_segment_ptr 1
		.amdhsa_user_sgpr_dispatch_id 0
		.amdhsa_user_sgpr_flat_scratch_init 0
		.amdhsa_user_sgpr_kernarg_preload_length 0
		.amdhsa_user_sgpr_kernarg_preload_offset 0
		.amdhsa_user_sgpr_private_segment_size 0
		.amdhsa_uses_dynamic_stack 0
		.amdhsa_system_sgpr_private_segment_wavefront_offset 0
		.amdhsa_system_sgpr_workgroup_id_x 1
		.amdhsa_system_sgpr_workgroup_id_y 0
		.amdhsa_system_sgpr_workgroup_id_z 0
		.amdhsa_system_sgpr_workgroup_info 0
		.amdhsa_system_vgpr_workitem_id 0
		.amdhsa_next_free_vgpr 10
		.amdhsa_next_free_sgpr 20
		.amdhsa_accum_offset 12
		.amdhsa_reserve_vcc 1
		.amdhsa_reserve_flat_scratch 0
		.amdhsa_float_round_mode_32 0
		.amdhsa_float_round_mode_16_64 0
		.amdhsa_float_denorm_mode_32 3
		.amdhsa_float_denorm_mode_16_64 3
		.amdhsa_dx10_clamp 1
		.amdhsa_ieee_mode 1
		.amdhsa_fp16_overflow 0
		.amdhsa_tg_split 0
		.amdhsa_exception_fp_ieee_invalid_op 0
		.amdhsa_exception_fp_denorm_src 0
		.amdhsa_exception_fp_ieee_div_zero 0
		.amdhsa_exception_fp_ieee_overflow 0
		.amdhsa_exception_fp_ieee_underflow 0
		.amdhsa_exception_fp_ieee_inexact 0
		.amdhsa_exception_int_div_zero 0
	.end_amdhsa_kernel
	.section	.text._ZN7rocprim17ROCPRIM_400000_NS6detail30init_device_scan_by_key_kernelINS1_19lookback_scan_stateINS0_5tupleIJibEEELb1ELb1EEEN6thrust23THRUST_200600_302600_NS6detail15normal_iteratorINS8_10device_ptrIiEEEEjNS1_16block_id_wrapperIjLb0EEEEEvT_jjPNSG_10value_typeET0_PNSt15iterator_traitsISJ_E10value_typeEmT1_T2_,"axG",@progbits,_ZN7rocprim17ROCPRIM_400000_NS6detail30init_device_scan_by_key_kernelINS1_19lookback_scan_stateINS0_5tupleIJibEEELb1ELb1EEEN6thrust23THRUST_200600_302600_NS6detail15normal_iteratorINS8_10device_ptrIiEEEEjNS1_16block_id_wrapperIjLb0EEEEEvT_jjPNSG_10value_typeET0_PNSt15iterator_traitsISJ_E10value_typeEmT1_T2_,comdat
.Lfunc_end23:
	.size	_ZN7rocprim17ROCPRIM_400000_NS6detail30init_device_scan_by_key_kernelINS1_19lookback_scan_stateINS0_5tupleIJibEEELb1ELb1EEEN6thrust23THRUST_200600_302600_NS6detail15normal_iteratorINS8_10device_ptrIiEEEEjNS1_16block_id_wrapperIjLb0EEEEEvT_jjPNSG_10value_typeET0_PNSt15iterator_traitsISJ_E10value_typeEmT1_T2_, .Lfunc_end23-_ZN7rocprim17ROCPRIM_400000_NS6detail30init_device_scan_by_key_kernelINS1_19lookback_scan_stateINS0_5tupleIJibEEELb1ELb1EEEN6thrust23THRUST_200600_302600_NS6detail15normal_iteratorINS8_10device_ptrIiEEEEjNS1_16block_id_wrapperIjLb0EEEEEvT_jjPNSG_10value_typeET0_PNSt15iterator_traitsISJ_E10value_typeEmT1_T2_
                                        ; -- End function
	.section	.AMDGPU.csdata,"",@progbits
; Kernel info:
; codeLenInByte = 612
; NumSgprs: 24
; NumVgprs: 10
; NumAgprs: 0
; TotalNumVgprs: 10
; ScratchSize: 0
; MemoryBound: 0
; FloatMode: 240
; IeeeMode: 1
; LDSByteSize: 0 bytes/workgroup (compile time only)
; SGPRBlocks: 2
; VGPRBlocks: 1
; NumSGPRsForWavesPerEU: 24
; NumVGPRsForWavesPerEU: 10
; AccumOffset: 12
; Occupancy: 8
; WaveLimiterHint : 0
; COMPUTE_PGM_RSRC2:SCRATCH_EN: 0
; COMPUTE_PGM_RSRC2:USER_SGPR: 6
; COMPUTE_PGM_RSRC2:TRAP_HANDLER: 0
; COMPUTE_PGM_RSRC2:TGID_X_EN: 1
; COMPUTE_PGM_RSRC2:TGID_Y_EN: 0
; COMPUTE_PGM_RSRC2:TGID_Z_EN: 0
; COMPUTE_PGM_RSRC2:TIDIG_COMP_CNT: 0
; COMPUTE_PGM_RSRC3_GFX90A:ACCUM_OFFSET: 2
; COMPUTE_PGM_RSRC3_GFX90A:TG_SPLIT: 0
	.section	.text._ZN7rocprim17ROCPRIM_400000_NS6detail30init_device_scan_by_key_kernelINS1_19lookback_scan_stateINS0_5tupleIJibEEELb1ELb1EEENS1_16block_id_wrapperIjLb0EEEEEvT_jjPNS9_10value_typeET0_,"axG",@progbits,_ZN7rocprim17ROCPRIM_400000_NS6detail30init_device_scan_by_key_kernelINS1_19lookback_scan_stateINS0_5tupleIJibEEELb1ELb1EEENS1_16block_id_wrapperIjLb0EEEEEvT_jjPNS9_10value_typeET0_,comdat
	.protected	_ZN7rocprim17ROCPRIM_400000_NS6detail30init_device_scan_by_key_kernelINS1_19lookback_scan_stateINS0_5tupleIJibEEELb1ELb1EEENS1_16block_id_wrapperIjLb0EEEEEvT_jjPNS9_10value_typeET0_ ; -- Begin function _ZN7rocprim17ROCPRIM_400000_NS6detail30init_device_scan_by_key_kernelINS1_19lookback_scan_stateINS0_5tupleIJibEEELb1ELb1EEENS1_16block_id_wrapperIjLb0EEEEEvT_jjPNS9_10value_typeET0_
	.globl	_ZN7rocprim17ROCPRIM_400000_NS6detail30init_device_scan_by_key_kernelINS1_19lookback_scan_stateINS0_5tupleIJibEEELb1ELb1EEENS1_16block_id_wrapperIjLb0EEEEEvT_jjPNS9_10value_typeET0_
	.p2align	8
	.type	_ZN7rocprim17ROCPRIM_400000_NS6detail30init_device_scan_by_key_kernelINS1_19lookback_scan_stateINS0_5tupleIJibEEELb1ELb1EEENS1_16block_id_wrapperIjLb0EEEEEvT_jjPNS9_10value_typeET0_,@function
_ZN7rocprim17ROCPRIM_400000_NS6detail30init_device_scan_by_key_kernelINS1_19lookback_scan_stateINS0_5tupleIJibEEELb1ELb1EEENS1_16block_id_wrapperIjLb0EEEEEvT_jjPNS9_10value_typeET0_: ; @_ZN7rocprim17ROCPRIM_400000_NS6detail30init_device_scan_by_key_kernelINS1_19lookback_scan_stateINS0_5tupleIJibEEELb1ELb1EEENS1_16block_id_wrapperIjLb0EEEEEvT_jjPNS9_10value_typeET0_
; %bb.0:
	s_load_dword s7, s[4:5], 0x2c
	s_load_dwordx2 s[8:9], s[4:5], 0x10
	s_load_dwordx4 s[0:3], s[4:5], 0x0
	s_waitcnt lgkmcnt(0)
	s_and_b32 s4, s7, 0xffff
	s_mul_i32 s6, s6, s4
	s_cmp_eq_u64 s[8:9], 0
	v_add_u32_e32 v0, s6, v0
	s_cbranch_scc1 .LBB24_10
; %bb.1:
	s_cmp_lt_u32 s3, s2
	s_cselect_b32 s4, s3, 0
	s_mov_b32 s7, 0
	v_cmp_eq_u32_e32 vcc, s4, v0
	s_and_saveexec_b64 s[4:5], vcc
	s_cbranch_execz .LBB24_9
; %bb.2:
	s_add_i32 s6, s3, 64
	s_lshl_b64 s[6:7], s[6:7], 4
	s_add_u32 s12, s0, s6
	s_addc_u32 s13, s1, s7
	v_pk_mov_b32 v[2:3], s[12:13], s[12:13] op_sel:[0,1]
	;;#ASMSTART
	global_load_dwordx4 v[2:5], v[2:3] off glc	
s_waitcnt vmcnt(0)
	;;#ASMEND
	v_mov_b32_e32 v7, 0
	v_and_b32_e32 v6, 0xff, v4
	s_mov_b64 s[10:11], 0
	v_cmp_eq_u64_e32 vcc, 0, v[6:7]
	s_and_saveexec_b64 s[6:7], vcc
	s_cbranch_execz .LBB24_8
; %bb.3:
	s_mov_b32 s3, 1
	v_pk_mov_b32 v[8:9], s[12:13], s[12:13] op_sel:[0,1]
.LBB24_4:                               ; =>This Loop Header: Depth=1
                                        ;     Child Loop BB24_5 Depth 2
	s_max_u32 s12, s3, 1
.LBB24_5:                               ;   Parent Loop BB24_4 Depth=1
                                        ; =>  This Inner Loop Header: Depth=2
	s_add_i32 s12, s12, -1
	s_cmp_eq_u32 s12, 0
	s_sleep 1
	s_cbranch_scc0 .LBB24_5
; %bb.6:                                ;   in Loop: Header=BB24_4 Depth=1
	s_cmp_lt_u32 s3, 32
	s_cselect_b64 s[12:13], -1, 0
	s_cmp_lg_u64 s[12:13], 0
	;;#ASMSTART
	global_load_dwordx4 v[2:5], v[8:9] off glc	
s_waitcnt vmcnt(0)
	;;#ASMEND
	v_and_b32_e32 v6, 0xff, v4
	s_addc_u32 s3, s3, 0
	v_cmp_ne_u64_e32 vcc, 0, v[6:7]
	s_or_b64 s[10:11], vcc, s[10:11]
	s_andn2_b64 exec, exec, s[10:11]
	s_cbranch_execnz .LBB24_4
; %bb.7:
	s_or_b64 exec, exec, s[10:11]
.LBB24_8:
	s_or_b64 exec, exec, s[6:7]
	v_mov_b32_e32 v1, 0
	global_store_dword v1, v2, s[8:9]
	global_store_byte v1, v3, s[8:9] offset:4
.LBB24_9:
	s_or_b64 exec, exec, s[4:5]
.LBB24_10:
	v_cmp_gt_u32_e32 vcc, s2, v0
	s_and_saveexec_b64 s[2:3], vcc
	s_cbranch_execnz .LBB24_13
; %bb.11:
	s_or_b64 exec, exec, s[2:3]
	v_cmp_gt_u32_e32 vcc, 64, v0
	s_and_saveexec_b64 s[2:3], vcc
	s_cbranch_execnz .LBB24_14
.LBB24_12:
	s_endpgm
.LBB24_13:
	v_add_u32_e32 v2, 64, v0
	v_mov_b32_e32 v3, 0
	v_lshlrev_b64 v[4:5], 4, v[2:3]
	v_mov_b32_e32 v1, s1
	v_add_co_u32_e32 v6, vcc, s0, v4
	v_addc_co_u32_e32 v7, vcc, v1, v5, vcc
	v_mov_b32_e32 v2, v3
	v_mov_b32_e32 v4, v3
	;; [unrolled: 1-line block ×3, first 2 shown]
	global_store_dwordx4 v[6:7], v[2:5], off
	s_or_b64 exec, exec, s[2:3]
	v_cmp_gt_u32_e32 vcc, 64, v0
	s_and_saveexec_b64 s[2:3], vcc
	s_cbranch_execz .LBB24_12
.LBB24_14:
	v_mov_b32_e32 v1, 0
	v_lshlrev_b64 v[2:3], 4, v[0:1]
	v_mov_b32_e32 v0, s1
	v_add_co_u32_e32 v4, vcc, s0, v2
	v_addc_co_u32_e32 v5, vcc, v0, v3, vcc
	v_mov_b32_e32 v2, 0xff
	v_mov_b32_e32 v0, v1
	;; [unrolled: 1-line block ×3, first 2 shown]
	global_store_dwordx4 v[4:5], v[0:3], off
	s_endpgm
	.section	.rodata,"a",@progbits
	.p2align	6, 0x0
	.amdhsa_kernel _ZN7rocprim17ROCPRIM_400000_NS6detail30init_device_scan_by_key_kernelINS1_19lookback_scan_stateINS0_5tupleIJibEEELb1ELb1EEENS1_16block_id_wrapperIjLb0EEEEEvT_jjPNS9_10value_typeET0_
		.amdhsa_group_segment_fixed_size 0
		.amdhsa_private_segment_fixed_size 0
		.amdhsa_kernarg_size 288
		.amdhsa_user_sgpr_count 6
		.amdhsa_user_sgpr_private_segment_buffer 1
		.amdhsa_user_sgpr_dispatch_ptr 0
		.amdhsa_user_sgpr_queue_ptr 0
		.amdhsa_user_sgpr_kernarg_segment_ptr 1
		.amdhsa_user_sgpr_dispatch_id 0
		.amdhsa_user_sgpr_flat_scratch_init 0
		.amdhsa_user_sgpr_kernarg_preload_length 0
		.amdhsa_user_sgpr_kernarg_preload_offset 0
		.amdhsa_user_sgpr_private_segment_size 0
		.amdhsa_uses_dynamic_stack 0
		.amdhsa_system_sgpr_private_segment_wavefront_offset 0
		.amdhsa_system_sgpr_workgroup_id_x 1
		.amdhsa_system_sgpr_workgroup_id_y 0
		.amdhsa_system_sgpr_workgroup_id_z 0
		.amdhsa_system_sgpr_workgroup_info 0
		.amdhsa_system_vgpr_workitem_id 0
		.amdhsa_next_free_vgpr 10
		.amdhsa_next_free_sgpr 14
		.amdhsa_accum_offset 12
		.amdhsa_reserve_vcc 1
		.amdhsa_reserve_flat_scratch 0
		.amdhsa_float_round_mode_32 0
		.amdhsa_float_round_mode_16_64 0
		.amdhsa_float_denorm_mode_32 3
		.amdhsa_float_denorm_mode_16_64 3
		.amdhsa_dx10_clamp 1
		.amdhsa_ieee_mode 1
		.amdhsa_fp16_overflow 0
		.amdhsa_tg_split 0
		.amdhsa_exception_fp_ieee_invalid_op 0
		.amdhsa_exception_fp_denorm_src 0
		.amdhsa_exception_fp_ieee_div_zero 0
		.amdhsa_exception_fp_ieee_overflow 0
		.amdhsa_exception_fp_ieee_underflow 0
		.amdhsa_exception_fp_ieee_inexact 0
		.amdhsa_exception_int_div_zero 0
	.end_amdhsa_kernel
	.section	.text._ZN7rocprim17ROCPRIM_400000_NS6detail30init_device_scan_by_key_kernelINS1_19lookback_scan_stateINS0_5tupleIJibEEELb1ELb1EEENS1_16block_id_wrapperIjLb0EEEEEvT_jjPNS9_10value_typeET0_,"axG",@progbits,_ZN7rocprim17ROCPRIM_400000_NS6detail30init_device_scan_by_key_kernelINS1_19lookback_scan_stateINS0_5tupleIJibEEELb1ELb1EEENS1_16block_id_wrapperIjLb0EEEEEvT_jjPNS9_10value_typeET0_,comdat
.Lfunc_end24:
	.size	_ZN7rocprim17ROCPRIM_400000_NS6detail30init_device_scan_by_key_kernelINS1_19lookback_scan_stateINS0_5tupleIJibEEELb1ELb1EEENS1_16block_id_wrapperIjLb0EEEEEvT_jjPNS9_10value_typeET0_, .Lfunc_end24-_ZN7rocprim17ROCPRIM_400000_NS6detail30init_device_scan_by_key_kernelINS1_19lookback_scan_stateINS0_5tupleIJibEEELb1ELb1EEENS1_16block_id_wrapperIjLb0EEEEEvT_jjPNS9_10value_typeET0_
                                        ; -- End function
	.section	.AMDGPU.csdata,"",@progbits
; Kernel info:
; codeLenInByte = 412
; NumSgprs: 18
; NumVgprs: 10
; NumAgprs: 0
; TotalNumVgprs: 10
; ScratchSize: 0
; MemoryBound: 0
; FloatMode: 240
; IeeeMode: 1
; LDSByteSize: 0 bytes/workgroup (compile time only)
; SGPRBlocks: 2
; VGPRBlocks: 1
; NumSGPRsForWavesPerEU: 18
; NumVGPRsForWavesPerEU: 10
; AccumOffset: 12
; Occupancy: 8
; WaveLimiterHint : 0
; COMPUTE_PGM_RSRC2:SCRATCH_EN: 0
; COMPUTE_PGM_RSRC2:USER_SGPR: 6
; COMPUTE_PGM_RSRC2:TRAP_HANDLER: 0
; COMPUTE_PGM_RSRC2:TGID_X_EN: 1
; COMPUTE_PGM_RSRC2:TGID_Y_EN: 0
; COMPUTE_PGM_RSRC2:TGID_Z_EN: 0
; COMPUTE_PGM_RSRC2:TIDIG_COMP_CNT: 0
; COMPUTE_PGM_RSRC3_GFX90A:ACCUM_OFFSET: 2
; COMPUTE_PGM_RSRC3_GFX90A:TG_SPLIT: 0
	.section	.text._ZN7rocprim17ROCPRIM_400000_NS6detail17trampoline_kernelINS0_14default_configENS1_27scan_by_key_config_selectorIiiEEZZNS1_16scan_by_key_implILNS1_25lookback_scan_determinismE0ELb0ES3_N6thrust23THRUST_200600_302600_NS6detail15normal_iteratorINS9_10device_ptrIiEEEESE_SE_iNS9_4plusIvEENS9_8equal_toIvEEiEE10hipError_tPvRmT2_T3_T4_T5_mT6_T7_P12ihipStream_tbENKUlT_T0_E_clISt17integral_constantIbLb1EESY_IbLb0EEEEDaSU_SV_EUlSU_E_NS1_11comp_targetILNS1_3genE0ELNS1_11target_archE4294967295ELNS1_3gpuE0ELNS1_3repE0EEENS1_30default_config_static_selectorELNS0_4arch9wavefront6targetE1EEEvT1_,"axG",@progbits,_ZN7rocprim17ROCPRIM_400000_NS6detail17trampoline_kernelINS0_14default_configENS1_27scan_by_key_config_selectorIiiEEZZNS1_16scan_by_key_implILNS1_25lookback_scan_determinismE0ELb0ES3_N6thrust23THRUST_200600_302600_NS6detail15normal_iteratorINS9_10device_ptrIiEEEESE_SE_iNS9_4plusIvEENS9_8equal_toIvEEiEE10hipError_tPvRmT2_T3_T4_T5_mT6_T7_P12ihipStream_tbENKUlT_T0_E_clISt17integral_constantIbLb1EESY_IbLb0EEEEDaSU_SV_EUlSU_E_NS1_11comp_targetILNS1_3genE0ELNS1_11target_archE4294967295ELNS1_3gpuE0ELNS1_3repE0EEENS1_30default_config_static_selectorELNS0_4arch9wavefront6targetE1EEEvT1_,comdat
	.protected	_ZN7rocprim17ROCPRIM_400000_NS6detail17trampoline_kernelINS0_14default_configENS1_27scan_by_key_config_selectorIiiEEZZNS1_16scan_by_key_implILNS1_25lookback_scan_determinismE0ELb0ES3_N6thrust23THRUST_200600_302600_NS6detail15normal_iteratorINS9_10device_ptrIiEEEESE_SE_iNS9_4plusIvEENS9_8equal_toIvEEiEE10hipError_tPvRmT2_T3_T4_T5_mT6_T7_P12ihipStream_tbENKUlT_T0_E_clISt17integral_constantIbLb1EESY_IbLb0EEEEDaSU_SV_EUlSU_E_NS1_11comp_targetILNS1_3genE0ELNS1_11target_archE4294967295ELNS1_3gpuE0ELNS1_3repE0EEENS1_30default_config_static_selectorELNS0_4arch9wavefront6targetE1EEEvT1_ ; -- Begin function _ZN7rocprim17ROCPRIM_400000_NS6detail17trampoline_kernelINS0_14default_configENS1_27scan_by_key_config_selectorIiiEEZZNS1_16scan_by_key_implILNS1_25lookback_scan_determinismE0ELb0ES3_N6thrust23THRUST_200600_302600_NS6detail15normal_iteratorINS9_10device_ptrIiEEEESE_SE_iNS9_4plusIvEENS9_8equal_toIvEEiEE10hipError_tPvRmT2_T3_T4_T5_mT6_T7_P12ihipStream_tbENKUlT_T0_E_clISt17integral_constantIbLb1EESY_IbLb0EEEEDaSU_SV_EUlSU_E_NS1_11comp_targetILNS1_3genE0ELNS1_11target_archE4294967295ELNS1_3gpuE0ELNS1_3repE0EEENS1_30default_config_static_selectorELNS0_4arch9wavefront6targetE1EEEvT1_
	.globl	_ZN7rocprim17ROCPRIM_400000_NS6detail17trampoline_kernelINS0_14default_configENS1_27scan_by_key_config_selectorIiiEEZZNS1_16scan_by_key_implILNS1_25lookback_scan_determinismE0ELb0ES3_N6thrust23THRUST_200600_302600_NS6detail15normal_iteratorINS9_10device_ptrIiEEEESE_SE_iNS9_4plusIvEENS9_8equal_toIvEEiEE10hipError_tPvRmT2_T3_T4_T5_mT6_T7_P12ihipStream_tbENKUlT_T0_E_clISt17integral_constantIbLb1EESY_IbLb0EEEEDaSU_SV_EUlSU_E_NS1_11comp_targetILNS1_3genE0ELNS1_11target_archE4294967295ELNS1_3gpuE0ELNS1_3repE0EEENS1_30default_config_static_selectorELNS0_4arch9wavefront6targetE1EEEvT1_
	.p2align	8
	.type	_ZN7rocprim17ROCPRIM_400000_NS6detail17trampoline_kernelINS0_14default_configENS1_27scan_by_key_config_selectorIiiEEZZNS1_16scan_by_key_implILNS1_25lookback_scan_determinismE0ELb0ES3_N6thrust23THRUST_200600_302600_NS6detail15normal_iteratorINS9_10device_ptrIiEEEESE_SE_iNS9_4plusIvEENS9_8equal_toIvEEiEE10hipError_tPvRmT2_T3_T4_T5_mT6_T7_P12ihipStream_tbENKUlT_T0_E_clISt17integral_constantIbLb1EESY_IbLb0EEEEDaSU_SV_EUlSU_E_NS1_11comp_targetILNS1_3genE0ELNS1_11target_archE4294967295ELNS1_3gpuE0ELNS1_3repE0EEENS1_30default_config_static_selectorELNS0_4arch9wavefront6targetE1EEEvT1_,@function
_ZN7rocprim17ROCPRIM_400000_NS6detail17trampoline_kernelINS0_14default_configENS1_27scan_by_key_config_selectorIiiEEZZNS1_16scan_by_key_implILNS1_25lookback_scan_determinismE0ELb0ES3_N6thrust23THRUST_200600_302600_NS6detail15normal_iteratorINS9_10device_ptrIiEEEESE_SE_iNS9_4plusIvEENS9_8equal_toIvEEiEE10hipError_tPvRmT2_T3_T4_T5_mT6_T7_P12ihipStream_tbENKUlT_T0_E_clISt17integral_constantIbLb1EESY_IbLb0EEEEDaSU_SV_EUlSU_E_NS1_11comp_targetILNS1_3genE0ELNS1_11target_archE4294967295ELNS1_3gpuE0ELNS1_3repE0EEENS1_30default_config_static_selectorELNS0_4arch9wavefront6targetE1EEEvT1_: ; @_ZN7rocprim17ROCPRIM_400000_NS6detail17trampoline_kernelINS0_14default_configENS1_27scan_by_key_config_selectorIiiEEZZNS1_16scan_by_key_implILNS1_25lookback_scan_determinismE0ELb0ES3_N6thrust23THRUST_200600_302600_NS6detail15normal_iteratorINS9_10device_ptrIiEEEESE_SE_iNS9_4plusIvEENS9_8equal_toIvEEiEE10hipError_tPvRmT2_T3_T4_T5_mT6_T7_P12ihipStream_tbENKUlT_T0_E_clISt17integral_constantIbLb1EESY_IbLb0EEEEDaSU_SV_EUlSU_E_NS1_11comp_targetILNS1_3genE0ELNS1_11target_archE4294967295ELNS1_3gpuE0ELNS1_3repE0EEENS1_30default_config_static_selectorELNS0_4arch9wavefront6targetE1EEEvT1_
; %bb.0:
	.section	.rodata,"a",@progbits
	.p2align	6, 0x0
	.amdhsa_kernel _ZN7rocprim17ROCPRIM_400000_NS6detail17trampoline_kernelINS0_14default_configENS1_27scan_by_key_config_selectorIiiEEZZNS1_16scan_by_key_implILNS1_25lookback_scan_determinismE0ELb0ES3_N6thrust23THRUST_200600_302600_NS6detail15normal_iteratorINS9_10device_ptrIiEEEESE_SE_iNS9_4plusIvEENS9_8equal_toIvEEiEE10hipError_tPvRmT2_T3_T4_T5_mT6_T7_P12ihipStream_tbENKUlT_T0_E_clISt17integral_constantIbLb1EESY_IbLb0EEEEDaSU_SV_EUlSU_E_NS1_11comp_targetILNS1_3genE0ELNS1_11target_archE4294967295ELNS1_3gpuE0ELNS1_3repE0EEENS1_30default_config_static_selectorELNS0_4arch9wavefront6targetE1EEEvT1_
		.amdhsa_group_segment_fixed_size 0
		.amdhsa_private_segment_fixed_size 0
		.amdhsa_kernarg_size 112
		.amdhsa_user_sgpr_count 6
		.amdhsa_user_sgpr_private_segment_buffer 1
		.amdhsa_user_sgpr_dispatch_ptr 0
		.amdhsa_user_sgpr_queue_ptr 0
		.amdhsa_user_sgpr_kernarg_segment_ptr 1
		.amdhsa_user_sgpr_dispatch_id 0
		.amdhsa_user_sgpr_flat_scratch_init 0
		.amdhsa_user_sgpr_kernarg_preload_length 0
		.amdhsa_user_sgpr_kernarg_preload_offset 0
		.amdhsa_user_sgpr_private_segment_size 0
		.amdhsa_uses_dynamic_stack 0
		.amdhsa_system_sgpr_private_segment_wavefront_offset 0
		.amdhsa_system_sgpr_workgroup_id_x 1
		.amdhsa_system_sgpr_workgroup_id_y 0
		.amdhsa_system_sgpr_workgroup_id_z 0
		.amdhsa_system_sgpr_workgroup_info 0
		.amdhsa_system_vgpr_workitem_id 0
		.amdhsa_next_free_vgpr 1
		.amdhsa_next_free_sgpr 0
		.amdhsa_accum_offset 4
		.amdhsa_reserve_vcc 0
		.amdhsa_reserve_flat_scratch 0
		.amdhsa_float_round_mode_32 0
		.amdhsa_float_round_mode_16_64 0
		.amdhsa_float_denorm_mode_32 3
		.amdhsa_float_denorm_mode_16_64 3
		.amdhsa_dx10_clamp 1
		.amdhsa_ieee_mode 1
		.amdhsa_fp16_overflow 0
		.amdhsa_tg_split 0
		.amdhsa_exception_fp_ieee_invalid_op 0
		.amdhsa_exception_fp_denorm_src 0
		.amdhsa_exception_fp_ieee_div_zero 0
		.amdhsa_exception_fp_ieee_overflow 0
		.amdhsa_exception_fp_ieee_underflow 0
		.amdhsa_exception_fp_ieee_inexact 0
		.amdhsa_exception_int_div_zero 0
	.end_amdhsa_kernel
	.section	.text._ZN7rocprim17ROCPRIM_400000_NS6detail17trampoline_kernelINS0_14default_configENS1_27scan_by_key_config_selectorIiiEEZZNS1_16scan_by_key_implILNS1_25lookback_scan_determinismE0ELb0ES3_N6thrust23THRUST_200600_302600_NS6detail15normal_iteratorINS9_10device_ptrIiEEEESE_SE_iNS9_4plusIvEENS9_8equal_toIvEEiEE10hipError_tPvRmT2_T3_T4_T5_mT6_T7_P12ihipStream_tbENKUlT_T0_E_clISt17integral_constantIbLb1EESY_IbLb0EEEEDaSU_SV_EUlSU_E_NS1_11comp_targetILNS1_3genE0ELNS1_11target_archE4294967295ELNS1_3gpuE0ELNS1_3repE0EEENS1_30default_config_static_selectorELNS0_4arch9wavefront6targetE1EEEvT1_,"axG",@progbits,_ZN7rocprim17ROCPRIM_400000_NS6detail17trampoline_kernelINS0_14default_configENS1_27scan_by_key_config_selectorIiiEEZZNS1_16scan_by_key_implILNS1_25lookback_scan_determinismE0ELb0ES3_N6thrust23THRUST_200600_302600_NS6detail15normal_iteratorINS9_10device_ptrIiEEEESE_SE_iNS9_4plusIvEENS9_8equal_toIvEEiEE10hipError_tPvRmT2_T3_T4_T5_mT6_T7_P12ihipStream_tbENKUlT_T0_E_clISt17integral_constantIbLb1EESY_IbLb0EEEEDaSU_SV_EUlSU_E_NS1_11comp_targetILNS1_3genE0ELNS1_11target_archE4294967295ELNS1_3gpuE0ELNS1_3repE0EEENS1_30default_config_static_selectorELNS0_4arch9wavefront6targetE1EEEvT1_,comdat
.Lfunc_end25:
	.size	_ZN7rocprim17ROCPRIM_400000_NS6detail17trampoline_kernelINS0_14default_configENS1_27scan_by_key_config_selectorIiiEEZZNS1_16scan_by_key_implILNS1_25lookback_scan_determinismE0ELb0ES3_N6thrust23THRUST_200600_302600_NS6detail15normal_iteratorINS9_10device_ptrIiEEEESE_SE_iNS9_4plusIvEENS9_8equal_toIvEEiEE10hipError_tPvRmT2_T3_T4_T5_mT6_T7_P12ihipStream_tbENKUlT_T0_E_clISt17integral_constantIbLb1EESY_IbLb0EEEEDaSU_SV_EUlSU_E_NS1_11comp_targetILNS1_3genE0ELNS1_11target_archE4294967295ELNS1_3gpuE0ELNS1_3repE0EEENS1_30default_config_static_selectorELNS0_4arch9wavefront6targetE1EEEvT1_, .Lfunc_end25-_ZN7rocprim17ROCPRIM_400000_NS6detail17trampoline_kernelINS0_14default_configENS1_27scan_by_key_config_selectorIiiEEZZNS1_16scan_by_key_implILNS1_25lookback_scan_determinismE0ELb0ES3_N6thrust23THRUST_200600_302600_NS6detail15normal_iteratorINS9_10device_ptrIiEEEESE_SE_iNS9_4plusIvEENS9_8equal_toIvEEiEE10hipError_tPvRmT2_T3_T4_T5_mT6_T7_P12ihipStream_tbENKUlT_T0_E_clISt17integral_constantIbLb1EESY_IbLb0EEEEDaSU_SV_EUlSU_E_NS1_11comp_targetILNS1_3genE0ELNS1_11target_archE4294967295ELNS1_3gpuE0ELNS1_3repE0EEENS1_30default_config_static_selectorELNS0_4arch9wavefront6targetE1EEEvT1_
                                        ; -- End function
	.section	.AMDGPU.csdata,"",@progbits
; Kernel info:
; codeLenInByte = 0
; NumSgprs: 4
; NumVgprs: 0
; NumAgprs: 0
; TotalNumVgprs: 0
; ScratchSize: 0
; MemoryBound: 0
; FloatMode: 240
; IeeeMode: 1
; LDSByteSize: 0 bytes/workgroup (compile time only)
; SGPRBlocks: 0
; VGPRBlocks: 0
; NumSGPRsForWavesPerEU: 4
; NumVGPRsForWavesPerEU: 1
; AccumOffset: 4
; Occupancy: 8
; WaveLimiterHint : 0
; COMPUTE_PGM_RSRC2:SCRATCH_EN: 0
; COMPUTE_PGM_RSRC2:USER_SGPR: 6
; COMPUTE_PGM_RSRC2:TRAP_HANDLER: 0
; COMPUTE_PGM_RSRC2:TGID_X_EN: 1
; COMPUTE_PGM_RSRC2:TGID_Y_EN: 0
; COMPUTE_PGM_RSRC2:TGID_Z_EN: 0
; COMPUTE_PGM_RSRC2:TIDIG_COMP_CNT: 0
; COMPUTE_PGM_RSRC3_GFX90A:ACCUM_OFFSET: 0
; COMPUTE_PGM_RSRC3_GFX90A:TG_SPLIT: 0
	.section	.text._ZN7rocprim17ROCPRIM_400000_NS6detail17trampoline_kernelINS0_14default_configENS1_27scan_by_key_config_selectorIiiEEZZNS1_16scan_by_key_implILNS1_25lookback_scan_determinismE0ELb0ES3_N6thrust23THRUST_200600_302600_NS6detail15normal_iteratorINS9_10device_ptrIiEEEESE_SE_iNS9_4plusIvEENS9_8equal_toIvEEiEE10hipError_tPvRmT2_T3_T4_T5_mT6_T7_P12ihipStream_tbENKUlT_T0_E_clISt17integral_constantIbLb1EESY_IbLb0EEEEDaSU_SV_EUlSU_E_NS1_11comp_targetILNS1_3genE10ELNS1_11target_archE1201ELNS1_3gpuE5ELNS1_3repE0EEENS1_30default_config_static_selectorELNS0_4arch9wavefront6targetE1EEEvT1_,"axG",@progbits,_ZN7rocprim17ROCPRIM_400000_NS6detail17trampoline_kernelINS0_14default_configENS1_27scan_by_key_config_selectorIiiEEZZNS1_16scan_by_key_implILNS1_25lookback_scan_determinismE0ELb0ES3_N6thrust23THRUST_200600_302600_NS6detail15normal_iteratorINS9_10device_ptrIiEEEESE_SE_iNS9_4plusIvEENS9_8equal_toIvEEiEE10hipError_tPvRmT2_T3_T4_T5_mT6_T7_P12ihipStream_tbENKUlT_T0_E_clISt17integral_constantIbLb1EESY_IbLb0EEEEDaSU_SV_EUlSU_E_NS1_11comp_targetILNS1_3genE10ELNS1_11target_archE1201ELNS1_3gpuE5ELNS1_3repE0EEENS1_30default_config_static_selectorELNS0_4arch9wavefront6targetE1EEEvT1_,comdat
	.protected	_ZN7rocprim17ROCPRIM_400000_NS6detail17trampoline_kernelINS0_14default_configENS1_27scan_by_key_config_selectorIiiEEZZNS1_16scan_by_key_implILNS1_25lookback_scan_determinismE0ELb0ES3_N6thrust23THRUST_200600_302600_NS6detail15normal_iteratorINS9_10device_ptrIiEEEESE_SE_iNS9_4plusIvEENS9_8equal_toIvEEiEE10hipError_tPvRmT2_T3_T4_T5_mT6_T7_P12ihipStream_tbENKUlT_T0_E_clISt17integral_constantIbLb1EESY_IbLb0EEEEDaSU_SV_EUlSU_E_NS1_11comp_targetILNS1_3genE10ELNS1_11target_archE1201ELNS1_3gpuE5ELNS1_3repE0EEENS1_30default_config_static_selectorELNS0_4arch9wavefront6targetE1EEEvT1_ ; -- Begin function _ZN7rocprim17ROCPRIM_400000_NS6detail17trampoline_kernelINS0_14default_configENS1_27scan_by_key_config_selectorIiiEEZZNS1_16scan_by_key_implILNS1_25lookback_scan_determinismE0ELb0ES3_N6thrust23THRUST_200600_302600_NS6detail15normal_iteratorINS9_10device_ptrIiEEEESE_SE_iNS9_4plusIvEENS9_8equal_toIvEEiEE10hipError_tPvRmT2_T3_T4_T5_mT6_T7_P12ihipStream_tbENKUlT_T0_E_clISt17integral_constantIbLb1EESY_IbLb0EEEEDaSU_SV_EUlSU_E_NS1_11comp_targetILNS1_3genE10ELNS1_11target_archE1201ELNS1_3gpuE5ELNS1_3repE0EEENS1_30default_config_static_selectorELNS0_4arch9wavefront6targetE1EEEvT1_
	.globl	_ZN7rocprim17ROCPRIM_400000_NS6detail17trampoline_kernelINS0_14default_configENS1_27scan_by_key_config_selectorIiiEEZZNS1_16scan_by_key_implILNS1_25lookback_scan_determinismE0ELb0ES3_N6thrust23THRUST_200600_302600_NS6detail15normal_iteratorINS9_10device_ptrIiEEEESE_SE_iNS9_4plusIvEENS9_8equal_toIvEEiEE10hipError_tPvRmT2_T3_T4_T5_mT6_T7_P12ihipStream_tbENKUlT_T0_E_clISt17integral_constantIbLb1EESY_IbLb0EEEEDaSU_SV_EUlSU_E_NS1_11comp_targetILNS1_3genE10ELNS1_11target_archE1201ELNS1_3gpuE5ELNS1_3repE0EEENS1_30default_config_static_selectorELNS0_4arch9wavefront6targetE1EEEvT1_
	.p2align	8
	.type	_ZN7rocprim17ROCPRIM_400000_NS6detail17trampoline_kernelINS0_14default_configENS1_27scan_by_key_config_selectorIiiEEZZNS1_16scan_by_key_implILNS1_25lookback_scan_determinismE0ELb0ES3_N6thrust23THRUST_200600_302600_NS6detail15normal_iteratorINS9_10device_ptrIiEEEESE_SE_iNS9_4plusIvEENS9_8equal_toIvEEiEE10hipError_tPvRmT2_T3_T4_T5_mT6_T7_P12ihipStream_tbENKUlT_T0_E_clISt17integral_constantIbLb1EESY_IbLb0EEEEDaSU_SV_EUlSU_E_NS1_11comp_targetILNS1_3genE10ELNS1_11target_archE1201ELNS1_3gpuE5ELNS1_3repE0EEENS1_30default_config_static_selectorELNS0_4arch9wavefront6targetE1EEEvT1_,@function
_ZN7rocprim17ROCPRIM_400000_NS6detail17trampoline_kernelINS0_14default_configENS1_27scan_by_key_config_selectorIiiEEZZNS1_16scan_by_key_implILNS1_25lookback_scan_determinismE0ELb0ES3_N6thrust23THRUST_200600_302600_NS6detail15normal_iteratorINS9_10device_ptrIiEEEESE_SE_iNS9_4plusIvEENS9_8equal_toIvEEiEE10hipError_tPvRmT2_T3_T4_T5_mT6_T7_P12ihipStream_tbENKUlT_T0_E_clISt17integral_constantIbLb1EESY_IbLb0EEEEDaSU_SV_EUlSU_E_NS1_11comp_targetILNS1_3genE10ELNS1_11target_archE1201ELNS1_3gpuE5ELNS1_3repE0EEENS1_30default_config_static_selectorELNS0_4arch9wavefront6targetE1EEEvT1_: ; @_ZN7rocprim17ROCPRIM_400000_NS6detail17trampoline_kernelINS0_14default_configENS1_27scan_by_key_config_selectorIiiEEZZNS1_16scan_by_key_implILNS1_25lookback_scan_determinismE0ELb0ES3_N6thrust23THRUST_200600_302600_NS6detail15normal_iteratorINS9_10device_ptrIiEEEESE_SE_iNS9_4plusIvEENS9_8equal_toIvEEiEE10hipError_tPvRmT2_T3_T4_T5_mT6_T7_P12ihipStream_tbENKUlT_T0_E_clISt17integral_constantIbLb1EESY_IbLb0EEEEDaSU_SV_EUlSU_E_NS1_11comp_targetILNS1_3genE10ELNS1_11target_archE1201ELNS1_3gpuE5ELNS1_3repE0EEENS1_30default_config_static_selectorELNS0_4arch9wavefront6targetE1EEEvT1_
; %bb.0:
	.section	.rodata,"a",@progbits
	.p2align	6, 0x0
	.amdhsa_kernel _ZN7rocprim17ROCPRIM_400000_NS6detail17trampoline_kernelINS0_14default_configENS1_27scan_by_key_config_selectorIiiEEZZNS1_16scan_by_key_implILNS1_25lookback_scan_determinismE0ELb0ES3_N6thrust23THRUST_200600_302600_NS6detail15normal_iteratorINS9_10device_ptrIiEEEESE_SE_iNS9_4plusIvEENS9_8equal_toIvEEiEE10hipError_tPvRmT2_T3_T4_T5_mT6_T7_P12ihipStream_tbENKUlT_T0_E_clISt17integral_constantIbLb1EESY_IbLb0EEEEDaSU_SV_EUlSU_E_NS1_11comp_targetILNS1_3genE10ELNS1_11target_archE1201ELNS1_3gpuE5ELNS1_3repE0EEENS1_30default_config_static_selectorELNS0_4arch9wavefront6targetE1EEEvT1_
		.amdhsa_group_segment_fixed_size 0
		.amdhsa_private_segment_fixed_size 0
		.amdhsa_kernarg_size 112
		.amdhsa_user_sgpr_count 6
		.amdhsa_user_sgpr_private_segment_buffer 1
		.amdhsa_user_sgpr_dispatch_ptr 0
		.amdhsa_user_sgpr_queue_ptr 0
		.amdhsa_user_sgpr_kernarg_segment_ptr 1
		.amdhsa_user_sgpr_dispatch_id 0
		.amdhsa_user_sgpr_flat_scratch_init 0
		.amdhsa_user_sgpr_kernarg_preload_length 0
		.amdhsa_user_sgpr_kernarg_preload_offset 0
		.amdhsa_user_sgpr_private_segment_size 0
		.amdhsa_uses_dynamic_stack 0
		.amdhsa_system_sgpr_private_segment_wavefront_offset 0
		.amdhsa_system_sgpr_workgroup_id_x 1
		.amdhsa_system_sgpr_workgroup_id_y 0
		.amdhsa_system_sgpr_workgroup_id_z 0
		.amdhsa_system_sgpr_workgroup_info 0
		.amdhsa_system_vgpr_workitem_id 0
		.amdhsa_next_free_vgpr 1
		.amdhsa_next_free_sgpr 0
		.amdhsa_accum_offset 4
		.amdhsa_reserve_vcc 0
		.amdhsa_reserve_flat_scratch 0
		.amdhsa_float_round_mode_32 0
		.amdhsa_float_round_mode_16_64 0
		.amdhsa_float_denorm_mode_32 3
		.amdhsa_float_denorm_mode_16_64 3
		.amdhsa_dx10_clamp 1
		.amdhsa_ieee_mode 1
		.amdhsa_fp16_overflow 0
		.amdhsa_tg_split 0
		.amdhsa_exception_fp_ieee_invalid_op 0
		.amdhsa_exception_fp_denorm_src 0
		.amdhsa_exception_fp_ieee_div_zero 0
		.amdhsa_exception_fp_ieee_overflow 0
		.amdhsa_exception_fp_ieee_underflow 0
		.amdhsa_exception_fp_ieee_inexact 0
		.amdhsa_exception_int_div_zero 0
	.end_amdhsa_kernel
	.section	.text._ZN7rocprim17ROCPRIM_400000_NS6detail17trampoline_kernelINS0_14default_configENS1_27scan_by_key_config_selectorIiiEEZZNS1_16scan_by_key_implILNS1_25lookback_scan_determinismE0ELb0ES3_N6thrust23THRUST_200600_302600_NS6detail15normal_iteratorINS9_10device_ptrIiEEEESE_SE_iNS9_4plusIvEENS9_8equal_toIvEEiEE10hipError_tPvRmT2_T3_T4_T5_mT6_T7_P12ihipStream_tbENKUlT_T0_E_clISt17integral_constantIbLb1EESY_IbLb0EEEEDaSU_SV_EUlSU_E_NS1_11comp_targetILNS1_3genE10ELNS1_11target_archE1201ELNS1_3gpuE5ELNS1_3repE0EEENS1_30default_config_static_selectorELNS0_4arch9wavefront6targetE1EEEvT1_,"axG",@progbits,_ZN7rocprim17ROCPRIM_400000_NS6detail17trampoline_kernelINS0_14default_configENS1_27scan_by_key_config_selectorIiiEEZZNS1_16scan_by_key_implILNS1_25lookback_scan_determinismE0ELb0ES3_N6thrust23THRUST_200600_302600_NS6detail15normal_iteratorINS9_10device_ptrIiEEEESE_SE_iNS9_4plusIvEENS9_8equal_toIvEEiEE10hipError_tPvRmT2_T3_T4_T5_mT6_T7_P12ihipStream_tbENKUlT_T0_E_clISt17integral_constantIbLb1EESY_IbLb0EEEEDaSU_SV_EUlSU_E_NS1_11comp_targetILNS1_3genE10ELNS1_11target_archE1201ELNS1_3gpuE5ELNS1_3repE0EEENS1_30default_config_static_selectorELNS0_4arch9wavefront6targetE1EEEvT1_,comdat
.Lfunc_end26:
	.size	_ZN7rocprim17ROCPRIM_400000_NS6detail17trampoline_kernelINS0_14default_configENS1_27scan_by_key_config_selectorIiiEEZZNS1_16scan_by_key_implILNS1_25lookback_scan_determinismE0ELb0ES3_N6thrust23THRUST_200600_302600_NS6detail15normal_iteratorINS9_10device_ptrIiEEEESE_SE_iNS9_4plusIvEENS9_8equal_toIvEEiEE10hipError_tPvRmT2_T3_T4_T5_mT6_T7_P12ihipStream_tbENKUlT_T0_E_clISt17integral_constantIbLb1EESY_IbLb0EEEEDaSU_SV_EUlSU_E_NS1_11comp_targetILNS1_3genE10ELNS1_11target_archE1201ELNS1_3gpuE5ELNS1_3repE0EEENS1_30default_config_static_selectorELNS0_4arch9wavefront6targetE1EEEvT1_, .Lfunc_end26-_ZN7rocprim17ROCPRIM_400000_NS6detail17trampoline_kernelINS0_14default_configENS1_27scan_by_key_config_selectorIiiEEZZNS1_16scan_by_key_implILNS1_25lookback_scan_determinismE0ELb0ES3_N6thrust23THRUST_200600_302600_NS6detail15normal_iteratorINS9_10device_ptrIiEEEESE_SE_iNS9_4plusIvEENS9_8equal_toIvEEiEE10hipError_tPvRmT2_T3_T4_T5_mT6_T7_P12ihipStream_tbENKUlT_T0_E_clISt17integral_constantIbLb1EESY_IbLb0EEEEDaSU_SV_EUlSU_E_NS1_11comp_targetILNS1_3genE10ELNS1_11target_archE1201ELNS1_3gpuE5ELNS1_3repE0EEENS1_30default_config_static_selectorELNS0_4arch9wavefront6targetE1EEEvT1_
                                        ; -- End function
	.section	.AMDGPU.csdata,"",@progbits
; Kernel info:
; codeLenInByte = 0
; NumSgprs: 4
; NumVgprs: 0
; NumAgprs: 0
; TotalNumVgprs: 0
; ScratchSize: 0
; MemoryBound: 0
; FloatMode: 240
; IeeeMode: 1
; LDSByteSize: 0 bytes/workgroup (compile time only)
; SGPRBlocks: 0
; VGPRBlocks: 0
; NumSGPRsForWavesPerEU: 4
; NumVGPRsForWavesPerEU: 1
; AccumOffset: 4
; Occupancy: 8
; WaveLimiterHint : 0
; COMPUTE_PGM_RSRC2:SCRATCH_EN: 0
; COMPUTE_PGM_RSRC2:USER_SGPR: 6
; COMPUTE_PGM_RSRC2:TRAP_HANDLER: 0
; COMPUTE_PGM_RSRC2:TGID_X_EN: 1
; COMPUTE_PGM_RSRC2:TGID_Y_EN: 0
; COMPUTE_PGM_RSRC2:TGID_Z_EN: 0
; COMPUTE_PGM_RSRC2:TIDIG_COMP_CNT: 0
; COMPUTE_PGM_RSRC3_GFX90A:ACCUM_OFFSET: 0
; COMPUTE_PGM_RSRC3_GFX90A:TG_SPLIT: 0
	.section	.text._ZN7rocprim17ROCPRIM_400000_NS6detail17trampoline_kernelINS0_14default_configENS1_27scan_by_key_config_selectorIiiEEZZNS1_16scan_by_key_implILNS1_25lookback_scan_determinismE0ELb0ES3_N6thrust23THRUST_200600_302600_NS6detail15normal_iteratorINS9_10device_ptrIiEEEESE_SE_iNS9_4plusIvEENS9_8equal_toIvEEiEE10hipError_tPvRmT2_T3_T4_T5_mT6_T7_P12ihipStream_tbENKUlT_T0_E_clISt17integral_constantIbLb1EESY_IbLb0EEEEDaSU_SV_EUlSU_E_NS1_11comp_targetILNS1_3genE5ELNS1_11target_archE942ELNS1_3gpuE9ELNS1_3repE0EEENS1_30default_config_static_selectorELNS0_4arch9wavefront6targetE1EEEvT1_,"axG",@progbits,_ZN7rocprim17ROCPRIM_400000_NS6detail17trampoline_kernelINS0_14default_configENS1_27scan_by_key_config_selectorIiiEEZZNS1_16scan_by_key_implILNS1_25lookback_scan_determinismE0ELb0ES3_N6thrust23THRUST_200600_302600_NS6detail15normal_iteratorINS9_10device_ptrIiEEEESE_SE_iNS9_4plusIvEENS9_8equal_toIvEEiEE10hipError_tPvRmT2_T3_T4_T5_mT6_T7_P12ihipStream_tbENKUlT_T0_E_clISt17integral_constantIbLb1EESY_IbLb0EEEEDaSU_SV_EUlSU_E_NS1_11comp_targetILNS1_3genE5ELNS1_11target_archE942ELNS1_3gpuE9ELNS1_3repE0EEENS1_30default_config_static_selectorELNS0_4arch9wavefront6targetE1EEEvT1_,comdat
	.protected	_ZN7rocprim17ROCPRIM_400000_NS6detail17trampoline_kernelINS0_14default_configENS1_27scan_by_key_config_selectorIiiEEZZNS1_16scan_by_key_implILNS1_25lookback_scan_determinismE0ELb0ES3_N6thrust23THRUST_200600_302600_NS6detail15normal_iteratorINS9_10device_ptrIiEEEESE_SE_iNS9_4plusIvEENS9_8equal_toIvEEiEE10hipError_tPvRmT2_T3_T4_T5_mT6_T7_P12ihipStream_tbENKUlT_T0_E_clISt17integral_constantIbLb1EESY_IbLb0EEEEDaSU_SV_EUlSU_E_NS1_11comp_targetILNS1_3genE5ELNS1_11target_archE942ELNS1_3gpuE9ELNS1_3repE0EEENS1_30default_config_static_selectorELNS0_4arch9wavefront6targetE1EEEvT1_ ; -- Begin function _ZN7rocprim17ROCPRIM_400000_NS6detail17trampoline_kernelINS0_14default_configENS1_27scan_by_key_config_selectorIiiEEZZNS1_16scan_by_key_implILNS1_25lookback_scan_determinismE0ELb0ES3_N6thrust23THRUST_200600_302600_NS6detail15normal_iteratorINS9_10device_ptrIiEEEESE_SE_iNS9_4plusIvEENS9_8equal_toIvEEiEE10hipError_tPvRmT2_T3_T4_T5_mT6_T7_P12ihipStream_tbENKUlT_T0_E_clISt17integral_constantIbLb1EESY_IbLb0EEEEDaSU_SV_EUlSU_E_NS1_11comp_targetILNS1_3genE5ELNS1_11target_archE942ELNS1_3gpuE9ELNS1_3repE0EEENS1_30default_config_static_selectorELNS0_4arch9wavefront6targetE1EEEvT1_
	.globl	_ZN7rocprim17ROCPRIM_400000_NS6detail17trampoline_kernelINS0_14default_configENS1_27scan_by_key_config_selectorIiiEEZZNS1_16scan_by_key_implILNS1_25lookback_scan_determinismE0ELb0ES3_N6thrust23THRUST_200600_302600_NS6detail15normal_iteratorINS9_10device_ptrIiEEEESE_SE_iNS9_4plusIvEENS9_8equal_toIvEEiEE10hipError_tPvRmT2_T3_T4_T5_mT6_T7_P12ihipStream_tbENKUlT_T0_E_clISt17integral_constantIbLb1EESY_IbLb0EEEEDaSU_SV_EUlSU_E_NS1_11comp_targetILNS1_3genE5ELNS1_11target_archE942ELNS1_3gpuE9ELNS1_3repE0EEENS1_30default_config_static_selectorELNS0_4arch9wavefront6targetE1EEEvT1_
	.p2align	8
	.type	_ZN7rocprim17ROCPRIM_400000_NS6detail17trampoline_kernelINS0_14default_configENS1_27scan_by_key_config_selectorIiiEEZZNS1_16scan_by_key_implILNS1_25lookback_scan_determinismE0ELb0ES3_N6thrust23THRUST_200600_302600_NS6detail15normal_iteratorINS9_10device_ptrIiEEEESE_SE_iNS9_4plusIvEENS9_8equal_toIvEEiEE10hipError_tPvRmT2_T3_T4_T5_mT6_T7_P12ihipStream_tbENKUlT_T0_E_clISt17integral_constantIbLb1EESY_IbLb0EEEEDaSU_SV_EUlSU_E_NS1_11comp_targetILNS1_3genE5ELNS1_11target_archE942ELNS1_3gpuE9ELNS1_3repE0EEENS1_30default_config_static_selectorELNS0_4arch9wavefront6targetE1EEEvT1_,@function
_ZN7rocprim17ROCPRIM_400000_NS6detail17trampoline_kernelINS0_14default_configENS1_27scan_by_key_config_selectorIiiEEZZNS1_16scan_by_key_implILNS1_25lookback_scan_determinismE0ELb0ES3_N6thrust23THRUST_200600_302600_NS6detail15normal_iteratorINS9_10device_ptrIiEEEESE_SE_iNS9_4plusIvEENS9_8equal_toIvEEiEE10hipError_tPvRmT2_T3_T4_T5_mT6_T7_P12ihipStream_tbENKUlT_T0_E_clISt17integral_constantIbLb1EESY_IbLb0EEEEDaSU_SV_EUlSU_E_NS1_11comp_targetILNS1_3genE5ELNS1_11target_archE942ELNS1_3gpuE9ELNS1_3repE0EEENS1_30default_config_static_selectorELNS0_4arch9wavefront6targetE1EEEvT1_: ; @_ZN7rocprim17ROCPRIM_400000_NS6detail17trampoline_kernelINS0_14default_configENS1_27scan_by_key_config_selectorIiiEEZZNS1_16scan_by_key_implILNS1_25lookback_scan_determinismE0ELb0ES3_N6thrust23THRUST_200600_302600_NS6detail15normal_iteratorINS9_10device_ptrIiEEEESE_SE_iNS9_4plusIvEENS9_8equal_toIvEEiEE10hipError_tPvRmT2_T3_T4_T5_mT6_T7_P12ihipStream_tbENKUlT_T0_E_clISt17integral_constantIbLb1EESY_IbLb0EEEEDaSU_SV_EUlSU_E_NS1_11comp_targetILNS1_3genE5ELNS1_11target_archE942ELNS1_3gpuE9ELNS1_3repE0EEENS1_30default_config_static_selectorELNS0_4arch9wavefront6targetE1EEEvT1_
; %bb.0:
	.section	.rodata,"a",@progbits
	.p2align	6, 0x0
	.amdhsa_kernel _ZN7rocprim17ROCPRIM_400000_NS6detail17trampoline_kernelINS0_14default_configENS1_27scan_by_key_config_selectorIiiEEZZNS1_16scan_by_key_implILNS1_25lookback_scan_determinismE0ELb0ES3_N6thrust23THRUST_200600_302600_NS6detail15normal_iteratorINS9_10device_ptrIiEEEESE_SE_iNS9_4plusIvEENS9_8equal_toIvEEiEE10hipError_tPvRmT2_T3_T4_T5_mT6_T7_P12ihipStream_tbENKUlT_T0_E_clISt17integral_constantIbLb1EESY_IbLb0EEEEDaSU_SV_EUlSU_E_NS1_11comp_targetILNS1_3genE5ELNS1_11target_archE942ELNS1_3gpuE9ELNS1_3repE0EEENS1_30default_config_static_selectorELNS0_4arch9wavefront6targetE1EEEvT1_
		.amdhsa_group_segment_fixed_size 0
		.amdhsa_private_segment_fixed_size 0
		.amdhsa_kernarg_size 112
		.amdhsa_user_sgpr_count 6
		.amdhsa_user_sgpr_private_segment_buffer 1
		.amdhsa_user_sgpr_dispatch_ptr 0
		.amdhsa_user_sgpr_queue_ptr 0
		.amdhsa_user_sgpr_kernarg_segment_ptr 1
		.amdhsa_user_sgpr_dispatch_id 0
		.amdhsa_user_sgpr_flat_scratch_init 0
		.amdhsa_user_sgpr_kernarg_preload_length 0
		.amdhsa_user_sgpr_kernarg_preload_offset 0
		.amdhsa_user_sgpr_private_segment_size 0
		.amdhsa_uses_dynamic_stack 0
		.amdhsa_system_sgpr_private_segment_wavefront_offset 0
		.amdhsa_system_sgpr_workgroup_id_x 1
		.amdhsa_system_sgpr_workgroup_id_y 0
		.amdhsa_system_sgpr_workgroup_id_z 0
		.amdhsa_system_sgpr_workgroup_info 0
		.amdhsa_system_vgpr_workitem_id 0
		.amdhsa_next_free_vgpr 1
		.amdhsa_next_free_sgpr 0
		.amdhsa_accum_offset 4
		.amdhsa_reserve_vcc 0
		.amdhsa_reserve_flat_scratch 0
		.amdhsa_float_round_mode_32 0
		.amdhsa_float_round_mode_16_64 0
		.amdhsa_float_denorm_mode_32 3
		.amdhsa_float_denorm_mode_16_64 3
		.amdhsa_dx10_clamp 1
		.amdhsa_ieee_mode 1
		.amdhsa_fp16_overflow 0
		.amdhsa_tg_split 0
		.amdhsa_exception_fp_ieee_invalid_op 0
		.amdhsa_exception_fp_denorm_src 0
		.amdhsa_exception_fp_ieee_div_zero 0
		.amdhsa_exception_fp_ieee_overflow 0
		.amdhsa_exception_fp_ieee_underflow 0
		.amdhsa_exception_fp_ieee_inexact 0
		.amdhsa_exception_int_div_zero 0
	.end_amdhsa_kernel
	.section	.text._ZN7rocprim17ROCPRIM_400000_NS6detail17trampoline_kernelINS0_14default_configENS1_27scan_by_key_config_selectorIiiEEZZNS1_16scan_by_key_implILNS1_25lookback_scan_determinismE0ELb0ES3_N6thrust23THRUST_200600_302600_NS6detail15normal_iteratorINS9_10device_ptrIiEEEESE_SE_iNS9_4plusIvEENS9_8equal_toIvEEiEE10hipError_tPvRmT2_T3_T4_T5_mT6_T7_P12ihipStream_tbENKUlT_T0_E_clISt17integral_constantIbLb1EESY_IbLb0EEEEDaSU_SV_EUlSU_E_NS1_11comp_targetILNS1_3genE5ELNS1_11target_archE942ELNS1_3gpuE9ELNS1_3repE0EEENS1_30default_config_static_selectorELNS0_4arch9wavefront6targetE1EEEvT1_,"axG",@progbits,_ZN7rocprim17ROCPRIM_400000_NS6detail17trampoline_kernelINS0_14default_configENS1_27scan_by_key_config_selectorIiiEEZZNS1_16scan_by_key_implILNS1_25lookback_scan_determinismE0ELb0ES3_N6thrust23THRUST_200600_302600_NS6detail15normal_iteratorINS9_10device_ptrIiEEEESE_SE_iNS9_4plusIvEENS9_8equal_toIvEEiEE10hipError_tPvRmT2_T3_T4_T5_mT6_T7_P12ihipStream_tbENKUlT_T0_E_clISt17integral_constantIbLb1EESY_IbLb0EEEEDaSU_SV_EUlSU_E_NS1_11comp_targetILNS1_3genE5ELNS1_11target_archE942ELNS1_3gpuE9ELNS1_3repE0EEENS1_30default_config_static_selectorELNS0_4arch9wavefront6targetE1EEEvT1_,comdat
.Lfunc_end27:
	.size	_ZN7rocprim17ROCPRIM_400000_NS6detail17trampoline_kernelINS0_14default_configENS1_27scan_by_key_config_selectorIiiEEZZNS1_16scan_by_key_implILNS1_25lookback_scan_determinismE0ELb0ES3_N6thrust23THRUST_200600_302600_NS6detail15normal_iteratorINS9_10device_ptrIiEEEESE_SE_iNS9_4plusIvEENS9_8equal_toIvEEiEE10hipError_tPvRmT2_T3_T4_T5_mT6_T7_P12ihipStream_tbENKUlT_T0_E_clISt17integral_constantIbLb1EESY_IbLb0EEEEDaSU_SV_EUlSU_E_NS1_11comp_targetILNS1_3genE5ELNS1_11target_archE942ELNS1_3gpuE9ELNS1_3repE0EEENS1_30default_config_static_selectorELNS0_4arch9wavefront6targetE1EEEvT1_, .Lfunc_end27-_ZN7rocprim17ROCPRIM_400000_NS6detail17trampoline_kernelINS0_14default_configENS1_27scan_by_key_config_selectorIiiEEZZNS1_16scan_by_key_implILNS1_25lookback_scan_determinismE0ELb0ES3_N6thrust23THRUST_200600_302600_NS6detail15normal_iteratorINS9_10device_ptrIiEEEESE_SE_iNS9_4plusIvEENS9_8equal_toIvEEiEE10hipError_tPvRmT2_T3_T4_T5_mT6_T7_P12ihipStream_tbENKUlT_T0_E_clISt17integral_constantIbLb1EESY_IbLb0EEEEDaSU_SV_EUlSU_E_NS1_11comp_targetILNS1_3genE5ELNS1_11target_archE942ELNS1_3gpuE9ELNS1_3repE0EEENS1_30default_config_static_selectorELNS0_4arch9wavefront6targetE1EEEvT1_
                                        ; -- End function
	.section	.AMDGPU.csdata,"",@progbits
; Kernel info:
; codeLenInByte = 0
; NumSgprs: 4
; NumVgprs: 0
; NumAgprs: 0
; TotalNumVgprs: 0
; ScratchSize: 0
; MemoryBound: 0
; FloatMode: 240
; IeeeMode: 1
; LDSByteSize: 0 bytes/workgroup (compile time only)
; SGPRBlocks: 0
; VGPRBlocks: 0
; NumSGPRsForWavesPerEU: 4
; NumVGPRsForWavesPerEU: 1
; AccumOffset: 4
; Occupancy: 8
; WaveLimiterHint : 0
; COMPUTE_PGM_RSRC2:SCRATCH_EN: 0
; COMPUTE_PGM_RSRC2:USER_SGPR: 6
; COMPUTE_PGM_RSRC2:TRAP_HANDLER: 0
; COMPUTE_PGM_RSRC2:TGID_X_EN: 1
; COMPUTE_PGM_RSRC2:TGID_Y_EN: 0
; COMPUTE_PGM_RSRC2:TGID_Z_EN: 0
; COMPUTE_PGM_RSRC2:TIDIG_COMP_CNT: 0
; COMPUTE_PGM_RSRC3_GFX90A:ACCUM_OFFSET: 0
; COMPUTE_PGM_RSRC3_GFX90A:TG_SPLIT: 0
	.section	.text._ZN7rocprim17ROCPRIM_400000_NS6detail17trampoline_kernelINS0_14default_configENS1_27scan_by_key_config_selectorIiiEEZZNS1_16scan_by_key_implILNS1_25lookback_scan_determinismE0ELb0ES3_N6thrust23THRUST_200600_302600_NS6detail15normal_iteratorINS9_10device_ptrIiEEEESE_SE_iNS9_4plusIvEENS9_8equal_toIvEEiEE10hipError_tPvRmT2_T3_T4_T5_mT6_T7_P12ihipStream_tbENKUlT_T0_E_clISt17integral_constantIbLb1EESY_IbLb0EEEEDaSU_SV_EUlSU_E_NS1_11comp_targetILNS1_3genE4ELNS1_11target_archE910ELNS1_3gpuE8ELNS1_3repE0EEENS1_30default_config_static_selectorELNS0_4arch9wavefront6targetE1EEEvT1_,"axG",@progbits,_ZN7rocprim17ROCPRIM_400000_NS6detail17trampoline_kernelINS0_14default_configENS1_27scan_by_key_config_selectorIiiEEZZNS1_16scan_by_key_implILNS1_25lookback_scan_determinismE0ELb0ES3_N6thrust23THRUST_200600_302600_NS6detail15normal_iteratorINS9_10device_ptrIiEEEESE_SE_iNS9_4plusIvEENS9_8equal_toIvEEiEE10hipError_tPvRmT2_T3_T4_T5_mT6_T7_P12ihipStream_tbENKUlT_T0_E_clISt17integral_constantIbLb1EESY_IbLb0EEEEDaSU_SV_EUlSU_E_NS1_11comp_targetILNS1_3genE4ELNS1_11target_archE910ELNS1_3gpuE8ELNS1_3repE0EEENS1_30default_config_static_selectorELNS0_4arch9wavefront6targetE1EEEvT1_,comdat
	.protected	_ZN7rocprim17ROCPRIM_400000_NS6detail17trampoline_kernelINS0_14default_configENS1_27scan_by_key_config_selectorIiiEEZZNS1_16scan_by_key_implILNS1_25lookback_scan_determinismE0ELb0ES3_N6thrust23THRUST_200600_302600_NS6detail15normal_iteratorINS9_10device_ptrIiEEEESE_SE_iNS9_4plusIvEENS9_8equal_toIvEEiEE10hipError_tPvRmT2_T3_T4_T5_mT6_T7_P12ihipStream_tbENKUlT_T0_E_clISt17integral_constantIbLb1EESY_IbLb0EEEEDaSU_SV_EUlSU_E_NS1_11comp_targetILNS1_3genE4ELNS1_11target_archE910ELNS1_3gpuE8ELNS1_3repE0EEENS1_30default_config_static_selectorELNS0_4arch9wavefront6targetE1EEEvT1_ ; -- Begin function _ZN7rocprim17ROCPRIM_400000_NS6detail17trampoline_kernelINS0_14default_configENS1_27scan_by_key_config_selectorIiiEEZZNS1_16scan_by_key_implILNS1_25lookback_scan_determinismE0ELb0ES3_N6thrust23THRUST_200600_302600_NS6detail15normal_iteratorINS9_10device_ptrIiEEEESE_SE_iNS9_4plusIvEENS9_8equal_toIvEEiEE10hipError_tPvRmT2_T3_T4_T5_mT6_T7_P12ihipStream_tbENKUlT_T0_E_clISt17integral_constantIbLb1EESY_IbLb0EEEEDaSU_SV_EUlSU_E_NS1_11comp_targetILNS1_3genE4ELNS1_11target_archE910ELNS1_3gpuE8ELNS1_3repE0EEENS1_30default_config_static_selectorELNS0_4arch9wavefront6targetE1EEEvT1_
	.globl	_ZN7rocprim17ROCPRIM_400000_NS6detail17trampoline_kernelINS0_14default_configENS1_27scan_by_key_config_selectorIiiEEZZNS1_16scan_by_key_implILNS1_25lookback_scan_determinismE0ELb0ES3_N6thrust23THRUST_200600_302600_NS6detail15normal_iteratorINS9_10device_ptrIiEEEESE_SE_iNS9_4plusIvEENS9_8equal_toIvEEiEE10hipError_tPvRmT2_T3_T4_T5_mT6_T7_P12ihipStream_tbENKUlT_T0_E_clISt17integral_constantIbLb1EESY_IbLb0EEEEDaSU_SV_EUlSU_E_NS1_11comp_targetILNS1_3genE4ELNS1_11target_archE910ELNS1_3gpuE8ELNS1_3repE0EEENS1_30default_config_static_selectorELNS0_4arch9wavefront6targetE1EEEvT1_
	.p2align	8
	.type	_ZN7rocprim17ROCPRIM_400000_NS6detail17trampoline_kernelINS0_14default_configENS1_27scan_by_key_config_selectorIiiEEZZNS1_16scan_by_key_implILNS1_25lookback_scan_determinismE0ELb0ES3_N6thrust23THRUST_200600_302600_NS6detail15normal_iteratorINS9_10device_ptrIiEEEESE_SE_iNS9_4plusIvEENS9_8equal_toIvEEiEE10hipError_tPvRmT2_T3_T4_T5_mT6_T7_P12ihipStream_tbENKUlT_T0_E_clISt17integral_constantIbLb1EESY_IbLb0EEEEDaSU_SV_EUlSU_E_NS1_11comp_targetILNS1_3genE4ELNS1_11target_archE910ELNS1_3gpuE8ELNS1_3repE0EEENS1_30default_config_static_selectorELNS0_4arch9wavefront6targetE1EEEvT1_,@function
_ZN7rocprim17ROCPRIM_400000_NS6detail17trampoline_kernelINS0_14default_configENS1_27scan_by_key_config_selectorIiiEEZZNS1_16scan_by_key_implILNS1_25lookback_scan_determinismE0ELb0ES3_N6thrust23THRUST_200600_302600_NS6detail15normal_iteratorINS9_10device_ptrIiEEEESE_SE_iNS9_4plusIvEENS9_8equal_toIvEEiEE10hipError_tPvRmT2_T3_T4_T5_mT6_T7_P12ihipStream_tbENKUlT_T0_E_clISt17integral_constantIbLb1EESY_IbLb0EEEEDaSU_SV_EUlSU_E_NS1_11comp_targetILNS1_3genE4ELNS1_11target_archE910ELNS1_3gpuE8ELNS1_3repE0EEENS1_30default_config_static_selectorELNS0_4arch9wavefront6targetE1EEEvT1_: ; @_ZN7rocprim17ROCPRIM_400000_NS6detail17trampoline_kernelINS0_14default_configENS1_27scan_by_key_config_selectorIiiEEZZNS1_16scan_by_key_implILNS1_25lookback_scan_determinismE0ELb0ES3_N6thrust23THRUST_200600_302600_NS6detail15normal_iteratorINS9_10device_ptrIiEEEESE_SE_iNS9_4plusIvEENS9_8equal_toIvEEiEE10hipError_tPvRmT2_T3_T4_T5_mT6_T7_P12ihipStream_tbENKUlT_T0_E_clISt17integral_constantIbLb1EESY_IbLb0EEEEDaSU_SV_EUlSU_E_NS1_11comp_targetILNS1_3genE4ELNS1_11target_archE910ELNS1_3gpuE8ELNS1_3repE0EEENS1_30default_config_static_selectorELNS0_4arch9wavefront6targetE1EEEvT1_
; %bb.0:
	s_load_dwordx8 s[36:43], s[4:5], 0x0
	s_load_dwordx4 s[52:55], s[4:5], 0x28
	s_load_dwordx2 s[56:57], s[4:5], 0x38
	s_load_dword s0, s[4:5], 0x40
	s_load_dwordx8 s[44:51], s[4:5], 0x48
	s_waitcnt lgkmcnt(0)
	s_lshl_b64 s[38:39], s[38:39], 2
	s_add_u32 s2, s36, s38
	s_addc_u32 s3, s37, s39
	s_add_u32 s4, s40, s38
	s_mul_i32 s1, s57, s0
	s_mul_hi_u32 s7, s56, s0
	s_addc_u32 s5, s41, s39
	s_add_i32 s8, s7, s1
	s_mul_i32 s9, s56, s0
	s_cmp_lg_u64 s[48:49], 0
	s_mul_i32 s0, s6, 0xe00
	s_mov_b32 s1, 0
	s_cselect_b64 s[40:41], -1, 0
	s_lshl_b64 s[36:37], s[0:1], 2
	s_add_u32 s34, s2, s36
	s_addc_u32 s35, s3, s37
	s_add_u32 s7, s4, s36
	s_addc_u32 s55, s5, s37
	s_add_u32 s48, s9, s6
	s_addc_u32 s49, s8, 0
	s_add_u32 s2, s44, -1
	s_addc_u32 s3, s45, -1
	v_pk_mov_b32 v[2:3], s[2:3], s[2:3] op_sel:[0,1]
	v_cmp_ge_u64_e64 s[0:1], s[48:49], v[2:3]
	s_mov_b64 s[18:19], 0
	s_mov_b64 s[4:5], -1
	s_and_b64 vcc, exec, s[0:1]
	s_mul_i32 s33, s2, 0xfffff200
	s_barrier
	s_cbranch_vccz .LBB28_77
; %bb.1:
	v_pk_mov_b32 v[2:3], s[34:35], s[34:35] op_sel:[0,1]
	flat_load_dword v1, v[2:3]
	s_add_i32 s60, s33, s54
	v_cmp_gt_u32_e64 s[2:3], s60, v0
	s_waitcnt vmcnt(0) lgkmcnt(0)
	v_mov_b32_e32 v13, v1
	s_and_saveexec_b64 s[4:5], s[2:3]
	s_cbranch_execz .LBB28_3
; %bb.2:
	v_lshlrev_b32_e32 v2, 2, v0
	v_mov_b32_e32 v3, s35
	v_add_co_u32_e32 v2, vcc, s34, v2
	v_addc_co_u32_e32 v3, vcc, 0, v3, vcc
	flat_load_dword v13, v[2:3]
.LBB28_3:
	s_or_b64 exec, exec, s[4:5]
	v_or_b32_e32 v2, 0x100, v0
	v_cmp_gt_u32_e64 s[4:5], s60, v2
	v_mov_b32_e32 v14, v1
	s_and_saveexec_b64 s[8:9], s[4:5]
	s_cbranch_execz .LBB28_5
; %bb.4:
	v_lshlrev_b32_e32 v2, 2, v0
	v_mov_b32_e32 v3, s35
	v_add_co_u32_e32 v2, vcc, s34, v2
	v_addc_co_u32_e32 v3, vcc, 0, v3, vcc
	flat_load_dword v14, v[2:3] offset:1024
.LBB28_5:
	s_or_b64 exec, exec, s[8:9]
	v_or_b32_e32 v2, 0x200, v0
	v_cmp_gt_u32_e64 s[30:31], s60, v2
	v_mov_b32_e32 v15, v1
	s_and_saveexec_b64 s[8:9], s[30:31]
	s_cbranch_execz .LBB28_7
; %bb.6:
	v_lshlrev_b32_e32 v2, 2, v0
	v_mov_b32_e32 v3, s35
	v_add_co_u32_e32 v2, vcc, s34, v2
	v_addc_co_u32_e32 v3, vcc, 0, v3, vcc
	flat_load_dword v15, v[2:3] offset:2048
.LBB28_7:
	;; [unrolled: 13-line block ×3, first 2 shown]
	s_or_b64 exec, exec, s[10:11]
	v_or_b32_e32 v2, 0x400, v0
	v_cmp_gt_u32_e64 s[10:11], s60, v2
	v_mov_b32_e32 v17, v1
	s_and_saveexec_b64 s[12:13], s[10:11]
	s_cbranch_execz .LBB28_11
; %bb.10:
	v_lshlrev_b32_e32 v3, 2, v2
	v_mov_b32_e32 v5, s35
	v_add_co_u32_e32 v4, vcc, s34, v3
	v_addc_co_u32_e32 v5, vcc, 0, v5, vcc
	flat_load_dword v17, v[4:5]
.LBB28_11:
	s_or_b64 exec, exec, s[12:13]
	v_or_b32_e32 v3, 0x500, v0
	v_cmp_gt_u32_e64 s[12:13], s60, v3
	v_mov_b32_e32 v18, v1
	s_and_saveexec_b64 s[14:15], s[12:13]
	s_cbranch_execz .LBB28_13
; %bb.12:
	v_lshlrev_b32_e32 v4, 2, v3
	v_mov_b32_e32 v5, s35
	v_add_co_u32_e32 v4, vcc, s34, v4
	v_addc_co_u32_e32 v5, vcc, 0, v5, vcc
	flat_load_dword v18, v[4:5]
.LBB28_13:
	;; [unrolled: 13-line block ×9, first 2 shown]
	s_or_b64 exec, exec, s[28:29]
	v_or_b32_e32 v11, 0xd00, v0
	v_cmp_gt_u32_e64 s[28:29], s60, v11
	s_and_saveexec_b64 s[44:45], s[28:29]
	s_cbranch_execz .LBB28_29
; %bb.28:
	v_lshlrev_b32_e32 v1, 2, v11
	v_mov_b32_e32 v12, s35
	v_add_co_u32_e32 v26, vcc, s34, v1
	v_addc_co_u32_e32 v27, vcc, 0, v12, vcc
	flat_load_dword v1, v[26:27]
.LBB28_29:
	s_or_b64 exec, exec, s[44:45]
	v_lshlrev_b32_e32 v12, 2, v0
	s_waitcnt vmcnt(0) lgkmcnt(0)
	ds_write2st64_b32 v12, v13, v14 offset1:4
	ds_write2st64_b32 v12, v15, v16 offset0:8 offset1:12
	ds_write2st64_b32 v12, v17, v18 offset0:16 offset1:20
	;; [unrolled: 1-line block ×6, first 2 shown]
	v_mad_u32_u24 v1, v0, 52, v12
	s_waitcnt lgkmcnt(0)
	s_barrier
	ds_read2_b64 v[34:37], v1 offset1:1
	ds_read2_b64 v[30:33], v1 offset0:2 offset1:3
	ds_read2_b64 v[26:29], v1 offset0:4 offset1:5
	ds_read_b64 v[40:41], v1 offset:48
	s_cmp_eq_u64 s[48:49], 0
	s_mov_b64 s[44:45], s[34:35]
	s_cbranch_scc1 .LBB28_33
; %bb.30:
	s_andn2_b64 vcc, exec, s[40:41]
	s_cbranch_vccnz .LBB28_183
; %bb.31:
	s_lshl_b64 s[44:45], s[48:49], 2
	s_add_u32 s44, s50, s44
	s_addc_u32 s45, s51, s45
	s_add_u32 s44, s44, -4
	s_addc_u32 s45, s45, -1
	s_cbranch_execnz .LBB28_33
.LBB28_32:
	s_add_u32 s44, s34, -4
	s_addc_u32 s45, s35, -1
.LBB28_33:
	v_pk_mov_b32 v[14:15], s[44:45], s[44:45] op_sel:[0,1]
	flat_load_dword v44, v[14:15]
	s_movk_i32 s44, 0xffcc
	v_mad_i32_i24 v13, v0, s44, v1
	v_cmp_ne_u32_e32 vcc, 0, v0
	s_waitcnt lgkmcnt(0)
	ds_write_b32 v13, v41 offset:14336
	s_waitcnt lgkmcnt(0)
	s_barrier
	s_and_saveexec_b64 s[44:45], vcc
	s_cbranch_execz .LBB28_35
; %bb.34:
	v_mul_i32_i24_e32 v13, 0xffffffcc, v0
	v_add_u32_e32 v13, v1, v13
	s_waitcnt vmcnt(0)
	ds_read_b32 v44, v13 offset:14332
.LBB28_35:
	s_or_b64 exec, exec, s[44:45]
	s_waitcnt lgkmcnt(0)
	s_barrier
	s_waitcnt lgkmcnt(0)
                                        ; implicit-def: $vgpr13
	s_and_saveexec_b64 s[44:45], s[2:3]
	s_cbranch_execnz .LBB28_170
; %bb.36:
	s_or_b64 exec, exec, s[44:45]
                                        ; implicit-def: $vgpr14
	s_and_saveexec_b64 s[2:3], s[4:5]
	s_cbranch_execnz .LBB28_171
.LBB28_37:
	s_or_b64 exec, exec, s[2:3]
                                        ; implicit-def: $vgpr15
	s_and_saveexec_b64 s[2:3], s[30:31]
	s_cbranch_execnz .LBB28_172
.LBB28_38:
	s_or_b64 exec, exec, s[2:3]
                                        ; implicit-def: $vgpr16
	s_and_saveexec_b64 s[2:3], s[8:9]
	s_cbranch_execnz .LBB28_173
.LBB28_39:
	s_or_b64 exec, exec, s[2:3]
                                        ; implicit-def: $vgpr17
	s_and_saveexec_b64 s[2:3], s[10:11]
	s_cbranch_execnz .LBB28_174
.LBB28_40:
	s_or_b64 exec, exec, s[2:3]
                                        ; implicit-def: $vgpr2
	s_and_saveexec_b64 s[2:3], s[12:13]
	s_cbranch_execnz .LBB28_175
.LBB28_41:
	s_or_b64 exec, exec, s[2:3]
                                        ; implicit-def: $vgpr3
	s_and_saveexec_b64 s[2:3], s[14:15]
	s_cbranch_execnz .LBB28_176
.LBB28_42:
	s_or_b64 exec, exec, s[2:3]
                                        ; implicit-def: $vgpr4
	s_and_saveexec_b64 s[2:3], s[16:17]
	s_cbranch_execnz .LBB28_177
.LBB28_43:
	s_or_b64 exec, exec, s[2:3]
                                        ; implicit-def: $vgpr5
	s_and_saveexec_b64 s[2:3], s[18:19]
	s_cbranch_execnz .LBB28_178
.LBB28_44:
	s_or_b64 exec, exec, s[2:3]
                                        ; implicit-def: $vgpr6
	s_and_saveexec_b64 s[2:3], s[20:21]
	s_cbranch_execnz .LBB28_179
.LBB28_45:
	s_or_b64 exec, exec, s[2:3]
                                        ; implicit-def: $vgpr7
	s_and_saveexec_b64 s[2:3], s[22:23]
	s_cbranch_execnz .LBB28_180
.LBB28_46:
	s_or_b64 exec, exec, s[2:3]
                                        ; implicit-def: $vgpr8
	s_and_saveexec_b64 s[2:3], s[24:25]
	s_cbranch_execnz .LBB28_181
.LBB28_47:
	s_or_b64 exec, exec, s[2:3]
                                        ; implicit-def: $vgpr9
	s_and_saveexec_b64 s[2:3], s[26:27]
	s_cbranch_execnz .LBB28_182
.LBB28_48:
	s_or_b64 exec, exec, s[2:3]
                                        ; implicit-def: $vgpr10
	s_and_saveexec_b64 s[2:3], s[28:29]
	s_cbranch_execz .LBB28_50
.LBB28_49:
	v_lshlrev_b32_e32 v10, 2, v11
	v_mov_b32_e32 v11, s55
	v_add_co_u32_e32 v10, vcc, s7, v10
	v_addc_co_u32_e32 v11, vcc, 0, v11, vcc
	flat_load_dword v10, v[10:11]
.LBB28_50:
	s_or_b64 exec, exec, s[2:3]
	s_mov_b32 s8, 0
	s_mov_b32 s9, s8
	s_waitcnt vmcnt(0) lgkmcnt(0)
	ds_write2st64_b32 v12, v13, v14 offset1:4
	ds_write2st64_b32 v12, v15, v16 offset0:8 offset1:12
	ds_write2st64_b32 v12, v17, v2 offset0:16 offset1:20
	ds_write2st64_b32 v12, v3, v4 offset0:24 offset1:28
	ds_write2st64_b32 v12, v5, v6 offset0:32 offset1:36
	ds_write2st64_b32 v12, v7, v8 offset0:40 offset1:44
	ds_write2st64_b32 v12, v9, v10 offset0:48 offset1:52
	s_mov_b32 s10, s8
	s_mov_b32 s11, s8
	;; [unrolled: 1-line block ×6, first 2 shown]
	v_pk_mov_b32 v[2:3], s[8:9], s[8:9] op_sel:[0,1]
	v_pk_mov_b32 v[8:9], s[14:15], s[14:15] op_sel:[0,1]
	v_mul_u32_u24_e32 v42, 14, v0
	v_pk_mov_b32 v[4:5], s[10:11], s[10:11] op_sel:[0,1]
	v_pk_mov_b32 v[6:7], s[12:13], s[12:13] op_sel:[0,1]
	;; [unrolled: 1-line block ×4, first 2 shown]
	v_cmp_gt_u32_e32 vcc, s60, v42
	s_mov_b64 s[4:5], 0
	v_pk_mov_b32 v[38:39], 0, 0
	s_mov_b64 s[18:19], 0
	v_pk_mov_b32 v[14:15], v[6:7], v[6:7] op_sel:[0,1]
	v_pk_mov_b32 v[12:13], v[4:5], v[4:5] op_sel:[0,1]
	;; [unrolled: 1-line block ×6, first 2 shown]
	s_waitcnt lgkmcnt(0)
	s_barrier
	s_waitcnt lgkmcnt(0)
                                        ; implicit-def: $sgpr2_sgpr3
                                        ; implicit-def: $vgpr43
	s_and_saveexec_b64 s[16:17], vcc
	s_cbranch_execz .LBB28_76
; %bb.51:
	v_or_b32_e32 v2, 1, v42
	ds_read_b32 v38, v1
	v_cmp_ne_u32_e32 vcc, v44, v34
	v_cndmask_b32_e64 v39, 0, 1, vcc
	v_cmp_gt_u32_e32 vcc, s60, v2
	v_pk_mov_b32 v[2:3], s[8:9], s[8:9] op_sel:[0,1]
	v_pk_mov_b32 v[8:9], s[14:15], s[14:15] op_sel:[0,1]
	;; [unrolled: 1-line block ×6, first 2 shown]
	s_mov_b64 s[20:21], 0
	v_pk_mov_b32 v[14:15], v[6:7], v[6:7] op_sel:[0,1]
	v_pk_mov_b32 v[12:13], v[4:5], v[4:5] op_sel:[0,1]
	;; [unrolled: 1-line block ×6, first 2 shown]
                                        ; implicit-def: $sgpr8_sgpr9
                                        ; implicit-def: $vgpr43
	s_and_saveexec_b64 s[18:19], vcc
	s_cbranch_execz .LBB28_75
; %bb.52:
	ds_read2_b32 v[44:45], v1 offset0:1 offset1:2
	s_mov_b32 s8, 0
	s_mov_b32 s14, s8
	s_mov_b32 s15, s8
	s_mov_b32 s9, s8
	s_mov_b32 s10, s8
	s_mov_b32 s11, s8
	s_mov_b32 s12, s8
	s_mov_b32 s13, s8
	v_pk_mov_b32 v[16:17], s[14:15], s[14:15] op_sel:[0,1]
	v_add_u32_e32 v2, 2, v42
	v_cmp_ne_u32_e32 vcc, v34, v35
	v_mov_b32_e32 v6, 0
	v_pk_mov_b32 v[14:15], s[12:13], s[12:13] op_sel:[0,1]
	v_pk_mov_b32 v[12:13], s[10:11], s[10:11] op_sel:[0,1]
	;; [unrolled: 1-line block ×4, first 2 shown]
	v_cndmask_b32_e64 v3, 0, 1, vcc
	v_cmp_gt_u32_e32 vcc, s60, v2
	s_waitcnt lgkmcnt(0)
	v_mov_b32_e32 v2, v44
	v_mov_b32_e32 v4, v6
	;; [unrolled: 1-line block ×6, first 2 shown]
	s_mov_b64 s[2:3], 0
	v_pk_mov_b32 v[22:23], v[14:15], v[14:15] op_sel:[0,1]
	v_pk_mov_b32 v[20:21], v[12:13], v[12:13] op_sel:[0,1]
	;; [unrolled: 1-line block ×3, first 2 shown]
                                        ; implicit-def: $sgpr22_sgpr23
                                        ; implicit-def: $vgpr43
	s_and_saveexec_b64 s[20:21], vcc
	s_cbranch_execz .LBB28_74
; %bb.53:
	v_pk_mov_b32 v[16:17], s[14:15], s[14:15] op_sel:[0,1]
	v_add_u32_e32 v2, 3, v42
	v_cmp_ne_u32_e32 vcc, v35, v36
	v_pk_mov_b32 v[14:15], s[12:13], s[12:13] op_sel:[0,1]
	v_pk_mov_b32 v[12:13], s[10:11], s[10:11] op_sel:[0,1]
	;; [unrolled: 1-line block ×4, first 2 shown]
	v_cndmask_b32_e64 v5, 0, 1, vcc
	v_cmp_gt_u32_e32 vcc, s60, v2
	v_mov_b32_e32 v2, v44
	v_mov_b32_e32 v4, v45
	;; [unrolled: 1-line block ×5, first 2 shown]
	v_pk_mov_b32 v[22:23], v[14:15], v[14:15] op_sel:[0,1]
	v_pk_mov_b32 v[20:21], v[12:13], v[12:13] op_sel:[0,1]
	;; [unrolled: 1-line block ×3, first 2 shown]
                                        ; implicit-def: $sgpr8_sgpr9
                                        ; implicit-def: $vgpr43
	s_and_saveexec_b64 s[22:23], vcc
	s_cbranch_execz .LBB28_73
; %bb.54:
	ds_read2_b32 v[34:35], v1 offset0:3 offset1:4
	s_mov_b32 s8, 0
	s_mov_b32 s14, s8
	;; [unrolled: 1-line block ×8, first 2 shown]
	v_pk_mov_b32 v[16:17], s[14:15], s[14:15] op_sel:[0,1]
	v_add_u32_e32 v6, 4, v42
	v_cmp_ne_u32_e32 vcc, v36, v37
	v_pk_mov_b32 v[14:15], s[12:13], s[12:13] op_sel:[0,1]
	v_pk_mov_b32 v[12:13], s[10:11], s[10:11] op_sel:[0,1]
	v_pk_mov_b32 v[10:11], s[8:9], s[8:9] op_sel:[0,1]
	v_pk_mov_b32 v[24:25], v[16:17], v[16:17] op_sel:[0,1]
	v_cndmask_b32_e64 v7, 0, 1, vcc
	v_cmp_gt_u32_e32 vcc, s60, v6
	s_waitcnt lgkmcnt(0)
	v_mov_b32_e32 v6, v34
	v_mov_b32_e32 v8, s8
	;; [unrolled: 1-line block ×3, first 2 shown]
	v_pk_mov_b32 v[22:23], v[14:15], v[14:15] op_sel:[0,1]
	v_pk_mov_b32 v[20:21], v[12:13], v[12:13] op_sel:[0,1]
	v_pk_mov_b32 v[18:19], v[10:11], v[10:11] op_sel:[0,1]
                                        ; implicit-def: $sgpr26_sgpr27
                                        ; implicit-def: $vgpr43
	s_and_saveexec_b64 s[24:25], vcc
	s_cbranch_execz .LBB28_72
; %bb.55:
	v_pk_mov_b32 v[16:17], s[14:15], s[14:15] op_sel:[0,1]
	v_add_u32_e32 v8, 5, v42
	v_cmp_ne_u32_e32 vcc, v37, v30
	v_pk_mov_b32 v[14:15], s[12:13], s[12:13] op_sel:[0,1]
	v_pk_mov_b32 v[12:13], s[10:11], s[10:11] op_sel:[0,1]
	v_pk_mov_b32 v[10:11], s[8:9], s[8:9] op_sel:[0,1]
	v_pk_mov_b32 v[24:25], v[16:17], v[16:17] op_sel:[0,1]
	v_cndmask_b32_e64 v9, 0, 1, vcc
	v_cmp_gt_u32_e32 vcc, s60, v8
	v_mov_b32_e32 v8, v35
	v_pk_mov_b32 v[22:23], v[14:15], v[14:15] op_sel:[0,1]
	v_pk_mov_b32 v[20:21], v[12:13], v[12:13] op_sel:[0,1]
	;; [unrolled: 1-line block ×3, first 2 shown]
                                        ; implicit-def: $sgpr8_sgpr9
                                        ; implicit-def: $vgpr43
	s_and_saveexec_b64 s[26:27], vcc
	s_cbranch_execz .LBB28_71
; %bb.56:
	ds_read2_b32 v[34:35], v1 offset0:5 offset1:6
	s_mov_b32 s8, 0
	s_mov_b32 s14, s8
	;; [unrolled: 1-line block ×3, first 2 shown]
	v_add_u32_e32 v10, 6, v42
	v_cmp_ne_u32_e32 vcc, v30, v31
	v_mov_b32_e32 v14, 0
	s_mov_b32 s9, s8
	s_mov_b32 s10, s8
	s_mov_b32 s11, s8
	s_mov_b32 s12, s8
	s_mov_b32 s13, s8
	v_pk_mov_b32 v[24:25], s[14:15], s[14:15] op_sel:[0,1]
	v_cndmask_b32_e64 v11, 0, 1, vcc
	v_cmp_gt_u32_e32 vcc, s60, v10
	s_waitcnt lgkmcnt(0)
	v_mov_b32_e32 v10, v34
	v_mov_b32_e32 v12, v14
	;; [unrolled: 1-line block ×6, first 2 shown]
	v_pk_mov_b32 v[22:23], s[12:13], s[12:13] op_sel:[0,1]
	v_pk_mov_b32 v[20:21], s[10:11], s[10:11] op_sel:[0,1]
	;; [unrolled: 1-line block ×3, first 2 shown]
                                        ; implicit-def: $sgpr30_sgpr31
                                        ; implicit-def: $vgpr43
	s_and_saveexec_b64 s[28:29], vcc
	s_cbranch_execz .LBB28_70
; %bb.57:
	v_add_u32_e32 v10, 7, v42
	v_cmp_ne_u32_e32 vcc, v31, v32
	v_pk_mov_b32 v[24:25], s[14:15], s[14:15] op_sel:[0,1]
	v_cndmask_b32_e64 v13, 0, 1, vcc
	v_cmp_gt_u32_e32 vcc, s60, v10
	v_mov_b32_e32 v10, v34
	v_mov_b32_e32 v12, v35
	;; [unrolled: 1-line block ×5, first 2 shown]
	v_pk_mov_b32 v[22:23], s[12:13], s[12:13] op_sel:[0,1]
	v_pk_mov_b32 v[20:21], s[10:11], s[10:11] op_sel:[0,1]
	;; [unrolled: 1-line block ×3, first 2 shown]
                                        ; implicit-def: $sgpr8_sgpr9
                                        ; implicit-def: $vgpr43
	s_and_saveexec_b64 s[30:31], vcc
	s_cbranch_execz .LBB28_69
; %bb.58:
	ds_read2_b32 v[30:31], v1 offset0:7 offset1:8
	s_mov_b32 s8, 0
	s_mov_b32 s14, s8
	;; [unrolled: 1-line block ×3, first 2 shown]
	v_add_u32_e32 v14, 8, v42
	v_cmp_ne_u32_e32 vcc, v32, v33
	s_mov_b32 s9, s8
	s_mov_b32 s10, s8
	;; [unrolled: 1-line block ×5, first 2 shown]
	v_pk_mov_b32 v[24:25], s[14:15], s[14:15] op_sel:[0,1]
	v_cndmask_b32_e64 v15, 0, 1, vcc
	v_cmp_gt_u32_e32 vcc, s60, v14
	s_waitcnt lgkmcnt(0)
	v_mov_b32_e32 v14, v30
	v_mov_b32_e32 v16, s8
	v_mov_b32_e32 v17, s8
	v_pk_mov_b32 v[22:23], s[12:13], s[12:13] op_sel:[0,1]
	v_pk_mov_b32 v[20:21], s[10:11], s[10:11] op_sel:[0,1]
	;; [unrolled: 1-line block ×3, first 2 shown]
                                        ; implicit-def: $sgpr58_sgpr59
                                        ; implicit-def: $vgpr43
	s_and_saveexec_b64 s[44:45], vcc
	s_cbranch_execz .LBB28_68
; %bb.59:
	v_add_u32_e32 v16, 9, v42
	v_cmp_ne_u32_e32 vcc, v33, v26
	v_pk_mov_b32 v[24:25], s[14:15], s[14:15] op_sel:[0,1]
	v_cndmask_b32_e64 v17, 0, 1, vcc
	v_cmp_gt_u32_e32 vcc, s60, v16
	v_mov_b32_e32 v16, v31
	v_pk_mov_b32 v[22:23], s[12:13], s[12:13] op_sel:[0,1]
	v_pk_mov_b32 v[20:21], s[10:11], s[10:11] op_sel:[0,1]
	;; [unrolled: 1-line block ×3, first 2 shown]
                                        ; implicit-def: $sgpr10_sgpr11
                                        ; implicit-def: $vgpr43
	s_and_saveexec_b64 s[8:9], vcc
	s_cbranch_execz .LBB28_67
; %bb.60:
	ds_read2_b32 v[30:31], v1 offset0:9 offset1:10
	v_add_u32_e32 v18, 10, v42
	v_cmp_ne_u32_e32 vcc, v26, v27
	v_mov_b32_e32 v22, 0
	v_cndmask_b32_e64 v19, 0, 1, vcc
	v_cmp_gt_u32_e32 vcc, s60, v18
	s_waitcnt lgkmcnt(0)
	v_mov_b32_e32 v18, v30
	v_mov_b32_e32 v20, v22
	;; [unrolled: 1-line block ×6, first 2 shown]
                                        ; implicit-def: $sgpr12_sgpr13
                                        ; implicit-def: $vgpr43
	s_and_saveexec_b64 s[10:11], vcc
	s_cbranch_execz .LBB28_66
; %bb.61:
	v_add_u32_e32 v18, 11, v42
	v_cmp_ne_u32_e32 vcc, v27, v28
	v_cndmask_b32_e64 v21, 0, 1, vcc
	v_cmp_gt_u32_e32 vcc, s60, v18
	s_mov_b32 s58, 0
	v_mov_b32_e32 v18, v30
	v_mov_b32_e32 v20, v31
	v_mov_b32_e32 v23, v22
	v_mov_b32_e32 v24, v22
	v_mov_b32_e32 v25, v22
                                        ; implicit-def: $sgpr14_sgpr15
                                        ; implicit-def: $vgpr43
	s_and_saveexec_b64 s[12:13], vcc
	s_cbranch_execz .LBB28_65
; %bb.62:
	ds_read2_b32 v[26:27], v1 offset0:11 offset1:12
	v_add_u32_e32 v22, 12, v42
	v_cmp_ne_u32_e32 vcc, v28, v29
	v_cndmask_b32_e64 v23, 0, 1, vcc
	v_cmp_gt_u32_e32 vcc, s60, v22
	s_waitcnt lgkmcnt(0)
	v_mov_b32_e32 v22, v26
	v_mov_b32_e32 v24, s58
	;; [unrolled: 1-line block ×3, first 2 shown]
                                        ; implicit-def: $sgpr14_sgpr15
                                        ; implicit-def: $vgpr43
	s_and_saveexec_b64 s[58:59], vcc
	s_xor_b64 s[58:59], exec, s[58:59]
	s_cbranch_execz .LBB28_64
; %bb.63:
	ds_read_b32 v43, v1 offset:52
	v_add_u32_e32 v1, 13, v42
	v_cmp_ne_u32_e64 s[2:3], v29, v40
	v_cmp_ne_u32_e32 vcc, v40, v41
	v_cndmask_b32_e64 v25, 0, 1, s[2:3]
	v_cmp_gt_u32_e64 s[2:3], s60, v1
	v_mov_b32_e32 v24, v27
	s_and_b64 s[14:15], vcc, exec
	s_and_b64 s[2:3], s[2:3], exec
.LBB28_64:
	s_or_b64 exec, exec, s[58:59]
	s_and_b64 s[14:15], s[14:15], exec
	s_and_b64 s[2:3], s[2:3], exec
.LBB28_65:
	s_or_b64 exec, exec, s[12:13]
	s_and_b64 s[12:13], s[14:15], exec
	s_and_b64 s[2:3], s[2:3], exec
.LBB28_66:
	s_or_b64 exec, exec, s[10:11]
	s_and_b64 s[10:11], s[12:13], exec
	s_and_b64 s[2:3], s[2:3], exec
.LBB28_67:
	s_or_b64 exec, exec, s[8:9]
	s_and_b64 s[58:59], s[10:11], exec
	s_and_b64 s[2:3], s[2:3], exec
.LBB28_68:
	s_or_b64 exec, exec, s[44:45]
	s_and_b64 s[8:9], s[58:59], exec
	s_and_b64 s[2:3], s[2:3], exec
.LBB28_69:
	s_or_b64 exec, exec, s[30:31]
	s_and_b64 s[30:31], s[8:9], exec
	s_and_b64 s[2:3], s[2:3], exec
.LBB28_70:
	s_or_b64 exec, exec, s[28:29]
	s_and_b64 s[8:9], s[30:31], exec
	s_and_b64 s[2:3], s[2:3], exec
.LBB28_71:
	s_or_b64 exec, exec, s[26:27]
	s_and_b64 s[26:27], s[8:9], exec
	s_and_b64 s[2:3], s[2:3], exec
.LBB28_72:
	s_or_b64 exec, exec, s[24:25]
	s_and_b64 s[8:9], s[26:27], exec
	s_and_b64 s[2:3], s[2:3], exec
.LBB28_73:
	s_or_b64 exec, exec, s[22:23]
	s_and_b64 s[22:23], s[8:9], exec
	s_and_b64 s[2:3], s[2:3], exec
.LBB28_74:
	s_or_b64 exec, exec, s[20:21]
	s_and_b64 s[8:9], s[22:23], exec
	s_and_b64 s[20:21], s[2:3], exec
.LBB28_75:
	s_or_b64 exec, exec, s[18:19]
	s_and_b64 s[2:3], s[8:9], exec
	s_and_b64 s[18:19], s[20:21], exec
.LBB28_76:
	s_or_b64 exec, exec, s[16:17]
	s_and_b64 vcc, exec, s[4:5]
	v_lshlrev_b32_e32 v50, 2, v0
	s_cbranch_vccnz .LBB28_78
	s_branch .LBB28_86
.LBB28_77:
                                        ; implicit-def: $sgpr2_sgpr3
                                        ; implicit-def: $vgpr2_vgpr3_vgpr4_vgpr5_vgpr6_vgpr7_vgpr8_vgpr9
                                        ; implicit-def: $vgpr10_vgpr11_vgpr12_vgpr13_vgpr14_vgpr15_vgpr16_vgpr17
                                        ; implicit-def: $vgpr18_vgpr19_vgpr20_vgpr21_vgpr22_vgpr23_vgpr24_vgpr25
                                        ; implicit-def: $vgpr43
                                        ; implicit-def: $vgpr38_vgpr39
	s_and_b64 vcc, exec, s[4:5]
	v_lshlrev_b32_e32 v50, 2, v0
	s_cbranch_vccz .LBB28_86
.LBB28_78:
	v_mov_b32_e32 v1, s35
	v_add_co_u32_e32 v2, vcc, s34, v50
	v_addc_co_u32_e32 v3, vcc, 0, v1, vcc
	v_add_co_u32_e32 v4, vcc, 0x1000, v2
	v_addc_co_u32_e32 v5, vcc, 0, v3, vcc
	flat_load_dword v6, v[2:3]
	flat_load_dword v7, v[2:3] offset:1024
	flat_load_dword v8, v[2:3] offset:2048
	;; [unrolled: 1-line block ×3, first 2 shown]
	flat_load_dword v10, v[4:5]
	flat_load_dword v11, v[4:5] offset:1024
	flat_load_dword v12, v[4:5] offset:2048
	;; [unrolled: 1-line block ×3, first 2 shown]
	v_add_co_u32_e32 v4, vcc, 0x2000, v2
	v_addc_co_u32_e32 v5, vcc, 0, v3, vcc
	v_add_co_u32_e32 v2, vcc, 0x3000, v2
	v_addc_co_u32_e32 v3, vcc, 0, v3, vcc
	flat_load_dword v14, v[4:5]
	flat_load_dword v15, v[4:5] offset:1024
	flat_load_dword v16, v[4:5] offset:2048
	;; [unrolled: 1-line block ×3, first 2 shown]
	flat_load_dword v18, v[2:3]
	flat_load_dword v19, v[2:3] offset:1024
	v_mad_u32_u24 v1, v0, 52, v50
	s_cmp_eq_u64 s[48:49], 0
	s_waitcnt vmcnt(0) lgkmcnt(0)
	ds_write2st64_b32 v50, v6, v7 offset1:4
	ds_write2st64_b32 v50, v8, v9 offset0:8 offset1:12
	ds_write2st64_b32 v50, v10, v11 offset0:16 offset1:20
	;; [unrolled: 1-line block ×6, first 2 shown]
	s_waitcnt lgkmcnt(0)
	s_barrier
	ds_read2_b64 v[2:5], v1 offset1:1
	ds_read2_b64 v[10:13], v1 offset0:2 offset1:3
	ds_read2_b64 v[18:21], v1 offset0:4 offset1:5
	ds_read_b64 v[6:7], v1 offset:48
	s_cbranch_scc1 .LBB28_83
; %bb.79:
	s_andn2_b64 vcc, exec, s[40:41]
	s_cbranch_vccnz .LBB28_184
; %bb.80:
	s_lshl_b64 s[2:3], s[48:49], 2
	s_add_u32 s2, s50, s2
	s_addc_u32 s3, s51, s3
	s_add_u32 s2, s2, -4
	s_addc_u32 s3, s3, -1
	s_cbranch_execnz .LBB28_82
.LBB28_81:
	s_add_u32 s2, s34, -4
	s_addc_u32 s3, s35, -1
.LBB28_82:
	s_mov_b64 s[34:35], s[2:3]
.LBB28_83:
	v_pk_mov_b32 v[8:9], s[34:35], s[34:35] op_sel:[0,1]
	flat_load_dword v8, v[8:9]
	s_movk_i32 s2, 0xffcc
	v_mad_i32_i24 v9, v0, s2, v1
	v_cmp_ne_u32_e32 vcc, 0, v0
	s_waitcnt lgkmcnt(0)
	ds_write_b32 v9, v7 offset:14336
	s_waitcnt lgkmcnt(0)
	s_barrier
	s_and_saveexec_b64 s[2:3], vcc
	s_cbranch_execz .LBB28_85
; %bb.84:
	s_waitcnt vmcnt(0)
	v_mul_i32_i24_e32 v8, 0xffffffcc, v0
	v_add_u32_e32 v8, v1, v8
	ds_read_b32 v8, v8 offset:14332
.LBB28_85:
	s_or_b64 exec, exec, s[2:3]
	v_mov_b32_e32 v9, s55
	v_add_co_u32_e32 v14, vcc, s7, v50
	v_addc_co_u32_e32 v15, vcc, 0, v9, vcc
	s_movk_i32 s2, 0x1000
	v_add_co_u32_e32 v16, vcc, s2, v14
	v_addc_co_u32_e32 v17, vcc, 0, v15, vcc
	s_movk_i32 s2, 0x2000
	s_waitcnt lgkmcnt(0)
	s_barrier
	flat_load_dword v22, v[14:15]
	flat_load_dword v24, v[14:15] offset:1024
	flat_load_dword v26, v[14:15] offset:2048
	;; [unrolled: 1-line block ×3, first 2 shown]
	flat_load_dword v28, v[16:17]
	flat_load_dword v29, v[16:17] offset:1024
	flat_load_dword v30, v[16:17] offset:2048
	;; [unrolled: 1-line block ×3, first 2 shown]
	v_add_co_u32_e32 v16, vcc, s2, v14
	v_addc_co_u32_e32 v17, vcc, 0, v15, vcc
	s_movk_i32 s2, 0x3000
	v_add_co_u32_e32 v14, vcc, s2, v14
	v_addc_co_u32_e32 v15, vcc, 0, v15, vcc
	flat_load_dword v32, v[16:17]
	flat_load_dword v33, v[16:17] offset:1024
	flat_load_dword v34, v[16:17] offset:2048
	;; [unrolled: 1-line block ×3, first 2 shown]
	flat_load_dword v36, v[14:15]
	flat_load_dword v37, v[14:15] offset:1024
	s_waitcnt vmcnt(0)
	v_cmp_ne_u32_e32 vcc, v8, v2
	v_cndmask_b32_e64 v39, 0, 1, vcc
	v_cmp_ne_u32_e32 vcc, v5, v10
	v_cndmask_b32_e64 v9, 0, 1, vcc
	v_cmp_ne_u32_e32 vcc, v4, v5
	v_cmp_ne_u32_e64 s[2:3], v6, v7
	v_cndmask_b32_e64 v7, 0, 1, vcc
	v_cmp_ne_u32_e32 vcc, v3, v4
	v_cndmask_b32_e64 v5, 0, 1, vcc
	v_cmp_ne_u32_e32 vcc, v2, v3
	;; [unrolled: 2-line block ×10, first 2 shown]
	v_cndmask_b32_e64 v19, 0, 1, vcc
	s_mov_b64 s[18:19], -1
                                        ; implicit-def: $sgpr4_sgpr5
	s_waitcnt lgkmcnt(0)
	ds_write2st64_b32 v50, v22, v24 offset1:4
	ds_write2st64_b32 v50, v26, v27 offset0:8 offset1:12
	ds_write2st64_b32 v50, v28, v29 offset0:16 offset1:20
	;; [unrolled: 1-line block ×6, first 2 shown]
	s_waitcnt lgkmcnt(0)
	s_barrier
	ds_read2_b32 v[42:43], v1 offset1:13
	ds_read2_b32 v[26:27], v1 offset0:7 offset1:8
	ds_read2_b32 v[28:29], v1 offset0:5 offset1:6
	;; [unrolled: 1-line block ×6, first 2 shown]
	s_waitcnt lgkmcnt(6)
	v_mov_b32_e32 v38, v42
	s_waitcnt lgkmcnt(4)
	v_mov_b32_e32 v10, v28
	;; [unrolled: 2-line block ×4, first 2 shown]
	v_mov_b32_e32 v4, v33
	v_mov_b32_e32 v8, v31
	;; [unrolled: 1-line block ×5, first 2 shown]
	s_waitcnt lgkmcnt(0)
	v_mov_b32_e32 v18, v36
	v_mov_b32_e32 v20, v37
	;; [unrolled: 1-line block ×4, first 2 shown]
.LBB28_86:
	v_pk_mov_b32 v[40:41], s[4:5], s[4:5] op_sel:[0,1]
	s_and_saveexec_b64 s[4:5], s[18:19]
	s_cbranch_execz .LBB28_88
; %bb.87:
	v_cndmask_b32_e64 v41, 0, 1, s[2:3]
	s_waitcnt lgkmcnt(0)
	v_mov_b32_e32 v40, v43
.LBB28_88:
	s_or_b64 exec, exec, s[4:5]
	s_mov_b32 s26, 0
	s_cmp_lg_u32 s6, 0
	v_mbcnt_lo_u32_b32 v52, -1, 0
	v_lshrrev_b32_e32 v1, 6, v0
	v_or_b32_e32 v51, 63, v0
	s_waitcnt lgkmcnt(0)
	s_barrier
	s_cbranch_scc0 .LBB28_121
; %bb.89:
	s_mov_b32 s27, 1
	v_cmp_gt_u64_e64 s[2:3], s[26:27], v[2:3]
	v_cndmask_b32_e64 v27, 0, v38, s[2:3]
	v_add_u32_e32 v27, v27, v2
	v_cmp_gt_u64_e64 s[4:5], s[26:27], v[4:5]
	v_cndmask_b32_e64 v27, 0, v27, s[4:5]
	v_add_u32_e32 v27, v27, v4
	;; [unrolled: 3-line block ×13, first 2 shown]
	v_or3_b32 v27, v41, v25, v23
	v_or3_b32 v27, v27, v21, v19
	;; [unrolled: 1-line block ×6, first 2 shown]
	v_mov_b32_e32 v26, 0
	v_and_b32_e32 v27, 1, v27
	v_cmp_eq_u64_e32 vcc, 0, v[26:27]
	v_cndmask_b32_e32 v26, 1, v39, vcc
	v_mbcnt_hi_u32_b32 v46, -1, v52
	v_mov_b32_dpp v29, v28 row_shr:1 row_mask:0xf bank_mask:0xf
	v_mov_b32_dpp v30, v26 row_shr:1 row_mask:0xf bank_mask:0xf
	v_cmp_eq_u32_e32 vcc, 0, v26
	v_and_b32_e32 v31, 1, v26
	v_and_b32_e32 v27, 15, v46
	v_cndmask_b32_e32 v29, 0, v29, vcc
	v_and_b32_e32 v30, 1, v30
	v_cmp_eq_u32_e32 vcc, 1, v31
	v_cndmask_b32_e64 v30, v30, 1, vcc
	v_cmp_eq_u32_e32 vcc, 0, v27
	v_cndmask_b32_e32 v26, v30, v26, vcc
	v_and_b32_e32 v31, 1, v26
	v_cmp_eq_u32_e64 s[28:29], 1, v31
	v_mov_b32_dpp v30, v26 row_shr:2 row_mask:0xf bank_mask:0xf
	v_and_b32_e32 v30, 1, v30
	v_cndmask_b32_e64 v30, v30, 1, s[28:29]
	v_cmp_lt_u32_e64 s[28:29], 1, v27
	v_cndmask_b32_e64 v29, v29, 0, vcc
	v_cmp_eq_u32_e32 vcc, 0, v26
	v_cndmask_b32_e64 v26, v26, v30, s[28:29]
	v_add_u32_e32 v28, v29, v28
	v_and_b32_e32 v31, 1, v26
	v_mov_b32_dpp v30, v26 row_shr:4 row_mask:0xf bank_mask:0xf
	v_mov_b32_dpp v29, v28 row_shr:2 row_mask:0xf bank_mask:0xf
	s_and_b64 vcc, s[28:29], vcc
	v_and_b32_e32 v30, 1, v30
	v_cmp_eq_u32_e64 s[28:29], 1, v31
	v_cndmask_b32_e32 v29, 0, v29, vcc
	v_cndmask_b32_e64 v30, v30, 1, s[28:29]
	v_cmp_lt_u32_e64 s[28:29], 3, v27
	v_add_u32_e32 v28, v29, v28
	v_cmp_eq_u32_e32 vcc, 0, v26
	v_cndmask_b32_e64 v26, v26, v30, s[28:29]
	v_mov_b32_dpp v29, v28 row_shr:4 row_mask:0xf bank_mask:0xf
	s_and_b64 vcc, s[28:29], vcc
	v_mov_b32_dpp v30, v26 row_shr:8 row_mask:0xf bank_mask:0xf
	v_and_b32_e32 v31, 1, v26
	v_cndmask_b32_e32 v29, 0, v29, vcc
	v_and_b32_e32 v30, 1, v30
	v_cmp_eq_u32_e64 s[28:29], 1, v31
	v_add_u32_e32 v28, v29, v28
	v_cmp_eq_u32_e32 vcc, 0, v26
	v_cndmask_b32_e64 v30, v30, 1, s[28:29]
	v_cmp_lt_u32_e64 s[28:29], 7, v27
	v_mov_b32_dpp v29, v28 row_shr:8 row_mask:0xf bank_mask:0xf
	s_and_b64 vcc, s[28:29], vcc
	v_cndmask_b32_e32 v27, 0, v29, vcc
	v_cndmask_b32_e64 v26, v26, v30, s[28:29]
	v_add_u32_e32 v27, v27, v28
	v_cmp_eq_u32_e32 vcc, 0, v26
	v_mov_b32_dpp v29, v26 row_bcast:15 row_mask:0xf bank_mask:0xf
	v_mov_b32_dpp v28, v27 row_bcast:15 row_mask:0xf bank_mask:0xf
	v_and_b32_e32 v32, 1, v26
	v_and_b32_e32 v31, 16, v46
	v_cndmask_b32_e32 v28, 0, v28, vcc
	v_and_b32_e32 v29, 1, v29
	v_cmp_eq_u32_e32 vcc, 1, v32
	v_bfe_i32 v30, v46, 4, 1
	v_cndmask_b32_e64 v29, v29, 1, vcc
	v_cmp_eq_u32_e32 vcc, 0, v31
	v_and_b32_e32 v28, v30, v28
	v_cndmask_b32_e32 v26, v29, v26, vcc
	v_add_u32_e32 v27, v28, v27
	v_and_b32_e32 v30, 1, v26
	v_mov_b32_dpp v28, v26 row_bcast:31 row_mask:0xf bank_mask:0xf
	v_and_b32_e32 v28, 1, v28
	v_cmp_eq_u32_e64 s[28:29], 1, v30
	v_cmp_eq_u32_e32 vcc, 0, v26
	v_cndmask_b32_e64 v28, v28, 1, s[28:29]
	v_cmp_lt_u32_e64 s[28:29], 31, v46
	v_mov_b32_dpp v29, v27 row_bcast:31 row_mask:0xf bank_mask:0xf
	s_and_b64 vcc, s[28:29], vcc
	v_cndmask_b32_e64 v28, v26, v28, s[28:29]
	v_cndmask_b32_e32 v26, 0, v29, vcc
	v_add_u32_e32 v29, v26, v27
	v_cmp_eq_u32_e32 vcc, v51, v0
	s_and_saveexec_b64 s[28:29], vcc
	s_cbranch_execz .LBB28_91
; %bb.90:
	v_lshlrev_b32_e32 v26, 3, v1
	ds_write_b32 v26, v29
	ds_write_b8 v26, v28 offset:4
.LBB28_91:
	s_or_b64 exec, exec, s[28:29]
	v_cmp_gt_u32_e32 vcc, 4, v0
	s_waitcnt lgkmcnt(0)
	s_barrier
	s_and_saveexec_b64 s[28:29], vcc
	s_cbranch_execz .LBB28_95
; %bb.92:
	v_lshlrev_b32_e32 v30, 3, v0
	ds_read_b64 v[26:27], v30
	v_and_b32_e32 v31, 3, v46
	v_cmp_ne_u32_e32 vcc, 0, v31
	s_waitcnt lgkmcnt(0)
	v_mov_b32_dpp v32, v26 row_shr:1 row_mask:0xf bank_mask:0xf
	v_mov_b32_dpp v34, v27 row_shr:1 row_mask:0xf bank_mask:0xf
	v_mov_b32_e32 v33, v27
	s_and_saveexec_b64 s[34:35], vcc
	s_cbranch_execz .LBB28_94
; %bb.93:
	v_and_b32_e32 v33, 1, v27
	v_and_b32_e32 v34, 1, v34
	v_cmp_eq_u32_e32 vcc, 1, v33
	v_mov_b32_e32 v33, 0
	v_cndmask_b32_e64 v34, v34, 1, vcc
	v_cmp_eq_u16_sdwa vcc, v27, v33 src0_sel:BYTE_0 src1_sel:DWORD
	v_cndmask_b32_e32 v32, 0, v32, vcc
	v_add_u32_e32 v26, v32, v26
	v_and_b32_e32 v32, 0xffff, v34
	s_movk_i32 s7, 0xff00
	v_and_or_b32 v33, v27, s7, v32
	v_mov_b32_e32 v27, v34
.LBB28_94:
	s_or_b64 exec, exec, s[34:35]
	v_mov_b32_dpp v33, v33 row_shr:2 row_mask:0xf bank_mask:0xf
	v_and_b32_e32 v34, 1, v27
	v_and_b32_e32 v33, 1, v33
	v_cmp_eq_u32_e32 vcc, 1, v34
	v_mov_b32_e32 v34, 0
	v_cndmask_b32_e64 v33, v33, 1, vcc
	v_cmp_eq_u16_sdwa s[34:35], v27, v34 src0_sel:BYTE_0 src1_sel:DWORD
	v_cmp_lt_u32_e32 vcc, 1, v31
	v_mov_b32_dpp v32, v26 row_shr:2 row_mask:0xf bank_mask:0xf
	v_cndmask_b32_e32 v27, v27, v33, vcc
	s_and_b64 vcc, vcc, s[34:35]
	v_cndmask_b32_e32 v31, 0, v32, vcc
	v_add_u32_e32 v26, v31, v26
	ds_write_b32 v30, v26
	ds_write_b8 v30, v27 offset:4
.LBB28_95:
	s_or_b64 exec, exec, s[28:29]
	v_cmp_gt_u32_e32 vcc, 64, v0
	v_cmp_lt_u32_e64 s[28:29], 63, v0
	v_mov_b32_e32 v42, 0
	v_mov_b32_e32 v43, 0
	s_waitcnt lgkmcnt(0)
	s_barrier
	s_and_saveexec_b64 s[34:35], s[28:29]
	s_cbranch_execz .LBB28_97
; %bb.96:
	v_lshl_add_u32 v26, v1, 3, -8
	ds_read_b32 v42, v26
	ds_read_u8 v43, v26 offset:4
	v_and_b32_e32 v27, 1, v28
	v_cmp_eq_u32_e64 s[28:29], 0, v28
	s_waitcnt lgkmcnt(1)
	v_cndmask_b32_e64 v26, 0, v42, s[28:29]
	v_cmp_eq_u32_e64 s[28:29], 1, v27
	v_add_u32_e32 v29, v26, v29
	s_waitcnt lgkmcnt(0)
	v_cndmask_b32_e64 v28, v43, 1, s[28:29]
.LBB28_97:
	s_or_b64 exec, exec, s[34:35]
	v_add_u32_e32 v26, -1, v46
	v_and_b32_e32 v27, 64, v46
	v_cmp_lt_i32_e64 s[28:29], v26, v27
	v_cndmask_b32_e64 v26, v26, v46, s[28:29]
	v_lshlrev_b32_e32 v26, 2, v26
	ds_bpermute_b32 v44, v26, v29
	ds_bpermute_b32 v45, v26, v28
	v_cmp_eq_u32_e64 s[28:29], 0, v46
	s_and_saveexec_b64 s[40:41], vcc
	s_cbranch_execz .LBB28_120
; %bb.98:
	v_mov_b32_e32 v29, 0
	ds_read_b64 v[26:27], v29 offset:24
	s_waitcnt lgkmcnt(0)
	v_readfirstlane_b32 s7, v27
	s_and_saveexec_b64 s[34:35], s[28:29]
	s_cbranch_execz .LBB28_100
; %bb.99:
	s_add_i32 s44, s6, 64
	s_mov_b32 s45, 0
	s_lshl_b64 s[48:49], s[44:45], 4
	s_add_u32 s48, s52, s48
	s_addc_u32 s49, s53, s49
	s_and_b32 s51, s7, 0xff000000
	s_mov_b32 s50, s45
	s_and_b32 s59, s7, 0xff0000
	s_mov_b32 s58, s45
	s_or_b64 s[50:51], s[58:59], s[50:51]
	s_and_b32 s59, s7, 0xff00
	s_or_b64 s[50:51], s[50:51], s[58:59]
	s_and_b32 s59, s7, 0xff
	s_or_b64 s[44:45], s[50:51], s[58:59]
	v_mov_b32_e32 v27, s45
	v_mov_b32_e32 v28, 1
	v_pk_mov_b32 v[30:31], s[48:49], s[48:49] op_sel:[0,1]
	;;#ASMSTART
	global_store_dwordx4 v[30:31], v[26:29] off	
s_waitcnt vmcnt(0)
	;;#ASMEND
.LBB28_100:
	s_or_b64 exec, exec, s[34:35]
	v_xad_u32 v34, v46, -1, s6
	v_add_u32_e32 v28, 64, v34
	v_lshlrev_b64 v[30:31], 4, v[28:29]
	v_mov_b32_e32 v27, s53
	v_add_co_u32_e32 v36, vcc, s52, v30
	v_addc_co_u32_e32 v37, vcc, v27, v31, vcc
	;;#ASMSTART
	global_load_dwordx4 v[30:33], v[36:37] off glc	
s_waitcnt vmcnt(0)
	;;#ASMEND
	v_and_b32_e32 v27, 0xff0000, v30
	v_or_b32_sdwa v27, v30, v27 dst_sel:DWORD dst_unused:UNUSED_PAD src0_sel:WORD_0 src1_sel:DWORD
	v_and_b32_e32 v28, 0xff000000, v30
	v_and_b32_e32 v30, 0xff, v31
	v_or3_b32 v31, 0, 0, v30
	v_or3_b32 v30, v27, v28, 0
	v_cmp_eq_u16_sdwa s[44:45], v32, v29 src0_sel:BYTE_0 src1_sel:DWORD
	s_and_saveexec_b64 s[34:35], s[44:45]
	s_cbranch_execz .LBB28_106
; %bb.101:
	s_mov_b32 s48, 1
	s_mov_b64 s[44:45], 0
	v_mov_b32_e32 v27, 0
.LBB28_102:                             ; =>This Loop Header: Depth=1
                                        ;     Child Loop BB28_103 Depth 2
	s_max_u32 s49, s48, 1
.LBB28_103:                             ;   Parent Loop BB28_102 Depth=1
                                        ; =>  This Inner Loop Header: Depth=2
	s_add_i32 s49, s49, -1
	s_cmp_eq_u32 s49, 0
	s_sleep 1
	s_cbranch_scc0 .LBB28_103
; %bb.104:                              ;   in Loop: Header=BB28_102 Depth=1
	s_cmp_lt_u32 s48, 32
	s_cselect_b64 s[50:51], -1, 0
	s_cmp_lg_u64 s[50:51], 0
	s_addc_u32 s48, s48, 0
	;;#ASMSTART
	global_load_dwordx4 v[30:33], v[36:37] off glc	
s_waitcnt vmcnt(0)
	;;#ASMEND
	v_cmp_ne_u16_sdwa s[50:51], v32, v27 src0_sel:BYTE_0 src1_sel:DWORD
	s_or_b64 s[44:45], s[50:51], s[44:45]
	s_andn2_b64 exec, exec, s[44:45]
	s_cbranch_execnz .LBB28_102
; %bb.105:
	s_or_b64 exec, exec, s[44:45]
	v_and_b32_e32 v31, 0xff, v31
.LBB28_106:
	s_or_b64 exec, exec, s[34:35]
	v_mov_b32_e32 v27, 2
	v_cmp_eq_u16_sdwa s[34:35], v32, v27 src0_sel:BYTE_0 src1_sel:DWORD
	v_lshlrev_b64 v[28:29], v46, -1
	v_and_b32_e32 v33, s35, v29
	v_or_b32_e32 v33, 0x80000000, v33
	v_and_b32_e32 v35, s34, v28
	v_ffbl_b32_e32 v33, v33
	v_and_b32_e32 v47, 63, v46
	v_add_u32_e32 v33, 32, v33
	v_ffbl_b32_e32 v35, v35
	v_cmp_ne_u32_e32 vcc, 63, v47
	v_min_u32_e32 v33, v35, v33
	v_addc_co_u32_e32 v35, vcc, 0, v46, vcc
	v_lshlrev_b32_e32 v48, 2, v35
	ds_bpermute_b32 v35, v48, v31
	ds_bpermute_b32 v36, v48, v30
	s_mov_b32 s44, 0
	v_and_b32_e32 v37, 1, v31
	s_mov_b32 s45, 1
	s_waitcnt lgkmcnt(1)
	v_and_b32_e32 v35, 1, v35
	v_cmp_eq_u32_e32 vcc, 1, v37
	v_cndmask_b32_e64 v35, v35, 1, vcc
	v_cmp_gt_u64_e32 vcc, s[44:45], v[30:31]
	v_cmp_lt_u32_e64 s[34:35], v47, v33
	s_and_b64 vcc, s[34:35], vcc
	v_and_b32_e32 v37, 0xffff, v35
	v_cndmask_b32_e64 v54, v31, v35, s[34:35]
	s_waitcnt lgkmcnt(0)
	v_cndmask_b32_e32 v35, 0, v36, vcc
	v_cmp_gt_u32_e32 vcc, 62, v47
	v_cndmask_b32_e64 v36, 0, 1, vcc
	v_lshlrev_b32_e32 v36, 1, v36
	v_cndmask_b32_e64 v31, v31, v37, s[34:35]
	v_add_lshl_u32 v49, v36, v46, 2
	ds_bpermute_b32 v36, v49, v31
	v_add_u32_e32 v30, v35, v30
	ds_bpermute_b32 v37, v49, v30
	v_and_b32_e32 v35, 1, v54
	v_cmp_eq_u32_e32 vcc, 1, v35
	s_waitcnt lgkmcnt(1)
	v_and_b32_e32 v36, 1, v36
	v_mov_b32_e32 v35, 0
	v_add_u32_e32 v53, 2, v47
	v_cndmask_b32_e64 v36, v36, 1, vcc
	v_cmp_eq_u16_sdwa vcc, v54, v35 src0_sel:BYTE_0 src1_sel:DWORD
	v_and_b32_e32 v55, 0xffff, v36
	s_waitcnt lgkmcnt(0)
	v_cndmask_b32_e32 v37, 0, v37, vcc
	v_cmp_gt_u32_e32 vcc, v53, v33
	v_cndmask_b32_e32 v36, v36, v54, vcc
	v_cndmask_b32_e64 v37, v37, 0, vcc
	v_cndmask_b32_e32 v31, v55, v31, vcc
	v_cmp_gt_u32_e32 vcc, 60, v47
	v_cndmask_b32_e64 v54, 0, 1, vcc
	v_lshlrev_b32_e32 v54, 2, v54
	v_add_lshl_u32 v54, v54, v46, 2
	ds_bpermute_b32 v56, v54, v31
	v_add_u32_e32 v30, v37, v30
	ds_bpermute_b32 v37, v54, v30
	v_and_b32_e32 v57, 1, v36
	v_cmp_eq_u32_e32 vcc, 1, v57
	s_waitcnt lgkmcnt(1)
	v_and_b32_e32 v56, 1, v56
	v_add_u32_e32 v55, 4, v47
	v_cndmask_b32_e64 v56, v56, 1, vcc
	v_cmp_eq_u16_sdwa vcc, v36, v35 src0_sel:BYTE_0 src1_sel:DWORD
	v_and_b32_e32 v57, 0xffff, v56
	s_waitcnt lgkmcnt(0)
	v_cndmask_b32_e32 v37, 0, v37, vcc
	v_cmp_gt_u32_e32 vcc, v55, v33
	v_cndmask_b32_e32 v36, v56, v36, vcc
	v_cndmask_b32_e64 v37, v37, 0, vcc
	v_cndmask_b32_e32 v31, v57, v31, vcc
	v_cmp_gt_u32_e32 vcc, 56, v47
	v_cndmask_b32_e64 v56, 0, 1, vcc
	v_lshlrev_b32_e32 v56, 3, v56
	v_add_lshl_u32 v56, v56, v46, 2
	ds_bpermute_b32 v58, v56, v31
	v_add_u32_e32 v30, v37, v30
	ds_bpermute_b32 v37, v56, v30
	v_and_b32_e32 v59, 1, v36
	v_cmp_eq_u32_e32 vcc, 1, v59
	s_waitcnt lgkmcnt(1)
	v_and_b32_e32 v58, 1, v58
	;; [unrolled: 21-line block ×4, first 2 shown]
	v_add_u32_e32 v62, 32, v47
	v_cndmask_b32_e64 v31, v31, 1, vcc
	v_cmp_eq_u16_sdwa vcc, v36, v35 src0_sel:BYTE_0 src1_sel:DWORD
	s_waitcnt lgkmcnt(0)
	v_cndmask_b32_e32 v37, 0, v37, vcc
	v_cmp_gt_u32_e32 vcc, v62, v33
	v_cndmask_b32_e64 v33, v37, 0, vcc
	v_cndmask_b32_e32 v31, v31, v36, vcc
	v_add_u32_e32 v30, v33, v30
	s_branch .LBB28_108
.LBB28_107:                             ;   in Loop: Header=BB28_108 Depth=1
	s_or_b64 exec, exec, s[34:35]
	v_cmp_eq_u16_sdwa s[34:35], v32, v27 src0_sel:BYTE_0 src1_sel:DWORD
	v_and_b32_e32 v33, s35, v29
	ds_bpermute_b32 v37, v48, v31
	v_or_b32_e32 v33, 0x80000000, v33
	v_and_b32_e32 v36, s34, v28
	v_ffbl_b32_e32 v33, v33
	v_add_u32_e32 v33, 32, v33
	v_ffbl_b32_e32 v36, v36
	v_min_u32_e32 v33, v36, v33
	ds_bpermute_b32 v36, v48, v30
	v_and_b32_e32 v63, 1, v31
	s_waitcnt lgkmcnt(1)
	v_and_b32_e32 v37, 1, v37
	v_cmp_eq_u32_e32 vcc, 1, v63
	v_cndmask_b32_e64 v37, v37, 1, vcc
	v_cmp_gt_u64_e32 vcc, s[44:45], v[30:31]
	v_and_b32_e32 v63, 0xffff, v37
	v_cmp_lt_u32_e64 s[34:35], v47, v33
	v_cndmask_b32_e64 v37, v31, v37, s[34:35]
	v_cndmask_b32_e64 v31, v31, v63, s[34:35]
	s_and_b64 vcc, s[34:35], vcc
	ds_bpermute_b32 v63, v49, v31
	s_waitcnt lgkmcnt(1)
	v_cndmask_b32_e32 v36, 0, v36, vcc
	v_add_u32_e32 v30, v36, v30
	ds_bpermute_b32 v36, v49, v30
	v_and_b32_e32 v64, 1, v37
	s_waitcnt lgkmcnt(1)
	v_and_b32_e32 v63, 1, v63
	v_cmp_eq_u32_e32 vcc, 1, v64
	v_cndmask_b32_e64 v63, v63, 1, vcc
	v_cmp_eq_u16_sdwa vcc, v37, v35 src0_sel:BYTE_0 src1_sel:DWORD
	v_and_b32_e32 v64, 0xffff, v63
	s_waitcnt lgkmcnt(0)
	v_cndmask_b32_e32 v36, 0, v36, vcc
	v_cmp_gt_u32_e32 vcc, v53, v33
	v_cndmask_b32_e32 v31, v64, v31, vcc
	v_cndmask_b32_e32 v37, v63, v37, vcc
	ds_bpermute_b32 v63, v54, v31
	v_cndmask_b32_e64 v36, v36, 0, vcc
	v_add_u32_e32 v30, v36, v30
	ds_bpermute_b32 v36, v54, v30
	v_and_b32_e32 v64, 1, v37
	s_waitcnt lgkmcnt(1)
	v_and_b32_e32 v63, 1, v63
	v_cmp_eq_u32_e32 vcc, 1, v64
	v_cndmask_b32_e64 v63, v63, 1, vcc
	v_cmp_eq_u16_sdwa vcc, v37, v35 src0_sel:BYTE_0 src1_sel:DWORD
	v_and_b32_e32 v64, 0xffff, v63
	s_waitcnt lgkmcnt(0)
	v_cndmask_b32_e32 v36, 0, v36, vcc
	v_cmp_gt_u32_e32 vcc, v55, v33
	v_cndmask_b32_e32 v31, v64, v31, vcc
	v_cndmask_b32_e32 v37, v63, v37, vcc
	ds_bpermute_b32 v63, v56, v31
	v_cndmask_b32_e64 v36, v36, 0, vcc
	v_add_u32_e32 v30, v36, v30
	ds_bpermute_b32 v36, v56, v30
	v_and_b32_e32 v64, 1, v37
	s_waitcnt lgkmcnt(1)
	v_and_b32_e32 v63, 1, v63
	v_cmp_eq_u32_e32 vcc, 1, v64
	v_cndmask_b32_e64 v63, v63, 1, vcc
	v_cmp_eq_u16_sdwa vcc, v37, v35 src0_sel:BYTE_0 src1_sel:DWORD
	v_and_b32_e32 v64, 0xffff, v63
	s_waitcnt lgkmcnt(0)
	v_cndmask_b32_e32 v36, 0, v36, vcc
	v_cmp_gt_u32_e32 vcc, v57, v33
	v_cndmask_b32_e32 v31, v64, v31, vcc
	v_cndmask_b32_e32 v37, v63, v37, vcc
	ds_bpermute_b32 v63, v58, v31
	v_cndmask_b32_e64 v36, v36, 0, vcc
	v_add_u32_e32 v30, v36, v30
	ds_bpermute_b32 v36, v58, v30
	v_and_b32_e32 v64, 1, v37
	s_waitcnt lgkmcnt(1)
	v_and_b32_e32 v63, 1, v63
	v_cmp_eq_u32_e32 vcc, 1, v64
	v_cndmask_b32_e64 v63, v63, 1, vcc
	v_cmp_eq_u16_sdwa vcc, v37, v35 src0_sel:BYTE_0 src1_sel:DWORD
	v_and_b32_e32 v64, 0xffff, v63
	s_waitcnt lgkmcnt(0)
	v_cndmask_b32_e32 v36, 0, v36, vcc
	v_cmp_gt_u32_e32 vcc, v59, v33
	v_cndmask_b32_e64 v36, v36, 0, vcc
	v_cndmask_b32_e32 v31, v64, v31, vcc
	ds_bpermute_b32 v31, v61, v31
	v_add_u32_e32 v30, v36, v30
	ds_bpermute_b32 v36, v61, v30
	v_cndmask_b32_e32 v37, v63, v37, vcc
	v_and_b32_e32 v63, 1, v37
	v_cmp_eq_u32_e32 vcc, 1, v63
	s_waitcnt lgkmcnt(1)
	v_cndmask_b32_e64 v31, v31, 1, vcc
	v_cmp_eq_u16_sdwa vcc, v37, v35 src0_sel:BYTE_0 src1_sel:DWORD
	s_waitcnt lgkmcnt(0)
	v_cndmask_b32_e32 v36, 0, v36, vcc
	v_cmp_gt_u32_e32 vcc, v62, v33
	v_cndmask_b32_e64 v33, v36, 0, vcc
	v_cndmask_b32_e32 v31, v31, v37, vcc
	v_add_u32_e32 v30, v33, v30
	v_cmp_eq_u16_sdwa vcc, v46, v35 src0_sel:BYTE_0 src1_sel:DWORD
	v_and_b32_e32 v33, 1, v46
	v_cndmask_b32_e32 v30, 0, v30, vcc
	v_and_b32_e32 v31, 1, v31
	v_cmp_eq_u32_e32 vcc, 1, v33
	v_subrev_u32_e32 v34, 64, v34
	v_add_u32_e32 v30, v30, v60
	v_cndmask_b32_e64 v31, v31, 1, vcc
.LBB28_108:                             ; =>This Loop Header: Depth=1
                                        ;     Child Loop BB28_111 Depth 2
                                        ;       Child Loop BB28_112 Depth 3
	v_cmp_ne_u16_sdwa s[34:35], v32, v27 src0_sel:BYTE_0 src1_sel:DWORD
	v_mov_b32_e32 v46, v31
	v_cndmask_b32_e64 v31, 0, 1, s[34:35]
	;;#ASMSTART
	;;#ASMEND
	v_cmp_ne_u32_e32 vcc, 0, v31
	s_cmp_lg_u64 vcc, exec
	v_mov_b32_e32 v60, v30
	s_cbranch_scc1 .LBB28_115
; %bb.109:                              ;   in Loop: Header=BB28_108 Depth=1
	v_lshlrev_b64 v[30:31], 4, v[34:35]
	v_mov_b32_e32 v32, s53
	v_add_co_u32_e32 v36, vcc, s52, v30
	v_addc_co_u32_e32 v37, vcc, v32, v31, vcc
	;;#ASMSTART
	global_load_dwordx4 v[30:33], v[36:37] off glc	
s_waitcnt vmcnt(0)
	;;#ASMEND
	v_and_b32_e32 v33, 0xff0000, v30
	v_or_b32_sdwa v33, v30, v33 dst_sel:DWORD dst_unused:UNUSED_PAD src0_sel:WORD_0 src1_sel:DWORD
	v_and_b32_e32 v30, 0xff000000, v30
	v_and_b32_e32 v31, 0xff, v31
	v_or3_b32 v31, 0, 0, v31
	v_or3_b32 v30, v33, v30, 0
	v_cmp_eq_u16_sdwa s[48:49], v32, v35 src0_sel:BYTE_0 src1_sel:DWORD
	s_and_saveexec_b64 s[34:35], s[48:49]
	s_cbranch_execz .LBB28_107
; %bb.110:                              ;   in Loop: Header=BB28_108 Depth=1
	s_mov_b32 s50, 1
	s_mov_b64 s[48:49], 0
.LBB28_111:                             ;   Parent Loop BB28_108 Depth=1
                                        ; =>  This Loop Header: Depth=2
                                        ;       Child Loop BB28_112 Depth 3
	s_max_u32 s51, s50, 1
.LBB28_112:                             ;   Parent Loop BB28_108 Depth=1
                                        ;     Parent Loop BB28_111 Depth=2
                                        ; =>    This Inner Loop Header: Depth=3
	s_add_i32 s51, s51, -1
	s_cmp_eq_u32 s51, 0
	s_sleep 1
	s_cbranch_scc0 .LBB28_112
; %bb.113:                              ;   in Loop: Header=BB28_111 Depth=2
	s_cmp_lt_u32 s50, 32
	s_cselect_b64 s[58:59], -1, 0
	s_cmp_lg_u64 s[58:59], 0
	s_addc_u32 s50, s50, 0
	;;#ASMSTART
	global_load_dwordx4 v[30:33], v[36:37] off glc	
s_waitcnt vmcnt(0)
	;;#ASMEND
	v_cmp_ne_u16_sdwa s[58:59], v32, v35 src0_sel:BYTE_0 src1_sel:DWORD
	s_or_b64 s[48:49], s[58:59], s[48:49]
	s_andn2_b64 exec, exec, s[48:49]
	s_cbranch_execnz .LBB28_111
; %bb.114:                              ;   in Loop: Header=BB28_108 Depth=1
	s_or_b64 exec, exec, s[48:49]
	v_and_b32_e32 v31, 0xff, v31
	s_branch .LBB28_107
.LBB28_115:                             ;   in Loop: Header=BB28_108 Depth=1
                                        ; implicit-def: $vgpr31
                                        ; implicit-def: $vgpr30
                                        ; implicit-def: $vgpr32
	s_cbranch_execz .LBB28_108
; %bb.116:
	s_and_saveexec_b64 s[34:35], s[28:29]
	s_cbranch_execz .LBB28_118
; %bb.117:
	s_and_b32 s44, s7, 0xff
	s_cmp_eq_u32 s44, 0
	s_cselect_b64 vcc, -1, 0
	s_bitcmp1_b32 s7, 0
	s_mov_b32 s45, 0
	s_cselect_b64 s[48:49], -1, 0
	s_add_i32 s44, s6, 64
	s_lshl_b64 s[6:7], s[44:45], 4
	v_cndmask_b32_e32 v27, 0, v60, vcc
	s_add_u32 s6, s52, s6
	v_add_u32_e32 v26, v27, v26
	v_and_b32_e32 v27, 1, v46
	s_addc_u32 s7, s53, s7
	v_mov_b32_e32 v29, 0
	v_cndmask_b32_e64 v27, v27, 1, s[48:49]
	v_mov_b32_e32 v28, 2
	v_pk_mov_b32 v[30:31], s[6:7], s[6:7] op_sel:[0,1]
	;;#ASMSTART
	global_store_dwordx4 v[30:31], v[26:29] off	
s_waitcnt vmcnt(0)
	;;#ASMEND
.LBB28_118:
	s_or_b64 exec, exec, s[34:35]
	v_cmp_eq_u32_e32 vcc, 0, v0
	s_and_b64 exec, exec, vcc
	s_cbranch_execz .LBB28_120
; %bb.119:
	v_mov_b32_e32 v26, 0
	ds_write_b32 v26, v60 offset:24
	ds_write_b8 v26, v46 offset:28
.LBB28_120:
	s_or_b64 exec, exec, s[40:41]
	s_mov_b32 s6, 0
	v_mov_b32_e32 v28, 0
	s_mov_b32 s7, 1
	s_waitcnt lgkmcnt(0)
	v_cndmask_b32_e64 v26, v45, v43, s[28:29]
	v_cndmask_b32_e64 v27, v44, v42, s[28:29]
	s_barrier
	ds_read_b32 v29, v28 offset:24
	v_cmp_gt_u64_e32 vcc, s[6:7], v[38:39]
	v_and_b32_e32 v30, 1, v39
	v_cndmask_b32_e32 v27, 0, v27, vcc
	v_and_b32_e32 v26, 1, v26
	v_cmp_eq_u32_e32 vcc, 1, v30
	v_cndmask_b32_e64 v26, v26, 1, vcc
	v_cmp_eq_u32_e32 vcc, 0, v0
	v_cndmask_b32_e32 v26, v26, v39, vcc
	v_cndmask_b32_e64 v27, v27, 0, vcc
	v_cmp_eq_u16_sdwa vcc, v26, v28 src0_sel:BYTE_0 src1_sel:DWORD
	s_waitcnt lgkmcnt(0)
	v_cndmask_b32_e32 v26, 0, v29, vcc
	v_add3_u32 v26, v27, v38, v26
	v_cndmask_b32_e64 v27, 0, v26, s[2:3]
	v_add_u32_e32 v27, v27, v2
	v_cndmask_b32_e64 v28, 0, v27, s[4:5]
	v_add_u32_e32 v42, v28, v4
	;; [unrolled: 2-line block ×13, first 2 shown]
	s_branch .LBB28_137
.LBB28_121:
                                        ; implicit-def: $vgpr49
                                        ; implicit-def: $vgpr47
                                        ; implicit-def: $vgpr45
                                        ; implicit-def: $vgpr43
                                        ; implicit-def: $vgpr34_vgpr35_vgpr36_vgpr37
                                        ; implicit-def: $vgpr30_vgpr31_vgpr32_vgpr33
                                        ; implicit-def: $vgpr26_vgpr27_vgpr28_vgpr29
	s_cbranch_execz .LBB28_137
; %bb.122:
	s_cmp_lg_u64 s[56:57], 0
	s_cselect_b32 s5, s47, 0
	s_cselect_b32 s4, s46, 0
	s_cmp_lg_u64 s[4:5], 0
	s_cselect_b64 s[6:7], -1, 0
	v_cmp_eq_u32_e32 vcc, 0, v0
	s_mov_b32 s28, 0
	v_cmp_ne_u32_e64 s[2:3], 0, v0
	s_and_b64 s[8:9], vcc, s[6:7]
	s_and_saveexec_b64 s[6:7], s[8:9]
	s_cbranch_execz .LBB28_124
; %bb.123:
	v_mov_b32_e32 v26, 0
	global_load_dword v28, v26, s[4:5]
	global_load_ubyte v29, v26, s[4:5] offset:4
	s_mov_b32 s29, 1
	v_and_b32_e32 v27, 1, v39
	v_cmp_gt_u64_e64 s[4:5], s[28:29], v[38:39]
	s_waitcnt vmcnt(1)
	v_cndmask_b32_e64 v28, 0, v28, s[4:5]
	s_waitcnt vmcnt(0)
	v_and_b32_e32 v29, 1, v29
	v_cmp_eq_u64_e64 s[4:5], 0, v[26:27]
	v_add_u32_e32 v38, v28, v38
	v_cndmask_b32_e64 v39, 1, v29, s[4:5]
.LBB28_124:
	s_or_b64 exec, exec, s[6:7]
	s_mov_b32 s29, 1
	v_cmp_gt_u64_e64 s[4:5], s[28:29], v[2:3]
	v_cndmask_b32_e64 v26, 0, v38, s[4:5]
	v_add_u32_e32 v27, v26, v2
	v_cmp_gt_u64_e64 s[6:7], s[28:29], v[4:5]
	v_cndmask_b32_e64 v26, 0, v27, s[6:7]
	v_add_u32_e32 v42, v26, v4
	;; [unrolled: 3-line block ×7, first 2 shown]
	v_cmp_gt_u64_e64 s[18:19], s[28:29], v[16:17]
	v_mov_b32_e32 v28, 0
	v_cndmask_b32_e64 v26, 0, v45, s[18:19]
	v_or3_b32 v7, v23, v15, v7
	v_add_u32_e32 v34, v26, v16
	v_cmp_gt_u64_e64 s[20:21], s[28:29], v[18:19]
	v_or3_b32 v9, v25, v17, v9
	v_and_b32_e32 v55, 1, v7
	v_mov_b32_e32 v54, v28
	v_cndmask_b32_e64 v26, 0, v34, s[20:21]
	v_or3_b32 v3, v19, v11, v3
	v_and_b32_e32 v37, 1, v9
	v_mov_b32_e32 v36, v28
	v_cmp_ne_u64_e64 s[34:35], 0, v[54:55]
	v_add_u32_e32 v35, v26, v18
	v_cmp_gt_u64_e64 s[22:23], s[28:29], v[20:21]
	v_or3_b32 v5, v21, v13, v5
	v_and_b32_e32 v29, 1, v3
	v_cndmask_b32_e64 v3, 0, 1, s[34:35]
	v_cmp_ne_u64_e64 s[34:35], 0, v[36:37]
	v_cndmask_b32_e64 v26, 0, v35, s[22:23]
	v_and_b32_e32 v33, 1, v5
	v_mov_b32_e32 v32, v28
	v_cndmask_b32_e64 v5, 0, 1, s[34:35]
	v_add_u32_e32 v46, v26, v20
	v_cmp_gt_u64_e64 s[24:25], s[28:29], v[22:23]
	v_lshlrev_b16_e32 v3, 2, v3
	v_lshlrev_b16_e32 v5, 3, v5
	v_cmp_ne_u64_e64 s[34:35], 0, v[32:33]
	v_cndmask_b32_e64 v26, 0, v46, s[24:25]
	v_or_b32_e32 v3, v5, v3
	v_cndmask_b32_e64 v5, 0, 1, s[34:35]
	v_cmp_ne_u64_e64 s[34:35], 0, v[28:29]
	v_add_u32_e32 v47, v26, v22
	v_cmp_gt_u64_e64 s[26:27], s[28:29], v[24:25]
	v_lshlrev_b16_e32 v5, 1, v5
	v_cndmask_b32_e64 v7, 0, 1, s[34:35]
	v_cndmask_b32_e64 v26, 0, v47, s[26:27]
	v_or_b32_e32 v5, v7, v5
	v_add_u32_e32 v48, v26, v24
	v_cmp_gt_u64_e64 s[28:29], s[28:29], v[40:41]
	v_and_b32_e32 v5, 3, v5
	v_cndmask_b32_e64 v26, 0, v48, s[28:29]
	v_or_b32_e32 v3, v5, v3
	v_add_u32_e32 v49, v26, v40
	v_and_b32_e32 v26, 1, v41
	v_and_b32_e32 v3, 15, v3
	v_cmp_eq_u32_e64 s[30:31], 1, v26
	v_cmp_ne_u16_e64 s[34:35], 0, v3
	s_or_b64 s[30:31], s[30:31], s[34:35]
	v_cndmask_b32_e64 v5, v39, 1, s[30:31]
	v_mbcnt_hi_u32_b32 v3, -1, v52
	v_mov_b32_dpp v9, v49 row_shr:1 row_mask:0xf bank_mask:0xf
	v_mov_b32_dpp v11, v5 row_shr:1 row_mask:0xf bank_mask:0xf
	v_cmp_eq_u32_e64 s[30:31], 0, v5
	v_and_b32_e32 v13, 1, v5
	v_and_b32_e32 v7, 15, v3
	v_cndmask_b32_e64 v9, 0, v9, s[30:31]
	v_and_b32_e32 v11, 1, v11
	v_cmp_eq_u32_e64 s[30:31], 1, v13
	v_cndmask_b32_e64 v11, v11, 1, s[30:31]
	v_cmp_eq_u32_e64 s[30:31], 0, v7
	v_cndmask_b32_e64 v5, v11, v5, s[30:31]
	v_and_b32_e32 v15, 1, v5
	v_cmp_eq_u32_e64 s[34:35], 1, v15
	v_mov_b32_dpp v13, v5 row_shr:2 row_mask:0xf bank_mask:0xf
	v_and_b32_e32 v13, 1, v13
	v_cndmask_b32_e64 v13, v13, 1, s[34:35]
	v_cmp_lt_u32_e64 s[34:35], 1, v7
	v_cndmask_b32_e64 v9, v9, 0, s[30:31]
	v_cmp_eq_u32_e64 s[30:31], 0, v5
	v_cndmask_b32_e64 v5, v5, v13, s[34:35]
	v_add_u32_e32 v9, v49, v9
	v_and_b32_e32 v15, 1, v5
	v_mov_b32_dpp v13, v5 row_shr:4 row_mask:0xf bank_mask:0xf
	v_mov_b32_dpp v11, v9 row_shr:2 row_mask:0xf bank_mask:0xf
	s_and_b64 s[30:31], s[34:35], s[30:31]
	v_and_b32_e32 v13, 1, v13
	v_cmp_eq_u32_e64 s[34:35], 1, v15
	v_cndmask_b32_e64 v11, 0, v11, s[30:31]
	v_cndmask_b32_e64 v13, v13, 1, s[34:35]
	v_cmp_lt_u32_e64 s[34:35], 3, v7
	v_add_u32_e32 v9, v9, v11
	v_cmp_eq_u32_e64 s[30:31], 0, v5
	v_cndmask_b32_e64 v5, v5, v13, s[34:35]
	v_mov_b32_dpp v11, v9 row_shr:4 row_mask:0xf bank_mask:0xf
	s_and_b64 s[30:31], s[34:35], s[30:31]
	v_mov_b32_dpp v13, v5 row_shr:8 row_mask:0xf bank_mask:0xf
	v_and_b32_e32 v15, 1, v5
	v_cndmask_b32_e64 v11, 0, v11, s[30:31]
	v_and_b32_e32 v13, 1, v13
	v_cmp_eq_u32_e64 s[34:35], 1, v15
	v_add_u32_e32 v9, v9, v11
	v_cmp_eq_u32_e64 s[30:31], 0, v5
	v_cndmask_b32_e64 v13, v13, 1, s[34:35]
	v_cmp_lt_u32_e64 s[34:35], 7, v7
	v_mov_b32_dpp v11, v9 row_shr:8 row_mask:0xf bank_mask:0xf
	s_and_b64 s[30:31], s[34:35], s[30:31]
	v_cndmask_b32_e64 v7, 0, v11, s[30:31]
	v_cndmask_b32_e64 v5, v5, v13, s[34:35]
	v_add_u32_e32 v7, v9, v7
	v_cmp_eq_u32_e64 s[30:31], 0, v5
	v_mov_b32_dpp v11, v5 row_bcast:15 row_mask:0xf bank_mask:0xf
	v_mov_b32_dpp v9, v7 row_bcast:15 row_mask:0xf bank_mask:0xf
	v_and_b32_e32 v17, 1, v5
	v_and_b32_e32 v15, 16, v3
	v_cndmask_b32_e64 v9, 0, v9, s[30:31]
	v_and_b32_e32 v11, 1, v11
	v_cmp_eq_u32_e64 s[30:31], 1, v17
	v_bfe_i32 v13, v3, 4, 1
	v_cndmask_b32_e64 v11, v11, 1, s[30:31]
	v_cmp_eq_u32_e64 s[30:31], 0, v15
	v_and_b32_e32 v9, v13, v9
	v_cndmask_b32_e64 v5, v11, v5, s[30:31]
	v_add_u32_e32 v9, v7, v9
	v_and_b32_e32 v13, 1, v5
	v_mov_b32_dpp v7, v5 row_bcast:31 row_mask:0xf bank_mask:0xf
	v_and_b32_e32 v7, 1, v7
	v_cmp_eq_u32_e64 s[34:35], 1, v13
	v_cmp_eq_u32_e64 s[30:31], 0, v5
	v_cndmask_b32_e64 v7, v7, 1, s[34:35]
	v_cmp_lt_u32_e64 s[34:35], 31, v3
	v_mov_b32_dpp v11, v9 row_bcast:31 row_mask:0xf bank_mask:0xf
	s_and_b64 s[30:31], s[34:35], s[30:31]
	v_cndmask_b32_e64 v7, v5, v7, s[34:35]
	v_cndmask_b32_e64 v5, 0, v11, s[30:31]
	v_add_u32_e32 v5, v9, v5
	v_cmp_eq_u32_e64 s[30:31], v51, v0
	s_and_saveexec_b64 s[34:35], s[30:31]
	s_cbranch_execz .LBB28_126
; %bb.125:
	v_lshlrev_b32_e32 v9, 3, v1
	ds_write_b32 v9, v5
	ds_write_b8 v9, v7 offset:4
.LBB28_126:
	s_or_b64 exec, exec, s[34:35]
	v_cmp_gt_u32_e64 s[30:31], 4, v0
	s_waitcnt lgkmcnt(0)
	s_barrier
	s_and_saveexec_b64 s[34:35], s[30:31]
	s_cbranch_execz .LBB28_130
; %bb.127:
	v_lshlrev_b32_e32 v9, 3, v0
	ds_read_b64 v[28:29], v9
	v_and_b32_e32 v11, 3, v3
	v_cmp_ne_u32_e64 s[30:31], 0, v11
	s_waitcnt lgkmcnt(0)
	v_mov_b32_dpp v13, v28 row_shr:1 row_mask:0xf bank_mask:0xf
	v_mov_b32_dpp v17, v29 row_shr:1 row_mask:0xf bank_mask:0xf
	v_mov_b32_e32 v15, v29
	s_and_saveexec_b64 s[40:41], s[30:31]
	s_cbranch_execz .LBB28_129
; %bb.128:
	v_and_b32_e32 v15, 1, v29
	v_and_b32_e32 v17, 1, v17
	v_cmp_eq_u32_e64 s[30:31], 1, v15
	v_mov_b32_e32 v15, 0
	v_cndmask_b32_e64 v17, v17, 1, s[30:31]
	v_cmp_eq_u16_sdwa s[30:31], v29, v15 src0_sel:BYTE_0 src1_sel:DWORD
	v_cndmask_b32_e64 v13, 0, v13, s[30:31]
	v_add_u32_e32 v28, v13, v28
	v_and_b32_e32 v13, 0xffff, v17
	s_movk_i32 s30, 0xff00
	v_and_or_b32 v15, v29, s30, v13
	v_mov_b32_e32 v29, v17
.LBB28_129:
	s_or_b64 exec, exec, s[40:41]
	v_mov_b32_dpp v15, v15 row_shr:2 row_mask:0xf bank_mask:0xf
	v_and_b32_e32 v17, 1, v29
	v_and_b32_e32 v15, 1, v15
	v_cmp_eq_u32_e64 s[30:31], 1, v17
	v_mov_b32_e32 v17, 0
	v_cndmask_b32_e64 v15, v15, 1, s[30:31]
	v_cmp_eq_u16_sdwa s[40:41], v29, v17 src0_sel:BYTE_0 src1_sel:DWORD
	v_cmp_lt_u32_e64 s[30:31], 1, v11
	v_mov_b32_dpp v13, v28 row_shr:2 row_mask:0xf bank_mask:0xf
	v_cndmask_b32_e64 v11, v29, v15, s[30:31]
	s_and_b64 s[30:31], s[30:31], s[40:41]
	v_cndmask_b32_e64 v13, 0, v13, s[30:31]
	v_add_u32_e32 v13, v13, v28
	ds_write_b32 v9, v13
	ds_write_b8 v9, v11 offset:4
.LBB28_130:
	s_or_b64 exec, exec, s[34:35]
	v_cmp_lt_u32_e64 s[30:31], 63, v0
	v_mov_b32_e32 v9, 0
	s_waitcnt lgkmcnt(0)
	s_barrier
	s_and_saveexec_b64 s[34:35], s[30:31]
	s_cbranch_execz .LBB28_132
; %bb.131:
	v_lshl_add_u32 v1, v1, 3, -8
	ds_read_b32 v9, v1
	v_cmp_eq_u32_e64 s[30:31], 0, v7
	s_waitcnt lgkmcnt(0)
	v_cndmask_b32_e64 v1, 0, v9, s[30:31]
	v_add_u32_e32 v5, v1, v5
.LBB28_132:
	s_or_b64 exec, exec, s[34:35]
	v_add_u32_e32 v1, -1, v3
	v_and_b32_e32 v7, 64, v3
	v_cmp_lt_i32_e64 s[30:31], v1, v7
	v_cndmask_b32_e64 v1, v1, v3, s[30:31]
	v_lshlrev_b32_e32 v1, 2, v1
	ds_bpermute_b32 v1, v1, v5
	s_and_saveexec_b64 s[30:31], s[2:3]
	s_cbranch_execz .LBB28_134
; %bb.133:
	v_and_b32_e32 v27, 0xff, v39
	v_mov_b32_e32 v26, 0
	v_cmp_eq_u32_e64 s[2:3], 0, v3
	s_waitcnt lgkmcnt(0)
	v_cndmask_b32_e64 v1, v1, v9, s[2:3]
	v_cmp_eq_u64_e64 s[2:3], 0, v[26:27]
	v_cndmask_b32_e64 v1, 0, v1, s[2:3]
	v_add_u32_e32 v38, v1, v38
	v_cndmask_b32_e64 v1, 0, v38, s[4:5]
	v_add_u32_e32 v27, v1, v2
	;; [unrolled: 2-line block ×14, first 2 shown]
	;;#ASMSTART
	;;#ASMEND
.LBB28_134:
	s_or_b64 exec, exec, s[30:31]
	s_and_saveexec_b64 s[2:3], vcc
	s_cbranch_execz .LBB28_136
; %bb.135:
	v_mov_b32_e32 v5, 0
	ds_read_b32 v2, v5 offset:24
	ds_read_u8 v3, v5 offset:28
	s_add_u32 s4, s52, 0x400
	s_addc_u32 s5, s53, 0
	v_mov_b32_e32 v4, 2
	v_pk_mov_b32 v[6:7], s[4:5], s[4:5] op_sel:[0,1]
	s_waitcnt lgkmcnt(0)
	;;#ASMSTART
	global_store_dwordx4 v[6:7], v[2:5] off	
s_waitcnt vmcnt(0)
	;;#ASMEND
.LBB28_136:
	s_or_b64 exec, exec, s[2:3]
	v_mov_b32_e32 v26, v38
.LBB28_137:
	s_add_u32 s2, s42, s38
	s_addc_u32 s3, s43, s39
	s_add_u32 s4, s2, s36
	s_waitcnt lgkmcnt(0)
	v_mul_u32_u24_e32 v1, 14, v0
	s_addc_u32 s5, s3, s37
	s_and_b64 vcc, exec, s[0:1]
	v_lshlrev_b32_e32 v2, 2, v1
	s_cbranch_vccz .LBB28_165
; %bb.138:
	s_movk_i32 s0, 0xffcc
	v_mad_i32_i24 v3, v0, s0, v2
	s_barrier
	ds_write2_b64 v2, v[26:27], v[42:43] offset1:1
	ds_write2_b64 v2, v[30:31], v[44:45] offset0:2 offset1:3
	ds_write2_b64 v2, v[34:35], v[46:47] offset0:4 offset1:5
	ds_write_b64 v2, v[48:49] offset:48
	s_waitcnt lgkmcnt(0)
	s_barrier
	ds_read2st64_b32 v[16:17], v3 offset0:4 offset1:8
	ds_read2st64_b32 v[14:15], v3 offset0:12 offset1:16
	;; [unrolled: 1-line block ×6, first 2 shown]
	ds_read_b32 v3, v3 offset:13312
	v_mov_b32_e32 v7, s5
	v_add_co_u32_e32 v6, vcc, s4, v50
	s_add_i32 s33, s33, s54
	v_addc_co_u32_e32 v7, vcc, 0, v7, vcc
	v_mov_b32_e32 v1, 0
	v_cmp_gt_u32_e32 vcc, s33, v0
	s_and_saveexec_b64 s[0:1], vcc
	s_cbranch_execz .LBB28_140
; %bb.139:
	v_mul_i32_i24_e32 v18, 0xffffffcc, v0
	v_add_u32_e32 v18, v2, v18
	ds_read_b32 v18, v18
	s_waitcnt lgkmcnt(0)
	flat_store_dword v[6:7], v18
.LBB28_140:
	s_or_b64 exec, exec, s[0:1]
	v_or_b32_e32 v18, 0x100, v0
	v_cmp_gt_u32_e32 vcc, s33, v18
	s_and_saveexec_b64 s[0:1], vcc
	s_cbranch_execz .LBB28_142
; %bb.141:
	s_waitcnt lgkmcnt(0)
	flat_store_dword v[6:7], v16 offset:1024
.LBB28_142:
	s_or_b64 exec, exec, s[0:1]
	s_waitcnt lgkmcnt(0)
	v_or_b32_e32 v16, 0x200, v0
	v_cmp_gt_u32_e32 vcc, s33, v16
	s_and_saveexec_b64 s[0:1], vcc
	s_cbranch_execz .LBB28_144
; %bb.143:
	flat_store_dword v[6:7], v17 offset:2048
.LBB28_144:
	s_or_b64 exec, exec, s[0:1]
	v_or_b32_e32 v16, 0x300, v0
	v_cmp_gt_u32_e32 vcc, s33, v16
	s_and_saveexec_b64 s[0:1], vcc
	s_cbranch_execz .LBB28_146
; %bb.145:
	flat_store_dword v[6:7], v14 offset:3072
.LBB28_146:
	s_or_b64 exec, exec, s[0:1]
	v_or_b32_e32 v14, 0x400, v0
	v_cmp_gt_u32_e32 vcc, s33, v14
	s_and_saveexec_b64 s[0:1], vcc
	s_cbranch_execz .LBB28_148
; %bb.147:
	v_add_co_u32_e32 v16, vcc, 0x1000, v6
	v_addc_co_u32_e32 v17, vcc, 0, v7, vcc
	flat_store_dword v[16:17], v15
.LBB28_148:
	s_or_b64 exec, exec, s[0:1]
	v_or_b32_e32 v14, 0x500, v0
	v_cmp_gt_u32_e32 vcc, s33, v14
	s_and_saveexec_b64 s[0:1], vcc
	s_cbranch_execz .LBB28_150
; %bb.149:
	v_add_co_u32_e32 v14, vcc, 0x1000, v6
	v_addc_co_u32_e32 v15, vcc, 0, v7, vcc
	flat_store_dword v[14:15], v12 offset:1024
.LBB28_150:
	s_or_b64 exec, exec, s[0:1]
	v_or_b32_e32 v12, 0x600, v0
	v_cmp_gt_u32_e32 vcc, s33, v12
	s_and_saveexec_b64 s[0:1], vcc
	s_cbranch_execz .LBB28_152
; %bb.151:
	v_add_co_u32_e32 v14, vcc, 0x1000, v6
	v_addc_co_u32_e32 v15, vcc, 0, v7, vcc
	flat_store_dword v[14:15], v13 offset:2048
.LBB28_152:
	;; [unrolled: 10-line block ×3, first 2 shown]
	s_or_b64 exec, exec, s[0:1]
	v_or_b32_e32 v10, 0x800, v0
	v_cmp_gt_u32_e32 vcc, s33, v10
	s_and_saveexec_b64 s[0:1], vcc
	s_cbranch_execz .LBB28_156
; %bb.155:
	v_add_co_u32_e32 v12, vcc, 0x2000, v6
	v_addc_co_u32_e32 v13, vcc, 0, v7, vcc
	flat_store_dword v[12:13], v11
.LBB28_156:
	s_or_b64 exec, exec, s[0:1]
	v_or_b32_e32 v10, 0x900, v0
	v_cmp_gt_u32_e32 vcc, s33, v10
	s_and_saveexec_b64 s[0:1], vcc
	s_cbranch_execz .LBB28_158
; %bb.157:
	v_add_co_u32_e32 v10, vcc, 0x2000, v6
	v_addc_co_u32_e32 v11, vcc, 0, v7, vcc
	flat_store_dword v[10:11], v8 offset:1024
.LBB28_158:
	s_or_b64 exec, exec, s[0:1]
	v_or_b32_e32 v8, 0xa00, v0
	v_cmp_gt_u32_e32 vcc, s33, v8
	s_and_saveexec_b64 s[0:1], vcc
	s_cbranch_execz .LBB28_160
; %bb.159:
	v_add_co_u32_e32 v10, vcc, 0x2000, v6
	v_addc_co_u32_e32 v11, vcc, 0, v7, vcc
	flat_store_dword v[10:11], v9 offset:2048
.LBB28_160:
	;; [unrolled: 10-line block ×3, first 2 shown]
	s_or_b64 exec, exec, s[0:1]
	v_or_b32_e32 v4, 0xc00, v0
	v_cmp_gt_u32_e32 vcc, s33, v4
	s_and_saveexec_b64 s[0:1], vcc
	s_cbranch_execz .LBB28_164
; %bb.163:
	v_add_co_u32_e32 v6, vcc, 0x3000, v6
	v_addc_co_u32_e32 v7, vcc, 0, v7, vcc
	flat_store_dword v[6:7], v5
.LBB28_164:
	s_or_b64 exec, exec, s[0:1]
	v_or_b32_e32 v4, 0xd00, v0
	v_cmp_gt_u32_e64 s[0:1], s33, v4
	s_branch .LBB28_167
.LBB28_165:
	s_mov_b64 s[0:1], 0
                                        ; implicit-def: $vgpr3
	s_cbranch_execz .LBB28_167
; %bb.166:
	s_movk_i32 s2, 0xffcc
	s_waitcnt lgkmcnt(0)
	s_barrier
	ds_write2_b64 v2, v[26:27], v[42:43] offset1:1
	ds_write2_b64 v2, v[30:31], v[44:45] offset0:2 offset1:3
	ds_write2_b64 v2, v[34:35], v[46:47] offset0:4 offset1:5
	ds_write_b64 v2, v[48:49] offset:48
	v_mad_i32_i24 v2, v0, s2, v2
	v_mov_b32_e32 v17, s5
	v_add_co_u32_e32 v16, vcc, s4, v50
	s_waitcnt lgkmcnt(0)
	s_barrier
	ds_read2st64_b32 v[4:5], v2 offset1:4
	ds_read2st64_b32 v[6:7], v2 offset0:8 offset1:12
	ds_read2st64_b32 v[8:9], v2 offset0:16 offset1:20
	ds_read2st64_b32 v[10:11], v2 offset0:24 offset1:28
	ds_read2st64_b32 v[12:13], v2 offset0:32 offset1:36
	ds_read2st64_b32 v[14:15], v2 offset0:40 offset1:44
	ds_read2st64_b32 v[2:3], v2 offset0:48 offset1:52
	v_addc_co_u32_e32 v17, vcc, 0, v17, vcc
	s_movk_i32 s2, 0x1000
	s_waitcnt lgkmcnt(0)
	flat_store_dword v[16:17], v4
	flat_store_dword v[16:17], v5 offset:1024
	flat_store_dword v[16:17], v6 offset:2048
	;; [unrolled: 1-line block ×3, first 2 shown]
	v_add_co_u32_e32 v4, vcc, s2, v16
	v_addc_co_u32_e32 v5, vcc, 0, v17, vcc
	flat_store_dword v[4:5], v8
	flat_store_dword v[4:5], v9 offset:1024
	flat_store_dword v[4:5], v10 offset:2048
	;; [unrolled: 1-line block ×3, first 2 shown]
	v_add_co_u32_e32 v4, vcc, 0x2000, v16
	v_addc_co_u32_e32 v5, vcc, 0, v17, vcc
	flat_store_dword v[4:5], v12
	flat_store_dword v[4:5], v13 offset:1024
	flat_store_dword v[4:5], v14 offset:2048
	;; [unrolled: 1-line block ×3, first 2 shown]
	v_add_co_u32_e32 v4, vcc, 0x3000, v16
	v_mov_b32_e32 v1, 0
	v_addc_co_u32_e32 v5, vcc, 0, v17, vcc
	s_or_b64 s[0:1], s[0:1], exec
	flat_store_dword v[4:5], v2
.LBB28_167:
	s_and_saveexec_b64 s[2:3], s[0:1]
	s_cbranch_execnz .LBB28_169
; %bb.168:
	s_endpgm
.LBB28_169:
	v_lshlrev_b64 v[0:1], 2, v[0:1]
	v_mov_b32_e32 v2, s5
	v_add_co_u32_e32 v0, vcc, s4, v0
	v_addc_co_u32_e32 v1, vcc, v2, v1, vcc
	v_add_co_u32_e32 v0, vcc, 0x3000, v0
	v_addc_co_u32_e32 v1, vcc, 0, v1, vcc
	flat_store_dword v[0:1], v3 offset:1024
	s_endpgm
.LBB28_170:
	v_mov_b32_e32 v13, s55
	v_add_co_u32_e32 v14, vcc, s7, v12
	v_addc_co_u32_e32 v15, vcc, 0, v13, vcc
	flat_load_dword v13, v[14:15]
	s_or_b64 exec, exec, s[44:45]
                                        ; implicit-def: $vgpr14
	s_and_saveexec_b64 s[2:3], s[4:5]
	s_cbranch_execz .LBB28_37
.LBB28_171:
	v_mov_b32_e32 v15, s55
	v_add_co_u32_e32 v14, vcc, s7, v12
	v_addc_co_u32_e32 v15, vcc, 0, v15, vcc
	flat_load_dword v14, v[14:15] offset:1024
	s_or_b64 exec, exec, s[2:3]
                                        ; implicit-def: $vgpr15
	s_and_saveexec_b64 s[2:3], s[30:31]
	s_cbranch_execz .LBB28_38
.LBB28_172:
	v_mov_b32_e32 v15, s55
	v_add_co_u32_e32 v16, vcc, s7, v12
	v_addc_co_u32_e32 v17, vcc, 0, v15, vcc
	flat_load_dword v15, v[16:17] offset:2048
	s_or_b64 exec, exec, s[2:3]
                                        ; implicit-def: $vgpr16
	s_and_saveexec_b64 s[2:3], s[8:9]
	s_cbranch_execz .LBB28_39
.LBB28_173:
	v_mov_b32_e32 v17, s55
	v_add_co_u32_e32 v16, vcc, s7, v12
	v_addc_co_u32_e32 v17, vcc, 0, v17, vcc
	flat_load_dword v16, v[16:17] offset:3072
	s_or_b64 exec, exec, s[2:3]
                                        ; implicit-def: $vgpr17
	s_and_saveexec_b64 s[2:3], s[10:11]
	s_cbranch_execz .LBB28_40
.LBB28_174:
	v_lshlrev_b32_e32 v2, 2, v2
	v_mov_b32_e32 v17, s55
	v_add_co_u32_e32 v18, vcc, s7, v2
	v_addc_co_u32_e32 v19, vcc, 0, v17, vcc
	flat_load_dword v17, v[18:19]
	s_or_b64 exec, exec, s[2:3]
                                        ; implicit-def: $vgpr2
	s_and_saveexec_b64 s[2:3], s[12:13]
	s_cbranch_execz .LBB28_41
.LBB28_175:
	v_lshlrev_b32_e32 v2, 2, v3
	v_mov_b32_e32 v3, s55
	v_add_co_u32_e32 v2, vcc, s7, v2
	v_addc_co_u32_e32 v3, vcc, 0, v3, vcc
	flat_load_dword v2, v[2:3]
	s_or_b64 exec, exec, s[2:3]
                                        ; implicit-def: $vgpr3
	s_and_saveexec_b64 s[2:3], s[14:15]
	s_cbranch_execz .LBB28_42
.LBB28_176:
	v_lshlrev_b32_e32 v3, 2, v4
	v_mov_b32_e32 v4, s55
	v_add_co_u32_e32 v18, vcc, s7, v3
	v_addc_co_u32_e32 v19, vcc, 0, v4, vcc
	flat_load_dword v3, v[18:19]
	s_or_b64 exec, exec, s[2:3]
                                        ; implicit-def: $vgpr4
	s_and_saveexec_b64 s[2:3], s[16:17]
	s_cbranch_execz .LBB28_43
.LBB28_177:
	v_lshlrev_b32_e32 v4, 2, v5
	v_mov_b32_e32 v5, s55
	v_add_co_u32_e32 v4, vcc, s7, v4
	v_addc_co_u32_e32 v5, vcc, 0, v5, vcc
	flat_load_dword v4, v[4:5]
	s_or_b64 exec, exec, s[2:3]
                                        ; implicit-def: $vgpr5
	s_and_saveexec_b64 s[2:3], s[18:19]
	s_cbranch_execz .LBB28_44
.LBB28_178:
	v_lshlrev_b32_e32 v5, 2, v6
	v_mov_b32_e32 v6, s55
	v_add_co_u32_e32 v18, vcc, s7, v5
	v_addc_co_u32_e32 v19, vcc, 0, v6, vcc
	flat_load_dword v5, v[18:19]
	s_or_b64 exec, exec, s[2:3]
                                        ; implicit-def: $vgpr6
	s_and_saveexec_b64 s[2:3], s[20:21]
	s_cbranch_execz .LBB28_45
.LBB28_179:
	v_lshlrev_b32_e32 v6, 2, v7
	v_mov_b32_e32 v7, s55
	v_add_co_u32_e32 v6, vcc, s7, v6
	v_addc_co_u32_e32 v7, vcc, 0, v7, vcc
	flat_load_dword v6, v[6:7]
	s_or_b64 exec, exec, s[2:3]
                                        ; implicit-def: $vgpr7
	s_and_saveexec_b64 s[2:3], s[22:23]
	s_cbranch_execz .LBB28_46
.LBB28_180:
	v_lshlrev_b32_e32 v7, 2, v8
	v_mov_b32_e32 v8, s55
	v_add_co_u32_e32 v18, vcc, s7, v7
	v_addc_co_u32_e32 v19, vcc, 0, v8, vcc
	flat_load_dword v7, v[18:19]
	s_or_b64 exec, exec, s[2:3]
                                        ; implicit-def: $vgpr8
	s_and_saveexec_b64 s[2:3], s[24:25]
	s_cbranch_execz .LBB28_47
.LBB28_181:
	v_lshlrev_b32_e32 v8, 2, v9
	v_mov_b32_e32 v9, s55
	v_add_co_u32_e32 v8, vcc, s7, v8
	v_addc_co_u32_e32 v9, vcc, 0, v9, vcc
	flat_load_dword v8, v[8:9]
	s_or_b64 exec, exec, s[2:3]
                                        ; implicit-def: $vgpr9
	s_and_saveexec_b64 s[2:3], s[26:27]
	s_cbranch_execz .LBB28_48
.LBB28_182:
	v_lshlrev_b32_e32 v9, 2, v10
	v_mov_b32_e32 v10, s55
	v_add_co_u32_e32 v18, vcc, s7, v9
	v_addc_co_u32_e32 v19, vcc, 0, v10, vcc
	flat_load_dword v9, v[18:19]
	s_or_b64 exec, exec, s[2:3]
                                        ; implicit-def: $vgpr10
	s_and_saveexec_b64 s[2:3], s[28:29]
	s_cbranch_execnz .LBB28_49
	s_branch .LBB28_50
.LBB28_183:
                                        ; implicit-def: $sgpr44_sgpr45
	s_branch .LBB28_32
.LBB28_184:
                                        ; implicit-def: $sgpr2_sgpr3
	s_branch .LBB28_81
	.section	.rodata,"a",@progbits
	.p2align	6, 0x0
	.amdhsa_kernel _ZN7rocprim17ROCPRIM_400000_NS6detail17trampoline_kernelINS0_14default_configENS1_27scan_by_key_config_selectorIiiEEZZNS1_16scan_by_key_implILNS1_25lookback_scan_determinismE0ELb0ES3_N6thrust23THRUST_200600_302600_NS6detail15normal_iteratorINS9_10device_ptrIiEEEESE_SE_iNS9_4plusIvEENS9_8equal_toIvEEiEE10hipError_tPvRmT2_T3_T4_T5_mT6_T7_P12ihipStream_tbENKUlT_T0_E_clISt17integral_constantIbLb1EESY_IbLb0EEEEDaSU_SV_EUlSU_E_NS1_11comp_targetILNS1_3genE4ELNS1_11target_archE910ELNS1_3gpuE8ELNS1_3repE0EEENS1_30default_config_static_selectorELNS0_4arch9wavefront6targetE1EEEvT1_
		.amdhsa_group_segment_fixed_size 16384
		.amdhsa_private_segment_fixed_size 0
		.amdhsa_kernarg_size 112
		.amdhsa_user_sgpr_count 6
		.amdhsa_user_sgpr_private_segment_buffer 1
		.amdhsa_user_sgpr_dispatch_ptr 0
		.amdhsa_user_sgpr_queue_ptr 0
		.amdhsa_user_sgpr_kernarg_segment_ptr 1
		.amdhsa_user_sgpr_dispatch_id 0
		.amdhsa_user_sgpr_flat_scratch_init 0
		.amdhsa_user_sgpr_kernarg_preload_length 0
		.amdhsa_user_sgpr_kernarg_preload_offset 0
		.amdhsa_user_sgpr_private_segment_size 0
		.amdhsa_uses_dynamic_stack 0
		.amdhsa_system_sgpr_private_segment_wavefront_offset 0
		.amdhsa_system_sgpr_workgroup_id_x 1
		.amdhsa_system_sgpr_workgroup_id_y 0
		.amdhsa_system_sgpr_workgroup_id_z 0
		.amdhsa_system_sgpr_workgroup_info 0
		.amdhsa_system_vgpr_workitem_id 0
		.amdhsa_next_free_vgpr 65
		.amdhsa_next_free_sgpr 61
		.amdhsa_accum_offset 68
		.amdhsa_reserve_vcc 1
		.amdhsa_reserve_flat_scratch 0
		.amdhsa_float_round_mode_32 0
		.amdhsa_float_round_mode_16_64 0
		.amdhsa_float_denorm_mode_32 3
		.amdhsa_float_denorm_mode_16_64 3
		.amdhsa_dx10_clamp 1
		.amdhsa_ieee_mode 1
		.amdhsa_fp16_overflow 0
		.amdhsa_tg_split 0
		.amdhsa_exception_fp_ieee_invalid_op 0
		.amdhsa_exception_fp_denorm_src 0
		.amdhsa_exception_fp_ieee_div_zero 0
		.amdhsa_exception_fp_ieee_overflow 0
		.amdhsa_exception_fp_ieee_underflow 0
		.amdhsa_exception_fp_ieee_inexact 0
		.amdhsa_exception_int_div_zero 0
	.end_amdhsa_kernel
	.section	.text._ZN7rocprim17ROCPRIM_400000_NS6detail17trampoline_kernelINS0_14default_configENS1_27scan_by_key_config_selectorIiiEEZZNS1_16scan_by_key_implILNS1_25lookback_scan_determinismE0ELb0ES3_N6thrust23THRUST_200600_302600_NS6detail15normal_iteratorINS9_10device_ptrIiEEEESE_SE_iNS9_4plusIvEENS9_8equal_toIvEEiEE10hipError_tPvRmT2_T3_T4_T5_mT6_T7_P12ihipStream_tbENKUlT_T0_E_clISt17integral_constantIbLb1EESY_IbLb0EEEEDaSU_SV_EUlSU_E_NS1_11comp_targetILNS1_3genE4ELNS1_11target_archE910ELNS1_3gpuE8ELNS1_3repE0EEENS1_30default_config_static_selectorELNS0_4arch9wavefront6targetE1EEEvT1_,"axG",@progbits,_ZN7rocprim17ROCPRIM_400000_NS6detail17trampoline_kernelINS0_14default_configENS1_27scan_by_key_config_selectorIiiEEZZNS1_16scan_by_key_implILNS1_25lookback_scan_determinismE0ELb0ES3_N6thrust23THRUST_200600_302600_NS6detail15normal_iteratorINS9_10device_ptrIiEEEESE_SE_iNS9_4plusIvEENS9_8equal_toIvEEiEE10hipError_tPvRmT2_T3_T4_T5_mT6_T7_P12ihipStream_tbENKUlT_T0_E_clISt17integral_constantIbLb1EESY_IbLb0EEEEDaSU_SV_EUlSU_E_NS1_11comp_targetILNS1_3genE4ELNS1_11target_archE910ELNS1_3gpuE8ELNS1_3repE0EEENS1_30default_config_static_selectorELNS0_4arch9wavefront6targetE1EEEvT1_,comdat
.Lfunc_end28:
	.size	_ZN7rocprim17ROCPRIM_400000_NS6detail17trampoline_kernelINS0_14default_configENS1_27scan_by_key_config_selectorIiiEEZZNS1_16scan_by_key_implILNS1_25lookback_scan_determinismE0ELb0ES3_N6thrust23THRUST_200600_302600_NS6detail15normal_iteratorINS9_10device_ptrIiEEEESE_SE_iNS9_4plusIvEENS9_8equal_toIvEEiEE10hipError_tPvRmT2_T3_T4_T5_mT6_T7_P12ihipStream_tbENKUlT_T0_E_clISt17integral_constantIbLb1EESY_IbLb0EEEEDaSU_SV_EUlSU_E_NS1_11comp_targetILNS1_3genE4ELNS1_11target_archE910ELNS1_3gpuE8ELNS1_3repE0EEENS1_30default_config_static_selectorELNS0_4arch9wavefront6targetE1EEEvT1_, .Lfunc_end28-_ZN7rocprim17ROCPRIM_400000_NS6detail17trampoline_kernelINS0_14default_configENS1_27scan_by_key_config_selectorIiiEEZZNS1_16scan_by_key_implILNS1_25lookback_scan_determinismE0ELb0ES3_N6thrust23THRUST_200600_302600_NS6detail15normal_iteratorINS9_10device_ptrIiEEEESE_SE_iNS9_4plusIvEENS9_8equal_toIvEEiEE10hipError_tPvRmT2_T3_T4_T5_mT6_T7_P12ihipStream_tbENKUlT_T0_E_clISt17integral_constantIbLb1EESY_IbLb0EEEEDaSU_SV_EUlSU_E_NS1_11comp_targetILNS1_3genE4ELNS1_11target_archE910ELNS1_3gpuE8ELNS1_3repE0EEENS1_30default_config_static_selectorELNS0_4arch9wavefront6targetE1EEEvT1_
                                        ; -- End function
	.section	.AMDGPU.csdata,"",@progbits
; Kernel info:
; codeLenInByte = 11028
; NumSgprs: 65
; NumVgprs: 65
; NumAgprs: 0
; TotalNumVgprs: 65
; ScratchSize: 0
; MemoryBound: 0
; FloatMode: 240
; IeeeMode: 1
; LDSByteSize: 16384 bytes/workgroup (compile time only)
; SGPRBlocks: 8
; VGPRBlocks: 8
; NumSGPRsForWavesPerEU: 65
; NumVGPRsForWavesPerEU: 65
; AccumOffset: 68
; Occupancy: 4
; WaveLimiterHint : 1
; COMPUTE_PGM_RSRC2:SCRATCH_EN: 0
; COMPUTE_PGM_RSRC2:USER_SGPR: 6
; COMPUTE_PGM_RSRC2:TRAP_HANDLER: 0
; COMPUTE_PGM_RSRC2:TGID_X_EN: 1
; COMPUTE_PGM_RSRC2:TGID_Y_EN: 0
; COMPUTE_PGM_RSRC2:TGID_Z_EN: 0
; COMPUTE_PGM_RSRC2:TIDIG_COMP_CNT: 0
; COMPUTE_PGM_RSRC3_GFX90A:ACCUM_OFFSET: 16
; COMPUTE_PGM_RSRC3_GFX90A:TG_SPLIT: 0
	.section	.text._ZN7rocprim17ROCPRIM_400000_NS6detail17trampoline_kernelINS0_14default_configENS1_27scan_by_key_config_selectorIiiEEZZNS1_16scan_by_key_implILNS1_25lookback_scan_determinismE0ELb0ES3_N6thrust23THRUST_200600_302600_NS6detail15normal_iteratorINS9_10device_ptrIiEEEESE_SE_iNS9_4plusIvEENS9_8equal_toIvEEiEE10hipError_tPvRmT2_T3_T4_T5_mT6_T7_P12ihipStream_tbENKUlT_T0_E_clISt17integral_constantIbLb1EESY_IbLb0EEEEDaSU_SV_EUlSU_E_NS1_11comp_targetILNS1_3genE3ELNS1_11target_archE908ELNS1_3gpuE7ELNS1_3repE0EEENS1_30default_config_static_selectorELNS0_4arch9wavefront6targetE1EEEvT1_,"axG",@progbits,_ZN7rocprim17ROCPRIM_400000_NS6detail17trampoline_kernelINS0_14default_configENS1_27scan_by_key_config_selectorIiiEEZZNS1_16scan_by_key_implILNS1_25lookback_scan_determinismE0ELb0ES3_N6thrust23THRUST_200600_302600_NS6detail15normal_iteratorINS9_10device_ptrIiEEEESE_SE_iNS9_4plusIvEENS9_8equal_toIvEEiEE10hipError_tPvRmT2_T3_T4_T5_mT6_T7_P12ihipStream_tbENKUlT_T0_E_clISt17integral_constantIbLb1EESY_IbLb0EEEEDaSU_SV_EUlSU_E_NS1_11comp_targetILNS1_3genE3ELNS1_11target_archE908ELNS1_3gpuE7ELNS1_3repE0EEENS1_30default_config_static_selectorELNS0_4arch9wavefront6targetE1EEEvT1_,comdat
	.protected	_ZN7rocprim17ROCPRIM_400000_NS6detail17trampoline_kernelINS0_14default_configENS1_27scan_by_key_config_selectorIiiEEZZNS1_16scan_by_key_implILNS1_25lookback_scan_determinismE0ELb0ES3_N6thrust23THRUST_200600_302600_NS6detail15normal_iteratorINS9_10device_ptrIiEEEESE_SE_iNS9_4plusIvEENS9_8equal_toIvEEiEE10hipError_tPvRmT2_T3_T4_T5_mT6_T7_P12ihipStream_tbENKUlT_T0_E_clISt17integral_constantIbLb1EESY_IbLb0EEEEDaSU_SV_EUlSU_E_NS1_11comp_targetILNS1_3genE3ELNS1_11target_archE908ELNS1_3gpuE7ELNS1_3repE0EEENS1_30default_config_static_selectorELNS0_4arch9wavefront6targetE1EEEvT1_ ; -- Begin function _ZN7rocprim17ROCPRIM_400000_NS6detail17trampoline_kernelINS0_14default_configENS1_27scan_by_key_config_selectorIiiEEZZNS1_16scan_by_key_implILNS1_25lookback_scan_determinismE0ELb0ES3_N6thrust23THRUST_200600_302600_NS6detail15normal_iteratorINS9_10device_ptrIiEEEESE_SE_iNS9_4plusIvEENS9_8equal_toIvEEiEE10hipError_tPvRmT2_T3_T4_T5_mT6_T7_P12ihipStream_tbENKUlT_T0_E_clISt17integral_constantIbLb1EESY_IbLb0EEEEDaSU_SV_EUlSU_E_NS1_11comp_targetILNS1_3genE3ELNS1_11target_archE908ELNS1_3gpuE7ELNS1_3repE0EEENS1_30default_config_static_selectorELNS0_4arch9wavefront6targetE1EEEvT1_
	.globl	_ZN7rocprim17ROCPRIM_400000_NS6detail17trampoline_kernelINS0_14default_configENS1_27scan_by_key_config_selectorIiiEEZZNS1_16scan_by_key_implILNS1_25lookback_scan_determinismE0ELb0ES3_N6thrust23THRUST_200600_302600_NS6detail15normal_iteratorINS9_10device_ptrIiEEEESE_SE_iNS9_4plusIvEENS9_8equal_toIvEEiEE10hipError_tPvRmT2_T3_T4_T5_mT6_T7_P12ihipStream_tbENKUlT_T0_E_clISt17integral_constantIbLb1EESY_IbLb0EEEEDaSU_SV_EUlSU_E_NS1_11comp_targetILNS1_3genE3ELNS1_11target_archE908ELNS1_3gpuE7ELNS1_3repE0EEENS1_30default_config_static_selectorELNS0_4arch9wavefront6targetE1EEEvT1_
	.p2align	8
	.type	_ZN7rocprim17ROCPRIM_400000_NS6detail17trampoline_kernelINS0_14default_configENS1_27scan_by_key_config_selectorIiiEEZZNS1_16scan_by_key_implILNS1_25lookback_scan_determinismE0ELb0ES3_N6thrust23THRUST_200600_302600_NS6detail15normal_iteratorINS9_10device_ptrIiEEEESE_SE_iNS9_4plusIvEENS9_8equal_toIvEEiEE10hipError_tPvRmT2_T3_T4_T5_mT6_T7_P12ihipStream_tbENKUlT_T0_E_clISt17integral_constantIbLb1EESY_IbLb0EEEEDaSU_SV_EUlSU_E_NS1_11comp_targetILNS1_3genE3ELNS1_11target_archE908ELNS1_3gpuE7ELNS1_3repE0EEENS1_30default_config_static_selectorELNS0_4arch9wavefront6targetE1EEEvT1_,@function
_ZN7rocprim17ROCPRIM_400000_NS6detail17trampoline_kernelINS0_14default_configENS1_27scan_by_key_config_selectorIiiEEZZNS1_16scan_by_key_implILNS1_25lookback_scan_determinismE0ELb0ES3_N6thrust23THRUST_200600_302600_NS6detail15normal_iteratorINS9_10device_ptrIiEEEESE_SE_iNS9_4plusIvEENS9_8equal_toIvEEiEE10hipError_tPvRmT2_T3_T4_T5_mT6_T7_P12ihipStream_tbENKUlT_T0_E_clISt17integral_constantIbLb1EESY_IbLb0EEEEDaSU_SV_EUlSU_E_NS1_11comp_targetILNS1_3genE3ELNS1_11target_archE908ELNS1_3gpuE7ELNS1_3repE0EEENS1_30default_config_static_selectorELNS0_4arch9wavefront6targetE1EEEvT1_: ; @_ZN7rocprim17ROCPRIM_400000_NS6detail17trampoline_kernelINS0_14default_configENS1_27scan_by_key_config_selectorIiiEEZZNS1_16scan_by_key_implILNS1_25lookback_scan_determinismE0ELb0ES3_N6thrust23THRUST_200600_302600_NS6detail15normal_iteratorINS9_10device_ptrIiEEEESE_SE_iNS9_4plusIvEENS9_8equal_toIvEEiEE10hipError_tPvRmT2_T3_T4_T5_mT6_T7_P12ihipStream_tbENKUlT_T0_E_clISt17integral_constantIbLb1EESY_IbLb0EEEEDaSU_SV_EUlSU_E_NS1_11comp_targetILNS1_3genE3ELNS1_11target_archE908ELNS1_3gpuE7ELNS1_3repE0EEENS1_30default_config_static_selectorELNS0_4arch9wavefront6targetE1EEEvT1_
; %bb.0:
	.section	.rodata,"a",@progbits
	.p2align	6, 0x0
	.amdhsa_kernel _ZN7rocprim17ROCPRIM_400000_NS6detail17trampoline_kernelINS0_14default_configENS1_27scan_by_key_config_selectorIiiEEZZNS1_16scan_by_key_implILNS1_25lookback_scan_determinismE0ELb0ES3_N6thrust23THRUST_200600_302600_NS6detail15normal_iteratorINS9_10device_ptrIiEEEESE_SE_iNS9_4plusIvEENS9_8equal_toIvEEiEE10hipError_tPvRmT2_T3_T4_T5_mT6_T7_P12ihipStream_tbENKUlT_T0_E_clISt17integral_constantIbLb1EESY_IbLb0EEEEDaSU_SV_EUlSU_E_NS1_11comp_targetILNS1_3genE3ELNS1_11target_archE908ELNS1_3gpuE7ELNS1_3repE0EEENS1_30default_config_static_selectorELNS0_4arch9wavefront6targetE1EEEvT1_
		.amdhsa_group_segment_fixed_size 0
		.amdhsa_private_segment_fixed_size 0
		.amdhsa_kernarg_size 112
		.amdhsa_user_sgpr_count 6
		.amdhsa_user_sgpr_private_segment_buffer 1
		.amdhsa_user_sgpr_dispatch_ptr 0
		.amdhsa_user_sgpr_queue_ptr 0
		.amdhsa_user_sgpr_kernarg_segment_ptr 1
		.amdhsa_user_sgpr_dispatch_id 0
		.amdhsa_user_sgpr_flat_scratch_init 0
		.amdhsa_user_sgpr_kernarg_preload_length 0
		.amdhsa_user_sgpr_kernarg_preload_offset 0
		.amdhsa_user_sgpr_private_segment_size 0
		.amdhsa_uses_dynamic_stack 0
		.amdhsa_system_sgpr_private_segment_wavefront_offset 0
		.amdhsa_system_sgpr_workgroup_id_x 1
		.amdhsa_system_sgpr_workgroup_id_y 0
		.amdhsa_system_sgpr_workgroup_id_z 0
		.amdhsa_system_sgpr_workgroup_info 0
		.amdhsa_system_vgpr_workitem_id 0
		.amdhsa_next_free_vgpr 1
		.amdhsa_next_free_sgpr 0
		.amdhsa_accum_offset 4
		.amdhsa_reserve_vcc 0
		.amdhsa_reserve_flat_scratch 0
		.amdhsa_float_round_mode_32 0
		.amdhsa_float_round_mode_16_64 0
		.amdhsa_float_denorm_mode_32 3
		.amdhsa_float_denorm_mode_16_64 3
		.amdhsa_dx10_clamp 1
		.amdhsa_ieee_mode 1
		.amdhsa_fp16_overflow 0
		.amdhsa_tg_split 0
		.amdhsa_exception_fp_ieee_invalid_op 0
		.amdhsa_exception_fp_denorm_src 0
		.amdhsa_exception_fp_ieee_div_zero 0
		.amdhsa_exception_fp_ieee_overflow 0
		.amdhsa_exception_fp_ieee_underflow 0
		.amdhsa_exception_fp_ieee_inexact 0
		.amdhsa_exception_int_div_zero 0
	.end_amdhsa_kernel
	.section	.text._ZN7rocprim17ROCPRIM_400000_NS6detail17trampoline_kernelINS0_14default_configENS1_27scan_by_key_config_selectorIiiEEZZNS1_16scan_by_key_implILNS1_25lookback_scan_determinismE0ELb0ES3_N6thrust23THRUST_200600_302600_NS6detail15normal_iteratorINS9_10device_ptrIiEEEESE_SE_iNS9_4plusIvEENS9_8equal_toIvEEiEE10hipError_tPvRmT2_T3_T4_T5_mT6_T7_P12ihipStream_tbENKUlT_T0_E_clISt17integral_constantIbLb1EESY_IbLb0EEEEDaSU_SV_EUlSU_E_NS1_11comp_targetILNS1_3genE3ELNS1_11target_archE908ELNS1_3gpuE7ELNS1_3repE0EEENS1_30default_config_static_selectorELNS0_4arch9wavefront6targetE1EEEvT1_,"axG",@progbits,_ZN7rocprim17ROCPRIM_400000_NS6detail17trampoline_kernelINS0_14default_configENS1_27scan_by_key_config_selectorIiiEEZZNS1_16scan_by_key_implILNS1_25lookback_scan_determinismE0ELb0ES3_N6thrust23THRUST_200600_302600_NS6detail15normal_iteratorINS9_10device_ptrIiEEEESE_SE_iNS9_4plusIvEENS9_8equal_toIvEEiEE10hipError_tPvRmT2_T3_T4_T5_mT6_T7_P12ihipStream_tbENKUlT_T0_E_clISt17integral_constantIbLb1EESY_IbLb0EEEEDaSU_SV_EUlSU_E_NS1_11comp_targetILNS1_3genE3ELNS1_11target_archE908ELNS1_3gpuE7ELNS1_3repE0EEENS1_30default_config_static_selectorELNS0_4arch9wavefront6targetE1EEEvT1_,comdat
.Lfunc_end29:
	.size	_ZN7rocprim17ROCPRIM_400000_NS6detail17trampoline_kernelINS0_14default_configENS1_27scan_by_key_config_selectorIiiEEZZNS1_16scan_by_key_implILNS1_25lookback_scan_determinismE0ELb0ES3_N6thrust23THRUST_200600_302600_NS6detail15normal_iteratorINS9_10device_ptrIiEEEESE_SE_iNS9_4plusIvEENS9_8equal_toIvEEiEE10hipError_tPvRmT2_T3_T4_T5_mT6_T7_P12ihipStream_tbENKUlT_T0_E_clISt17integral_constantIbLb1EESY_IbLb0EEEEDaSU_SV_EUlSU_E_NS1_11comp_targetILNS1_3genE3ELNS1_11target_archE908ELNS1_3gpuE7ELNS1_3repE0EEENS1_30default_config_static_selectorELNS0_4arch9wavefront6targetE1EEEvT1_, .Lfunc_end29-_ZN7rocprim17ROCPRIM_400000_NS6detail17trampoline_kernelINS0_14default_configENS1_27scan_by_key_config_selectorIiiEEZZNS1_16scan_by_key_implILNS1_25lookback_scan_determinismE0ELb0ES3_N6thrust23THRUST_200600_302600_NS6detail15normal_iteratorINS9_10device_ptrIiEEEESE_SE_iNS9_4plusIvEENS9_8equal_toIvEEiEE10hipError_tPvRmT2_T3_T4_T5_mT6_T7_P12ihipStream_tbENKUlT_T0_E_clISt17integral_constantIbLb1EESY_IbLb0EEEEDaSU_SV_EUlSU_E_NS1_11comp_targetILNS1_3genE3ELNS1_11target_archE908ELNS1_3gpuE7ELNS1_3repE0EEENS1_30default_config_static_selectorELNS0_4arch9wavefront6targetE1EEEvT1_
                                        ; -- End function
	.section	.AMDGPU.csdata,"",@progbits
; Kernel info:
; codeLenInByte = 0
; NumSgprs: 4
; NumVgprs: 0
; NumAgprs: 0
; TotalNumVgprs: 0
; ScratchSize: 0
; MemoryBound: 0
; FloatMode: 240
; IeeeMode: 1
; LDSByteSize: 0 bytes/workgroup (compile time only)
; SGPRBlocks: 0
; VGPRBlocks: 0
; NumSGPRsForWavesPerEU: 4
; NumVGPRsForWavesPerEU: 1
; AccumOffset: 4
; Occupancy: 8
; WaveLimiterHint : 0
; COMPUTE_PGM_RSRC2:SCRATCH_EN: 0
; COMPUTE_PGM_RSRC2:USER_SGPR: 6
; COMPUTE_PGM_RSRC2:TRAP_HANDLER: 0
; COMPUTE_PGM_RSRC2:TGID_X_EN: 1
; COMPUTE_PGM_RSRC2:TGID_Y_EN: 0
; COMPUTE_PGM_RSRC2:TGID_Z_EN: 0
; COMPUTE_PGM_RSRC2:TIDIG_COMP_CNT: 0
; COMPUTE_PGM_RSRC3_GFX90A:ACCUM_OFFSET: 0
; COMPUTE_PGM_RSRC3_GFX90A:TG_SPLIT: 0
	.section	.text._ZN7rocprim17ROCPRIM_400000_NS6detail17trampoline_kernelINS0_14default_configENS1_27scan_by_key_config_selectorIiiEEZZNS1_16scan_by_key_implILNS1_25lookback_scan_determinismE0ELb0ES3_N6thrust23THRUST_200600_302600_NS6detail15normal_iteratorINS9_10device_ptrIiEEEESE_SE_iNS9_4plusIvEENS9_8equal_toIvEEiEE10hipError_tPvRmT2_T3_T4_T5_mT6_T7_P12ihipStream_tbENKUlT_T0_E_clISt17integral_constantIbLb1EESY_IbLb0EEEEDaSU_SV_EUlSU_E_NS1_11comp_targetILNS1_3genE2ELNS1_11target_archE906ELNS1_3gpuE6ELNS1_3repE0EEENS1_30default_config_static_selectorELNS0_4arch9wavefront6targetE1EEEvT1_,"axG",@progbits,_ZN7rocprim17ROCPRIM_400000_NS6detail17trampoline_kernelINS0_14default_configENS1_27scan_by_key_config_selectorIiiEEZZNS1_16scan_by_key_implILNS1_25lookback_scan_determinismE0ELb0ES3_N6thrust23THRUST_200600_302600_NS6detail15normal_iteratorINS9_10device_ptrIiEEEESE_SE_iNS9_4plusIvEENS9_8equal_toIvEEiEE10hipError_tPvRmT2_T3_T4_T5_mT6_T7_P12ihipStream_tbENKUlT_T0_E_clISt17integral_constantIbLb1EESY_IbLb0EEEEDaSU_SV_EUlSU_E_NS1_11comp_targetILNS1_3genE2ELNS1_11target_archE906ELNS1_3gpuE6ELNS1_3repE0EEENS1_30default_config_static_selectorELNS0_4arch9wavefront6targetE1EEEvT1_,comdat
	.protected	_ZN7rocprim17ROCPRIM_400000_NS6detail17trampoline_kernelINS0_14default_configENS1_27scan_by_key_config_selectorIiiEEZZNS1_16scan_by_key_implILNS1_25lookback_scan_determinismE0ELb0ES3_N6thrust23THRUST_200600_302600_NS6detail15normal_iteratorINS9_10device_ptrIiEEEESE_SE_iNS9_4plusIvEENS9_8equal_toIvEEiEE10hipError_tPvRmT2_T3_T4_T5_mT6_T7_P12ihipStream_tbENKUlT_T0_E_clISt17integral_constantIbLb1EESY_IbLb0EEEEDaSU_SV_EUlSU_E_NS1_11comp_targetILNS1_3genE2ELNS1_11target_archE906ELNS1_3gpuE6ELNS1_3repE0EEENS1_30default_config_static_selectorELNS0_4arch9wavefront6targetE1EEEvT1_ ; -- Begin function _ZN7rocprim17ROCPRIM_400000_NS6detail17trampoline_kernelINS0_14default_configENS1_27scan_by_key_config_selectorIiiEEZZNS1_16scan_by_key_implILNS1_25lookback_scan_determinismE0ELb0ES3_N6thrust23THRUST_200600_302600_NS6detail15normal_iteratorINS9_10device_ptrIiEEEESE_SE_iNS9_4plusIvEENS9_8equal_toIvEEiEE10hipError_tPvRmT2_T3_T4_T5_mT6_T7_P12ihipStream_tbENKUlT_T0_E_clISt17integral_constantIbLb1EESY_IbLb0EEEEDaSU_SV_EUlSU_E_NS1_11comp_targetILNS1_3genE2ELNS1_11target_archE906ELNS1_3gpuE6ELNS1_3repE0EEENS1_30default_config_static_selectorELNS0_4arch9wavefront6targetE1EEEvT1_
	.globl	_ZN7rocprim17ROCPRIM_400000_NS6detail17trampoline_kernelINS0_14default_configENS1_27scan_by_key_config_selectorIiiEEZZNS1_16scan_by_key_implILNS1_25lookback_scan_determinismE0ELb0ES3_N6thrust23THRUST_200600_302600_NS6detail15normal_iteratorINS9_10device_ptrIiEEEESE_SE_iNS9_4plusIvEENS9_8equal_toIvEEiEE10hipError_tPvRmT2_T3_T4_T5_mT6_T7_P12ihipStream_tbENKUlT_T0_E_clISt17integral_constantIbLb1EESY_IbLb0EEEEDaSU_SV_EUlSU_E_NS1_11comp_targetILNS1_3genE2ELNS1_11target_archE906ELNS1_3gpuE6ELNS1_3repE0EEENS1_30default_config_static_selectorELNS0_4arch9wavefront6targetE1EEEvT1_
	.p2align	8
	.type	_ZN7rocprim17ROCPRIM_400000_NS6detail17trampoline_kernelINS0_14default_configENS1_27scan_by_key_config_selectorIiiEEZZNS1_16scan_by_key_implILNS1_25lookback_scan_determinismE0ELb0ES3_N6thrust23THRUST_200600_302600_NS6detail15normal_iteratorINS9_10device_ptrIiEEEESE_SE_iNS9_4plusIvEENS9_8equal_toIvEEiEE10hipError_tPvRmT2_T3_T4_T5_mT6_T7_P12ihipStream_tbENKUlT_T0_E_clISt17integral_constantIbLb1EESY_IbLb0EEEEDaSU_SV_EUlSU_E_NS1_11comp_targetILNS1_3genE2ELNS1_11target_archE906ELNS1_3gpuE6ELNS1_3repE0EEENS1_30default_config_static_selectorELNS0_4arch9wavefront6targetE1EEEvT1_,@function
_ZN7rocprim17ROCPRIM_400000_NS6detail17trampoline_kernelINS0_14default_configENS1_27scan_by_key_config_selectorIiiEEZZNS1_16scan_by_key_implILNS1_25lookback_scan_determinismE0ELb0ES3_N6thrust23THRUST_200600_302600_NS6detail15normal_iteratorINS9_10device_ptrIiEEEESE_SE_iNS9_4plusIvEENS9_8equal_toIvEEiEE10hipError_tPvRmT2_T3_T4_T5_mT6_T7_P12ihipStream_tbENKUlT_T0_E_clISt17integral_constantIbLb1EESY_IbLb0EEEEDaSU_SV_EUlSU_E_NS1_11comp_targetILNS1_3genE2ELNS1_11target_archE906ELNS1_3gpuE6ELNS1_3repE0EEENS1_30default_config_static_selectorELNS0_4arch9wavefront6targetE1EEEvT1_: ; @_ZN7rocprim17ROCPRIM_400000_NS6detail17trampoline_kernelINS0_14default_configENS1_27scan_by_key_config_selectorIiiEEZZNS1_16scan_by_key_implILNS1_25lookback_scan_determinismE0ELb0ES3_N6thrust23THRUST_200600_302600_NS6detail15normal_iteratorINS9_10device_ptrIiEEEESE_SE_iNS9_4plusIvEENS9_8equal_toIvEEiEE10hipError_tPvRmT2_T3_T4_T5_mT6_T7_P12ihipStream_tbENKUlT_T0_E_clISt17integral_constantIbLb1EESY_IbLb0EEEEDaSU_SV_EUlSU_E_NS1_11comp_targetILNS1_3genE2ELNS1_11target_archE906ELNS1_3gpuE6ELNS1_3repE0EEENS1_30default_config_static_selectorELNS0_4arch9wavefront6targetE1EEEvT1_
; %bb.0:
	.section	.rodata,"a",@progbits
	.p2align	6, 0x0
	.amdhsa_kernel _ZN7rocprim17ROCPRIM_400000_NS6detail17trampoline_kernelINS0_14default_configENS1_27scan_by_key_config_selectorIiiEEZZNS1_16scan_by_key_implILNS1_25lookback_scan_determinismE0ELb0ES3_N6thrust23THRUST_200600_302600_NS6detail15normal_iteratorINS9_10device_ptrIiEEEESE_SE_iNS9_4plusIvEENS9_8equal_toIvEEiEE10hipError_tPvRmT2_T3_T4_T5_mT6_T7_P12ihipStream_tbENKUlT_T0_E_clISt17integral_constantIbLb1EESY_IbLb0EEEEDaSU_SV_EUlSU_E_NS1_11comp_targetILNS1_3genE2ELNS1_11target_archE906ELNS1_3gpuE6ELNS1_3repE0EEENS1_30default_config_static_selectorELNS0_4arch9wavefront6targetE1EEEvT1_
		.amdhsa_group_segment_fixed_size 0
		.amdhsa_private_segment_fixed_size 0
		.amdhsa_kernarg_size 112
		.amdhsa_user_sgpr_count 6
		.amdhsa_user_sgpr_private_segment_buffer 1
		.amdhsa_user_sgpr_dispatch_ptr 0
		.amdhsa_user_sgpr_queue_ptr 0
		.amdhsa_user_sgpr_kernarg_segment_ptr 1
		.amdhsa_user_sgpr_dispatch_id 0
		.amdhsa_user_sgpr_flat_scratch_init 0
		.amdhsa_user_sgpr_kernarg_preload_length 0
		.amdhsa_user_sgpr_kernarg_preload_offset 0
		.amdhsa_user_sgpr_private_segment_size 0
		.amdhsa_uses_dynamic_stack 0
		.amdhsa_system_sgpr_private_segment_wavefront_offset 0
		.amdhsa_system_sgpr_workgroup_id_x 1
		.amdhsa_system_sgpr_workgroup_id_y 0
		.amdhsa_system_sgpr_workgroup_id_z 0
		.amdhsa_system_sgpr_workgroup_info 0
		.amdhsa_system_vgpr_workitem_id 0
		.amdhsa_next_free_vgpr 1
		.amdhsa_next_free_sgpr 0
		.amdhsa_accum_offset 4
		.amdhsa_reserve_vcc 0
		.amdhsa_reserve_flat_scratch 0
		.amdhsa_float_round_mode_32 0
		.amdhsa_float_round_mode_16_64 0
		.amdhsa_float_denorm_mode_32 3
		.amdhsa_float_denorm_mode_16_64 3
		.amdhsa_dx10_clamp 1
		.amdhsa_ieee_mode 1
		.amdhsa_fp16_overflow 0
		.amdhsa_tg_split 0
		.amdhsa_exception_fp_ieee_invalid_op 0
		.amdhsa_exception_fp_denorm_src 0
		.amdhsa_exception_fp_ieee_div_zero 0
		.amdhsa_exception_fp_ieee_overflow 0
		.amdhsa_exception_fp_ieee_underflow 0
		.amdhsa_exception_fp_ieee_inexact 0
		.amdhsa_exception_int_div_zero 0
	.end_amdhsa_kernel
	.section	.text._ZN7rocprim17ROCPRIM_400000_NS6detail17trampoline_kernelINS0_14default_configENS1_27scan_by_key_config_selectorIiiEEZZNS1_16scan_by_key_implILNS1_25lookback_scan_determinismE0ELb0ES3_N6thrust23THRUST_200600_302600_NS6detail15normal_iteratorINS9_10device_ptrIiEEEESE_SE_iNS9_4plusIvEENS9_8equal_toIvEEiEE10hipError_tPvRmT2_T3_T4_T5_mT6_T7_P12ihipStream_tbENKUlT_T0_E_clISt17integral_constantIbLb1EESY_IbLb0EEEEDaSU_SV_EUlSU_E_NS1_11comp_targetILNS1_3genE2ELNS1_11target_archE906ELNS1_3gpuE6ELNS1_3repE0EEENS1_30default_config_static_selectorELNS0_4arch9wavefront6targetE1EEEvT1_,"axG",@progbits,_ZN7rocprim17ROCPRIM_400000_NS6detail17trampoline_kernelINS0_14default_configENS1_27scan_by_key_config_selectorIiiEEZZNS1_16scan_by_key_implILNS1_25lookback_scan_determinismE0ELb0ES3_N6thrust23THRUST_200600_302600_NS6detail15normal_iteratorINS9_10device_ptrIiEEEESE_SE_iNS9_4plusIvEENS9_8equal_toIvEEiEE10hipError_tPvRmT2_T3_T4_T5_mT6_T7_P12ihipStream_tbENKUlT_T0_E_clISt17integral_constantIbLb1EESY_IbLb0EEEEDaSU_SV_EUlSU_E_NS1_11comp_targetILNS1_3genE2ELNS1_11target_archE906ELNS1_3gpuE6ELNS1_3repE0EEENS1_30default_config_static_selectorELNS0_4arch9wavefront6targetE1EEEvT1_,comdat
.Lfunc_end30:
	.size	_ZN7rocprim17ROCPRIM_400000_NS6detail17trampoline_kernelINS0_14default_configENS1_27scan_by_key_config_selectorIiiEEZZNS1_16scan_by_key_implILNS1_25lookback_scan_determinismE0ELb0ES3_N6thrust23THRUST_200600_302600_NS6detail15normal_iteratorINS9_10device_ptrIiEEEESE_SE_iNS9_4plusIvEENS9_8equal_toIvEEiEE10hipError_tPvRmT2_T3_T4_T5_mT6_T7_P12ihipStream_tbENKUlT_T0_E_clISt17integral_constantIbLb1EESY_IbLb0EEEEDaSU_SV_EUlSU_E_NS1_11comp_targetILNS1_3genE2ELNS1_11target_archE906ELNS1_3gpuE6ELNS1_3repE0EEENS1_30default_config_static_selectorELNS0_4arch9wavefront6targetE1EEEvT1_, .Lfunc_end30-_ZN7rocprim17ROCPRIM_400000_NS6detail17trampoline_kernelINS0_14default_configENS1_27scan_by_key_config_selectorIiiEEZZNS1_16scan_by_key_implILNS1_25lookback_scan_determinismE0ELb0ES3_N6thrust23THRUST_200600_302600_NS6detail15normal_iteratorINS9_10device_ptrIiEEEESE_SE_iNS9_4plusIvEENS9_8equal_toIvEEiEE10hipError_tPvRmT2_T3_T4_T5_mT6_T7_P12ihipStream_tbENKUlT_T0_E_clISt17integral_constantIbLb1EESY_IbLb0EEEEDaSU_SV_EUlSU_E_NS1_11comp_targetILNS1_3genE2ELNS1_11target_archE906ELNS1_3gpuE6ELNS1_3repE0EEENS1_30default_config_static_selectorELNS0_4arch9wavefront6targetE1EEEvT1_
                                        ; -- End function
	.section	.AMDGPU.csdata,"",@progbits
; Kernel info:
; codeLenInByte = 0
; NumSgprs: 4
; NumVgprs: 0
; NumAgprs: 0
; TotalNumVgprs: 0
; ScratchSize: 0
; MemoryBound: 0
; FloatMode: 240
; IeeeMode: 1
; LDSByteSize: 0 bytes/workgroup (compile time only)
; SGPRBlocks: 0
; VGPRBlocks: 0
; NumSGPRsForWavesPerEU: 4
; NumVGPRsForWavesPerEU: 1
; AccumOffset: 4
; Occupancy: 8
; WaveLimiterHint : 0
; COMPUTE_PGM_RSRC2:SCRATCH_EN: 0
; COMPUTE_PGM_RSRC2:USER_SGPR: 6
; COMPUTE_PGM_RSRC2:TRAP_HANDLER: 0
; COMPUTE_PGM_RSRC2:TGID_X_EN: 1
; COMPUTE_PGM_RSRC2:TGID_Y_EN: 0
; COMPUTE_PGM_RSRC2:TGID_Z_EN: 0
; COMPUTE_PGM_RSRC2:TIDIG_COMP_CNT: 0
; COMPUTE_PGM_RSRC3_GFX90A:ACCUM_OFFSET: 0
; COMPUTE_PGM_RSRC3_GFX90A:TG_SPLIT: 0
	.section	.text._ZN7rocprim17ROCPRIM_400000_NS6detail17trampoline_kernelINS0_14default_configENS1_27scan_by_key_config_selectorIiiEEZZNS1_16scan_by_key_implILNS1_25lookback_scan_determinismE0ELb0ES3_N6thrust23THRUST_200600_302600_NS6detail15normal_iteratorINS9_10device_ptrIiEEEESE_SE_iNS9_4plusIvEENS9_8equal_toIvEEiEE10hipError_tPvRmT2_T3_T4_T5_mT6_T7_P12ihipStream_tbENKUlT_T0_E_clISt17integral_constantIbLb1EESY_IbLb0EEEEDaSU_SV_EUlSU_E_NS1_11comp_targetILNS1_3genE10ELNS1_11target_archE1200ELNS1_3gpuE4ELNS1_3repE0EEENS1_30default_config_static_selectorELNS0_4arch9wavefront6targetE1EEEvT1_,"axG",@progbits,_ZN7rocprim17ROCPRIM_400000_NS6detail17trampoline_kernelINS0_14default_configENS1_27scan_by_key_config_selectorIiiEEZZNS1_16scan_by_key_implILNS1_25lookback_scan_determinismE0ELb0ES3_N6thrust23THRUST_200600_302600_NS6detail15normal_iteratorINS9_10device_ptrIiEEEESE_SE_iNS9_4plusIvEENS9_8equal_toIvEEiEE10hipError_tPvRmT2_T3_T4_T5_mT6_T7_P12ihipStream_tbENKUlT_T0_E_clISt17integral_constantIbLb1EESY_IbLb0EEEEDaSU_SV_EUlSU_E_NS1_11comp_targetILNS1_3genE10ELNS1_11target_archE1200ELNS1_3gpuE4ELNS1_3repE0EEENS1_30default_config_static_selectorELNS0_4arch9wavefront6targetE1EEEvT1_,comdat
	.protected	_ZN7rocprim17ROCPRIM_400000_NS6detail17trampoline_kernelINS0_14default_configENS1_27scan_by_key_config_selectorIiiEEZZNS1_16scan_by_key_implILNS1_25lookback_scan_determinismE0ELb0ES3_N6thrust23THRUST_200600_302600_NS6detail15normal_iteratorINS9_10device_ptrIiEEEESE_SE_iNS9_4plusIvEENS9_8equal_toIvEEiEE10hipError_tPvRmT2_T3_T4_T5_mT6_T7_P12ihipStream_tbENKUlT_T0_E_clISt17integral_constantIbLb1EESY_IbLb0EEEEDaSU_SV_EUlSU_E_NS1_11comp_targetILNS1_3genE10ELNS1_11target_archE1200ELNS1_3gpuE4ELNS1_3repE0EEENS1_30default_config_static_selectorELNS0_4arch9wavefront6targetE1EEEvT1_ ; -- Begin function _ZN7rocprim17ROCPRIM_400000_NS6detail17trampoline_kernelINS0_14default_configENS1_27scan_by_key_config_selectorIiiEEZZNS1_16scan_by_key_implILNS1_25lookback_scan_determinismE0ELb0ES3_N6thrust23THRUST_200600_302600_NS6detail15normal_iteratorINS9_10device_ptrIiEEEESE_SE_iNS9_4plusIvEENS9_8equal_toIvEEiEE10hipError_tPvRmT2_T3_T4_T5_mT6_T7_P12ihipStream_tbENKUlT_T0_E_clISt17integral_constantIbLb1EESY_IbLb0EEEEDaSU_SV_EUlSU_E_NS1_11comp_targetILNS1_3genE10ELNS1_11target_archE1200ELNS1_3gpuE4ELNS1_3repE0EEENS1_30default_config_static_selectorELNS0_4arch9wavefront6targetE1EEEvT1_
	.globl	_ZN7rocprim17ROCPRIM_400000_NS6detail17trampoline_kernelINS0_14default_configENS1_27scan_by_key_config_selectorIiiEEZZNS1_16scan_by_key_implILNS1_25lookback_scan_determinismE0ELb0ES3_N6thrust23THRUST_200600_302600_NS6detail15normal_iteratorINS9_10device_ptrIiEEEESE_SE_iNS9_4plusIvEENS9_8equal_toIvEEiEE10hipError_tPvRmT2_T3_T4_T5_mT6_T7_P12ihipStream_tbENKUlT_T0_E_clISt17integral_constantIbLb1EESY_IbLb0EEEEDaSU_SV_EUlSU_E_NS1_11comp_targetILNS1_3genE10ELNS1_11target_archE1200ELNS1_3gpuE4ELNS1_3repE0EEENS1_30default_config_static_selectorELNS0_4arch9wavefront6targetE1EEEvT1_
	.p2align	8
	.type	_ZN7rocprim17ROCPRIM_400000_NS6detail17trampoline_kernelINS0_14default_configENS1_27scan_by_key_config_selectorIiiEEZZNS1_16scan_by_key_implILNS1_25lookback_scan_determinismE0ELb0ES3_N6thrust23THRUST_200600_302600_NS6detail15normal_iteratorINS9_10device_ptrIiEEEESE_SE_iNS9_4plusIvEENS9_8equal_toIvEEiEE10hipError_tPvRmT2_T3_T4_T5_mT6_T7_P12ihipStream_tbENKUlT_T0_E_clISt17integral_constantIbLb1EESY_IbLb0EEEEDaSU_SV_EUlSU_E_NS1_11comp_targetILNS1_3genE10ELNS1_11target_archE1200ELNS1_3gpuE4ELNS1_3repE0EEENS1_30default_config_static_selectorELNS0_4arch9wavefront6targetE1EEEvT1_,@function
_ZN7rocprim17ROCPRIM_400000_NS6detail17trampoline_kernelINS0_14default_configENS1_27scan_by_key_config_selectorIiiEEZZNS1_16scan_by_key_implILNS1_25lookback_scan_determinismE0ELb0ES3_N6thrust23THRUST_200600_302600_NS6detail15normal_iteratorINS9_10device_ptrIiEEEESE_SE_iNS9_4plusIvEENS9_8equal_toIvEEiEE10hipError_tPvRmT2_T3_T4_T5_mT6_T7_P12ihipStream_tbENKUlT_T0_E_clISt17integral_constantIbLb1EESY_IbLb0EEEEDaSU_SV_EUlSU_E_NS1_11comp_targetILNS1_3genE10ELNS1_11target_archE1200ELNS1_3gpuE4ELNS1_3repE0EEENS1_30default_config_static_selectorELNS0_4arch9wavefront6targetE1EEEvT1_: ; @_ZN7rocprim17ROCPRIM_400000_NS6detail17trampoline_kernelINS0_14default_configENS1_27scan_by_key_config_selectorIiiEEZZNS1_16scan_by_key_implILNS1_25lookback_scan_determinismE0ELb0ES3_N6thrust23THRUST_200600_302600_NS6detail15normal_iteratorINS9_10device_ptrIiEEEESE_SE_iNS9_4plusIvEENS9_8equal_toIvEEiEE10hipError_tPvRmT2_T3_T4_T5_mT6_T7_P12ihipStream_tbENKUlT_T0_E_clISt17integral_constantIbLb1EESY_IbLb0EEEEDaSU_SV_EUlSU_E_NS1_11comp_targetILNS1_3genE10ELNS1_11target_archE1200ELNS1_3gpuE4ELNS1_3repE0EEENS1_30default_config_static_selectorELNS0_4arch9wavefront6targetE1EEEvT1_
; %bb.0:
	.section	.rodata,"a",@progbits
	.p2align	6, 0x0
	.amdhsa_kernel _ZN7rocprim17ROCPRIM_400000_NS6detail17trampoline_kernelINS0_14default_configENS1_27scan_by_key_config_selectorIiiEEZZNS1_16scan_by_key_implILNS1_25lookback_scan_determinismE0ELb0ES3_N6thrust23THRUST_200600_302600_NS6detail15normal_iteratorINS9_10device_ptrIiEEEESE_SE_iNS9_4plusIvEENS9_8equal_toIvEEiEE10hipError_tPvRmT2_T3_T4_T5_mT6_T7_P12ihipStream_tbENKUlT_T0_E_clISt17integral_constantIbLb1EESY_IbLb0EEEEDaSU_SV_EUlSU_E_NS1_11comp_targetILNS1_3genE10ELNS1_11target_archE1200ELNS1_3gpuE4ELNS1_3repE0EEENS1_30default_config_static_selectorELNS0_4arch9wavefront6targetE1EEEvT1_
		.amdhsa_group_segment_fixed_size 0
		.amdhsa_private_segment_fixed_size 0
		.amdhsa_kernarg_size 112
		.amdhsa_user_sgpr_count 6
		.amdhsa_user_sgpr_private_segment_buffer 1
		.amdhsa_user_sgpr_dispatch_ptr 0
		.amdhsa_user_sgpr_queue_ptr 0
		.amdhsa_user_sgpr_kernarg_segment_ptr 1
		.amdhsa_user_sgpr_dispatch_id 0
		.amdhsa_user_sgpr_flat_scratch_init 0
		.amdhsa_user_sgpr_kernarg_preload_length 0
		.amdhsa_user_sgpr_kernarg_preload_offset 0
		.amdhsa_user_sgpr_private_segment_size 0
		.amdhsa_uses_dynamic_stack 0
		.amdhsa_system_sgpr_private_segment_wavefront_offset 0
		.amdhsa_system_sgpr_workgroup_id_x 1
		.amdhsa_system_sgpr_workgroup_id_y 0
		.amdhsa_system_sgpr_workgroup_id_z 0
		.amdhsa_system_sgpr_workgroup_info 0
		.amdhsa_system_vgpr_workitem_id 0
		.amdhsa_next_free_vgpr 1
		.amdhsa_next_free_sgpr 0
		.amdhsa_accum_offset 4
		.amdhsa_reserve_vcc 0
		.amdhsa_reserve_flat_scratch 0
		.amdhsa_float_round_mode_32 0
		.amdhsa_float_round_mode_16_64 0
		.amdhsa_float_denorm_mode_32 3
		.amdhsa_float_denorm_mode_16_64 3
		.amdhsa_dx10_clamp 1
		.amdhsa_ieee_mode 1
		.amdhsa_fp16_overflow 0
		.amdhsa_tg_split 0
		.amdhsa_exception_fp_ieee_invalid_op 0
		.amdhsa_exception_fp_denorm_src 0
		.amdhsa_exception_fp_ieee_div_zero 0
		.amdhsa_exception_fp_ieee_overflow 0
		.amdhsa_exception_fp_ieee_underflow 0
		.amdhsa_exception_fp_ieee_inexact 0
		.amdhsa_exception_int_div_zero 0
	.end_amdhsa_kernel
	.section	.text._ZN7rocprim17ROCPRIM_400000_NS6detail17trampoline_kernelINS0_14default_configENS1_27scan_by_key_config_selectorIiiEEZZNS1_16scan_by_key_implILNS1_25lookback_scan_determinismE0ELb0ES3_N6thrust23THRUST_200600_302600_NS6detail15normal_iteratorINS9_10device_ptrIiEEEESE_SE_iNS9_4plusIvEENS9_8equal_toIvEEiEE10hipError_tPvRmT2_T3_T4_T5_mT6_T7_P12ihipStream_tbENKUlT_T0_E_clISt17integral_constantIbLb1EESY_IbLb0EEEEDaSU_SV_EUlSU_E_NS1_11comp_targetILNS1_3genE10ELNS1_11target_archE1200ELNS1_3gpuE4ELNS1_3repE0EEENS1_30default_config_static_selectorELNS0_4arch9wavefront6targetE1EEEvT1_,"axG",@progbits,_ZN7rocprim17ROCPRIM_400000_NS6detail17trampoline_kernelINS0_14default_configENS1_27scan_by_key_config_selectorIiiEEZZNS1_16scan_by_key_implILNS1_25lookback_scan_determinismE0ELb0ES3_N6thrust23THRUST_200600_302600_NS6detail15normal_iteratorINS9_10device_ptrIiEEEESE_SE_iNS9_4plusIvEENS9_8equal_toIvEEiEE10hipError_tPvRmT2_T3_T4_T5_mT6_T7_P12ihipStream_tbENKUlT_T0_E_clISt17integral_constantIbLb1EESY_IbLb0EEEEDaSU_SV_EUlSU_E_NS1_11comp_targetILNS1_3genE10ELNS1_11target_archE1200ELNS1_3gpuE4ELNS1_3repE0EEENS1_30default_config_static_selectorELNS0_4arch9wavefront6targetE1EEEvT1_,comdat
.Lfunc_end31:
	.size	_ZN7rocprim17ROCPRIM_400000_NS6detail17trampoline_kernelINS0_14default_configENS1_27scan_by_key_config_selectorIiiEEZZNS1_16scan_by_key_implILNS1_25lookback_scan_determinismE0ELb0ES3_N6thrust23THRUST_200600_302600_NS6detail15normal_iteratorINS9_10device_ptrIiEEEESE_SE_iNS9_4plusIvEENS9_8equal_toIvEEiEE10hipError_tPvRmT2_T3_T4_T5_mT6_T7_P12ihipStream_tbENKUlT_T0_E_clISt17integral_constantIbLb1EESY_IbLb0EEEEDaSU_SV_EUlSU_E_NS1_11comp_targetILNS1_3genE10ELNS1_11target_archE1200ELNS1_3gpuE4ELNS1_3repE0EEENS1_30default_config_static_selectorELNS0_4arch9wavefront6targetE1EEEvT1_, .Lfunc_end31-_ZN7rocprim17ROCPRIM_400000_NS6detail17trampoline_kernelINS0_14default_configENS1_27scan_by_key_config_selectorIiiEEZZNS1_16scan_by_key_implILNS1_25lookback_scan_determinismE0ELb0ES3_N6thrust23THRUST_200600_302600_NS6detail15normal_iteratorINS9_10device_ptrIiEEEESE_SE_iNS9_4plusIvEENS9_8equal_toIvEEiEE10hipError_tPvRmT2_T3_T4_T5_mT6_T7_P12ihipStream_tbENKUlT_T0_E_clISt17integral_constantIbLb1EESY_IbLb0EEEEDaSU_SV_EUlSU_E_NS1_11comp_targetILNS1_3genE10ELNS1_11target_archE1200ELNS1_3gpuE4ELNS1_3repE0EEENS1_30default_config_static_selectorELNS0_4arch9wavefront6targetE1EEEvT1_
                                        ; -- End function
	.section	.AMDGPU.csdata,"",@progbits
; Kernel info:
; codeLenInByte = 0
; NumSgprs: 4
; NumVgprs: 0
; NumAgprs: 0
; TotalNumVgprs: 0
; ScratchSize: 0
; MemoryBound: 0
; FloatMode: 240
; IeeeMode: 1
; LDSByteSize: 0 bytes/workgroup (compile time only)
; SGPRBlocks: 0
; VGPRBlocks: 0
; NumSGPRsForWavesPerEU: 4
; NumVGPRsForWavesPerEU: 1
; AccumOffset: 4
; Occupancy: 8
; WaveLimiterHint : 0
; COMPUTE_PGM_RSRC2:SCRATCH_EN: 0
; COMPUTE_PGM_RSRC2:USER_SGPR: 6
; COMPUTE_PGM_RSRC2:TRAP_HANDLER: 0
; COMPUTE_PGM_RSRC2:TGID_X_EN: 1
; COMPUTE_PGM_RSRC2:TGID_Y_EN: 0
; COMPUTE_PGM_RSRC2:TGID_Z_EN: 0
; COMPUTE_PGM_RSRC2:TIDIG_COMP_CNT: 0
; COMPUTE_PGM_RSRC3_GFX90A:ACCUM_OFFSET: 0
; COMPUTE_PGM_RSRC3_GFX90A:TG_SPLIT: 0
	.section	.text._ZN7rocprim17ROCPRIM_400000_NS6detail17trampoline_kernelINS0_14default_configENS1_27scan_by_key_config_selectorIiiEEZZNS1_16scan_by_key_implILNS1_25lookback_scan_determinismE0ELb0ES3_N6thrust23THRUST_200600_302600_NS6detail15normal_iteratorINS9_10device_ptrIiEEEESE_SE_iNS9_4plusIvEENS9_8equal_toIvEEiEE10hipError_tPvRmT2_T3_T4_T5_mT6_T7_P12ihipStream_tbENKUlT_T0_E_clISt17integral_constantIbLb1EESY_IbLb0EEEEDaSU_SV_EUlSU_E_NS1_11comp_targetILNS1_3genE9ELNS1_11target_archE1100ELNS1_3gpuE3ELNS1_3repE0EEENS1_30default_config_static_selectorELNS0_4arch9wavefront6targetE1EEEvT1_,"axG",@progbits,_ZN7rocprim17ROCPRIM_400000_NS6detail17trampoline_kernelINS0_14default_configENS1_27scan_by_key_config_selectorIiiEEZZNS1_16scan_by_key_implILNS1_25lookback_scan_determinismE0ELb0ES3_N6thrust23THRUST_200600_302600_NS6detail15normal_iteratorINS9_10device_ptrIiEEEESE_SE_iNS9_4plusIvEENS9_8equal_toIvEEiEE10hipError_tPvRmT2_T3_T4_T5_mT6_T7_P12ihipStream_tbENKUlT_T0_E_clISt17integral_constantIbLb1EESY_IbLb0EEEEDaSU_SV_EUlSU_E_NS1_11comp_targetILNS1_3genE9ELNS1_11target_archE1100ELNS1_3gpuE3ELNS1_3repE0EEENS1_30default_config_static_selectorELNS0_4arch9wavefront6targetE1EEEvT1_,comdat
	.protected	_ZN7rocprim17ROCPRIM_400000_NS6detail17trampoline_kernelINS0_14default_configENS1_27scan_by_key_config_selectorIiiEEZZNS1_16scan_by_key_implILNS1_25lookback_scan_determinismE0ELb0ES3_N6thrust23THRUST_200600_302600_NS6detail15normal_iteratorINS9_10device_ptrIiEEEESE_SE_iNS9_4plusIvEENS9_8equal_toIvEEiEE10hipError_tPvRmT2_T3_T4_T5_mT6_T7_P12ihipStream_tbENKUlT_T0_E_clISt17integral_constantIbLb1EESY_IbLb0EEEEDaSU_SV_EUlSU_E_NS1_11comp_targetILNS1_3genE9ELNS1_11target_archE1100ELNS1_3gpuE3ELNS1_3repE0EEENS1_30default_config_static_selectorELNS0_4arch9wavefront6targetE1EEEvT1_ ; -- Begin function _ZN7rocprim17ROCPRIM_400000_NS6detail17trampoline_kernelINS0_14default_configENS1_27scan_by_key_config_selectorIiiEEZZNS1_16scan_by_key_implILNS1_25lookback_scan_determinismE0ELb0ES3_N6thrust23THRUST_200600_302600_NS6detail15normal_iteratorINS9_10device_ptrIiEEEESE_SE_iNS9_4plusIvEENS9_8equal_toIvEEiEE10hipError_tPvRmT2_T3_T4_T5_mT6_T7_P12ihipStream_tbENKUlT_T0_E_clISt17integral_constantIbLb1EESY_IbLb0EEEEDaSU_SV_EUlSU_E_NS1_11comp_targetILNS1_3genE9ELNS1_11target_archE1100ELNS1_3gpuE3ELNS1_3repE0EEENS1_30default_config_static_selectorELNS0_4arch9wavefront6targetE1EEEvT1_
	.globl	_ZN7rocprim17ROCPRIM_400000_NS6detail17trampoline_kernelINS0_14default_configENS1_27scan_by_key_config_selectorIiiEEZZNS1_16scan_by_key_implILNS1_25lookback_scan_determinismE0ELb0ES3_N6thrust23THRUST_200600_302600_NS6detail15normal_iteratorINS9_10device_ptrIiEEEESE_SE_iNS9_4plusIvEENS9_8equal_toIvEEiEE10hipError_tPvRmT2_T3_T4_T5_mT6_T7_P12ihipStream_tbENKUlT_T0_E_clISt17integral_constantIbLb1EESY_IbLb0EEEEDaSU_SV_EUlSU_E_NS1_11comp_targetILNS1_3genE9ELNS1_11target_archE1100ELNS1_3gpuE3ELNS1_3repE0EEENS1_30default_config_static_selectorELNS0_4arch9wavefront6targetE1EEEvT1_
	.p2align	8
	.type	_ZN7rocprim17ROCPRIM_400000_NS6detail17trampoline_kernelINS0_14default_configENS1_27scan_by_key_config_selectorIiiEEZZNS1_16scan_by_key_implILNS1_25lookback_scan_determinismE0ELb0ES3_N6thrust23THRUST_200600_302600_NS6detail15normal_iteratorINS9_10device_ptrIiEEEESE_SE_iNS9_4plusIvEENS9_8equal_toIvEEiEE10hipError_tPvRmT2_T3_T4_T5_mT6_T7_P12ihipStream_tbENKUlT_T0_E_clISt17integral_constantIbLb1EESY_IbLb0EEEEDaSU_SV_EUlSU_E_NS1_11comp_targetILNS1_3genE9ELNS1_11target_archE1100ELNS1_3gpuE3ELNS1_3repE0EEENS1_30default_config_static_selectorELNS0_4arch9wavefront6targetE1EEEvT1_,@function
_ZN7rocprim17ROCPRIM_400000_NS6detail17trampoline_kernelINS0_14default_configENS1_27scan_by_key_config_selectorIiiEEZZNS1_16scan_by_key_implILNS1_25lookback_scan_determinismE0ELb0ES3_N6thrust23THRUST_200600_302600_NS6detail15normal_iteratorINS9_10device_ptrIiEEEESE_SE_iNS9_4plusIvEENS9_8equal_toIvEEiEE10hipError_tPvRmT2_T3_T4_T5_mT6_T7_P12ihipStream_tbENKUlT_T0_E_clISt17integral_constantIbLb1EESY_IbLb0EEEEDaSU_SV_EUlSU_E_NS1_11comp_targetILNS1_3genE9ELNS1_11target_archE1100ELNS1_3gpuE3ELNS1_3repE0EEENS1_30default_config_static_selectorELNS0_4arch9wavefront6targetE1EEEvT1_: ; @_ZN7rocprim17ROCPRIM_400000_NS6detail17trampoline_kernelINS0_14default_configENS1_27scan_by_key_config_selectorIiiEEZZNS1_16scan_by_key_implILNS1_25lookback_scan_determinismE0ELb0ES3_N6thrust23THRUST_200600_302600_NS6detail15normal_iteratorINS9_10device_ptrIiEEEESE_SE_iNS9_4plusIvEENS9_8equal_toIvEEiEE10hipError_tPvRmT2_T3_T4_T5_mT6_T7_P12ihipStream_tbENKUlT_T0_E_clISt17integral_constantIbLb1EESY_IbLb0EEEEDaSU_SV_EUlSU_E_NS1_11comp_targetILNS1_3genE9ELNS1_11target_archE1100ELNS1_3gpuE3ELNS1_3repE0EEENS1_30default_config_static_selectorELNS0_4arch9wavefront6targetE1EEEvT1_
; %bb.0:
	.section	.rodata,"a",@progbits
	.p2align	6, 0x0
	.amdhsa_kernel _ZN7rocprim17ROCPRIM_400000_NS6detail17trampoline_kernelINS0_14default_configENS1_27scan_by_key_config_selectorIiiEEZZNS1_16scan_by_key_implILNS1_25lookback_scan_determinismE0ELb0ES3_N6thrust23THRUST_200600_302600_NS6detail15normal_iteratorINS9_10device_ptrIiEEEESE_SE_iNS9_4plusIvEENS9_8equal_toIvEEiEE10hipError_tPvRmT2_T3_T4_T5_mT6_T7_P12ihipStream_tbENKUlT_T0_E_clISt17integral_constantIbLb1EESY_IbLb0EEEEDaSU_SV_EUlSU_E_NS1_11comp_targetILNS1_3genE9ELNS1_11target_archE1100ELNS1_3gpuE3ELNS1_3repE0EEENS1_30default_config_static_selectorELNS0_4arch9wavefront6targetE1EEEvT1_
		.amdhsa_group_segment_fixed_size 0
		.amdhsa_private_segment_fixed_size 0
		.amdhsa_kernarg_size 112
		.amdhsa_user_sgpr_count 6
		.amdhsa_user_sgpr_private_segment_buffer 1
		.amdhsa_user_sgpr_dispatch_ptr 0
		.amdhsa_user_sgpr_queue_ptr 0
		.amdhsa_user_sgpr_kernarg_segment_ptr 1
		.amdhsa_user_sgpr_dispatch_id 0
		.amdhsa_user_sgpr_flat_scratch_init 0
		.amdhsa_user_sgpr_kernarg_preload_length 0
		.amdhsa_user_sgpr_kernarg_preload_offset 0
		.amdhsa_user_sgpr_private_segment_size 0
		.amdhsa_uses_dynamic_stack 0
		.amdhsa_system_sgpr_private_segment_wavefront_offset 0
		.amdhsa_system_sgpr_workgroup_id_x 1
		.amdhsa_system_sgpr_workgroup_id_y 0
		.amdhsa_system_sgpr_workgroup_id_z 0
		.amdhsa_system_sgpr_workgroup_info 0
		.amdhsa_system_vgpr_workitem_id 0
		.amdhsa_next_free_vgpr 1
		.amdhsa_next_free_sgpr 0
		.amdhsa_accum_offset 4
		.amdhsa_reserve_vcc 0
		.amdhsa_reserve_flat_scratch 0
		.amdhsa_float_round_mode_32 0
		.amdhsa_float_round_mode_16_64 0
		.amdhsa_float_denorm_mode_32 3
		.amdhsa_float_denorm_mode_16_64 3
		.amdhsa_dx10_clamp 1
		.amdhsa_ieee_mode 1
		.amdhsa_fp16_overflow 0
		.amdhsa_tg_split 0
		.amdhsa_exception_fp_ieee_invalid_op 0
		.amdhsa_exception_fp_denorm_src 0
		.amdhsa_exception_fp_ieee_div_zero 0
		.amdhsa_exception_fp_ieee_overflow 0
		.amdhsa_exception_fp_ieee_underflow 0
		.amdhsa_exception_fp_ieee_inexact 0
		.amdhsa_exception_int_div_zero 0
	.end_amdhsa_kernel
	.section	.text._ZN7rocprim17ROCPRIM_400000_NS6detail17trampoline_kernelINS0_14default_configENS1_27scan_by_key_config_selectorIiiEEZZNS1_16scan_by_key_implILNS1_25lookback_scan_determinismE0ELb0ES3_N6thrust23THRUST_200600_302600_NS6detail15normal_iteratorINS9_10device_ptrIiEEEESE_SE_iNS9_4plusIvEENS9_8equal_toIvEEiEE10hipError_tPvRmT2_T3_T4_T5_mT6_T7_P12ihipStream_tbENKUlT_T0_E_clISt17integral_constantIbLb1EESY_IbLb0EEEEDaSU_SV_EUlSU_E_NS1_11comp_targetILNS1_3genE9ELNS1_11target_archE1100ELNS1_3gpuE3ELNS1_3repE0EEENS1_30default_config_static_selectorELNS0_4arch9wavefront6targetE1EEEvT1_,"axG",@progbits,_ZN7rocprim17ROCPRIM_400000_NS6detail17trampoline_kernelINS0_14default_configENS1_27scan_by_key_config_selectorIiiEEZZNS1_16scan_by_key_implILNS1_25lookback_scan_determinismE0ELb0ES3_N6thrust23THRUST_200600_302600_NS6detail15normal_iteratorINS9_10device_ptrIiEEEESE_SE_iNS9_4plusIvEENS9_8equal_toIvEEiEE10hipError_tPvRmT2_T3_T4_T5_mT6_T7_P12ihipStream_tbENKUlT_T0_E_clISt17integral_constantIbLb1EESY_IbLb0EEEEDaSU_SV_EUlSU_E_NS1_11comp_targetILNS1_3genE9ELNS1_11target_archE1100ELNS1_3gpuE3ELNS1_3repE0EEENS1_30default_config_static_selectorELNS0_4arch9wavefront6targetE1EEEvT1_,comdat
.Lfunc_end32:
	.size	_ZN7rocprim17ROCPRIM_400000_NS6detail17trampoline_kernelINS0_14default_configENS1_27scan_by_key_config_selectorIiiEEZZNS1_16scan_by_key_implILNS1_25lookback_scan_determinismE0ELb0ES3_N6thrust23THRUST_200600_302600_NS6detail15normal_iteratorINS9_10device_ptrIiEEEESE_SE_iNS9_4plusIvEENS9_8equal_toIvEEiEE10hipError_tPvRmT2_T3_T4_T5_mT6_T7_P12ihipStream_tbENKUlT_T0_E_clISt17integral_constantIbLb1EESY_IbLb0EEEEDaSU_SV_EUlSU_E_NS1_11comp_targetILNS1_3genE9ELNS1_11target_archE1100ELNS1_3gpuE3ELNS1_3repE0EEENS1_30default_config_static_selectorELNS0_4arch9wavefront6targetE1EEEvT1_, .Lfunc_end32-_ZN7rocprim17ROCPRIM_400000_NS6detail17trampoline_kernelINS0_14default_configENS1_27scan_by_key_config_selectorIiiEEZZNS1_16scan_by_key_implILNS1_25lookback_scan_determinismE0ELb0ES3_N6thrust23THRUST_200600_302600_NS6detail15normal_iteratorINS9_10device_ptrIiEEEESE_SE_iNS9_4plusIvEENS9_8equal_toIvEEiEE10hipError_tPvRmT2_T3_T4_T5_mT6_T7_P12ihipStream_tbENKUlT_T0_E_clISt17integral_constantIbLb1EESY_IbLb0EEEEDaSU_SV_EUlSU_E_NS1_11comp_targetILNS1_3genE9ELNS1_11target_archE1100ELNS1_3gpuE3ELNS1_3repE0EEENS1_30default_config_static_selectorELNS0_4arch9wavefront6targetE1EEEvT1_
                                        ; -- End function
	.section	.AMDGPU.csdata,"",@progbits
; Kernel info:
; codeLenInByte = 0
; NumSgprs: 4
; NumVgprs: 0
; NumAgprs: 0
; TotalNumVgprs: 0
; ScratchSize: 0
; MemoryBound: 0
; FloatMode: 240
; IeeeMode: 1
; LDSByteSize: 0 bytes/workgroup (compile time only)
; SGPRBlocks: 0
; VGPRBlocks: 0
; NumSGPRsForWavesPerEU: 4
; NumVGPRsForWavesPerEU: 1
; AccumOffset: 4
; Occupancy: 8
; WaveLimiterHint : 0
; COMPUTE_PGM_RSRC2:SCRATCH_EN: 0
; COMPUTE_PGM_RSRC2:USER_SGPR: 6
; COMPUTE_PGM_RSRC2:TRAP_HANDLER: 0
; COMPUTE_PGM_RSRC2:TGID_X_EN: 1
; COMPUTE_PGM_RSRC2:TGID_Y_EN: 0
; COMPUTE_PGM_RSRC2:TGID_Z_EN: 0
; COMPUTE_PGM_RSRC2:TIDIG_COMP_CNT: 0
; COMPUTE_PGM_RSRC3_GFX90A:ACCUM_OFFSET: 0
; COMPUTE_PGM_RSRC3_GFX90A:TG_SPLIT: 0
	.section	.text._ZN7rocprim17ROCPRIM_400000_NS6detail17trampoline_kernelINS0_14default_configENS1_27scan_by_key_config_selectorIiiEEZZNS1_16scan_by_key_implILNS1_25lookback_scan_determinismE0ELb0ES3_N6thrust23THRUST_200600_302600_NS6detail15normal_iteratorINS9_10device_ptrIiEEEESE_SE_iNS9_4plusIvEENS9_8equal_toIvEEiEE10hipError_tPvRmT2_T3_T4_T5_mT6_T7_P12ihipStream_tbENKUlT_T0_E_clISt17integral_constantIbLb1EESY_IbLb0EEEEDaSU_SV_EUlSU_E_NS1_11comp_targetILNS1_3genE8ELNS1_11target_archE1030ELNS1_3gpuE2ELNS1_3repE0EEENS1_30default_config_static_selectorELNS0_4arch9wavefront6targetE1EEEvT1_,"axG",@progbits,_ZN7rocprim17ROCPRIM_400000_NS6detail17trampoline_kernelINS0_14default_configENS1_27scan_by_key_config_selectorIiiEEZZNS1_16scan_by_key_implILNS1_25lookback_scan_determinismE0ELb0ES3_N6thrust23THRUST_200600_302600_NS6detail15normal_iteratorINS9_10device_ptrIiEEEESE_SE_iNS9_4plusIvEENS9_8equal_toIvEEiEE10hipError_tPvRmT2_T3_T4_T5_mT6_T7_P12ihipStream_tbENKUlT_T0_E_clISt17integral_constantIbLb1EESY_IbLb0EEEEDaSU_SV_EUlSU_E_NS1_11comp_targetILNS1_3genE8ELNS1_11target_archE1030ELNS1_3gpuE2ELNS1_3repE0EEENS1_30default_config_static_selectorELNS0_4arch9wavefront6targetE1EEEvT1_,comdat
	.protected	_ZN7rocprim17ROCPRIM_400000_NS6detail17trampoline_kernelINS0_14default_configENS1_27scan_by_key_config_selectorIiiEEZZNS1_16scan_by_key_implILNS1_25lookback_scan_determinismE0ELb0ES3_N6thrust23THRUST_200600_302600_NS6detail15normal_iteratorINS9_10device_ptrIiEEEESE_SE_iNS9_4plusIvEENS9_8equal_toIvEEiEE10hipError_tPvRmT2_T3_T4_T5_mT6_T7_P12ihipStream_tbENKUlT_T0_E_clISt17integral_constantIbLb1EESY_IbLb0EEEEDaSU_SV_EUlSU_E_NS1_11comp_targetILNS1_3genE8ELNS1_11target_archE1030ELNS1_3gpuE2ELNS1_3repE0EEENS1_30default_config_static_selectorELNS0_4arch9wavefront6targetE1EEEvT1_ ; -- Begin function _ZN7rocprim17ROCPRIM_400000_NS6detail17trampoline_kernelINS0_14default_configENS1_27scan_by_key_config_selectorIiiEEZZNS1_16scan_by_key_implILNS1_25lookback_scan_determinismE0ELb0ES3_N6thrust23THRUST_200600_302600_NS6detail15normal_iteratorINS9_10device_ptrIiEEEESE_SE_iNS9_4plusIvEENS9_8equal_toIvEEiEE10hipError_tPvRmT2_T3_T4_T5_mT6_T7_P12ihipStream_tbENKUlT_T0_E_clISt17integral_constantIbLb1EESY_IbLb0EEEEDaSU_SV_EUlSU_E_NS1_11comp_targetILNS1_3genE8ELNS1_11target_archE1030ELNS1_3gpuE2ELNS1_3repE0EEENS1_30default_config_static_selectorELNS0_4arch9wavefront6targetE1EEEvT1_
	.globl	_ZN7rocprim17ROCPRIM_400000_NS6detail17trampoline_kernelINS0_14default_configENS1_27scan_by_key_config_selectorIiiEEZZNS1_16scan_by_key_implILNS1_25lookback_scan_determinismE0ELb0ES3_N6thrust23THRUST_200600_302600_NS6detail15normal_iteratorINS9_10device_ptrIiEEEESE_SE_iNS9_4plusIvEENS9_8equal_toIvEEiEE10hipError_tPvRmT2_T3_T4_T5_mT6_T7_P12ihipStream_tbENKUlT_T0_E_clISt17integral_constantIbLb1EESY_IbLb0EEEEDaSU_SV_EUlSU_E_NS1_11comp_targetILNS1_3genE8ELNS1_11target_archE1030ELNS1_3gpuE2ELNS1_3repE0EEENS1_30default_config_static_selectorELNS0_4arch9wavefront6targetE1EEEvT1_
	.p2align	8
	.type	_ZN7rocprim17ROCPRIM_400000_NS6detail17trampoline_kernelINS0_14default_configENS1_27scan_by_key_config_selectorIiiEEZZNS1_16scan_by_key_implILNS1_25lookback_scan_determinismE0ELb0ES3_N6thrust23THRUST_200600_302600_NS6detail15normal_iteratorINS9_10device_ptrIiEEEESE_SE_iNS9_4plusIvEENS9_8equal_toIvEEiEE10hipError_tPvRmT2_T3_T4_T5_mT6_T7_P12ihipStream_tbENKUlT_T0_E_clISt17integral_constantIbLb1EESY_IbLb0EEEEDaSU_SV_EUlSU_E_NS1_11comp_targetILNS1_3genE8ELNS1_11target_archE1030ELNS1_3gpuE2ELNS1_3repE0EEENS1_30default_config_static_selectorELNS0_4arch9wavefront6targetE1EEEvT1_,@function
_ZN7rocprim17ROCPRIM_400000_NS6detail17trampoline_kernelINS0_14default_configENS1_27scan_by_key_config_selectorIiiEEZZNS1_16scan_by_key_implILNS1_25lookback_scan_determinismE0ELb0ES3_N6thrust23THRUST_200600_302600_NS6detail15normal_iteratorINS9_10device_ptrIiEEEESE_SE_iNS9_4plusIvEENS9_8equal_toIvEEiEE10hipError_tPvRmT2_T3_T4_T5_mT6_T7_P12ihipStream_tbENKUlT_T0_E_clISt17integral_constantIbLb1EESY_IbLb0EEEEDaSU_SV_EUlSU_E_NS1_11comp_targetILNS1_3genE8ELNS1_11target_archE1030ELNS1_3gpuE2ELNS1_3repE0EEENS1_30default_config_static_selectorELNS0_4arch9wavefront6targetE1EEEvT1_: ; @_ZN7rocprim17ROCPRIM_400000_NS6detail17trampoline_kernelINS0_14default_configENS1_27scan_by_key_config_selectorIiiEEZZNS1_16scan_by_key_implILNS1_25lookback_scan_determinismE0ELb0ES3_N6thrust23THRUST_200600_302600_NS6detail15normal_iteratorINS9_10device_ptrIiEEEESE_SE_iNS9_4plusIvEENS9_8equal_toIvEEiEE10hipError_tPvRmT2_T3_T4_T5_mT6_T7_P12ihipStream_tbENKUlT_T0_E_clISt17integral_constantIbLb1EESY_IbLb0EEEEDaSU_SV_EUlSU_E_NS1_11comp_targetILNS1_3genE8ELNS1_11target_archE1030ELNS1_3gpuE2ELNS1_3repE0EEENS1_30default_config_static_selectorELNS0_4arch9wavefront6targetE1EEEvT1_
; %bb.0:
	.section	.rodata,"a",@progbits
	.p2align	6, 0x0
	.amdhsa_kernel _ZN7rocprim17ROCPRIM_400000_NS6detail17trampoline_kernelINS0_14default_configENS1_27scan_by_key_config_selectorIiiEEZZNS1_16scan_by_key_implILNS1_25lookback_scan_determinismE0ELb0ES3_N6thrust23THRUST_200600_302600_NS6detail15normal_iteratorINS9_10device_ptrIiEEEESE_SE_iNS9_4plusIvEENS9_8equal_toIvEEiEE10hipError_tPvRmT2_T3_T4_T5_mT6_T7_P12ihipStream_tbENKUlT_T0_E_clISt17integral_constantIbLb1EESY_IbLb0EEEEDaSU_SV_EUlSU_E_NS1_11comp_targetILNS1_3genE8ELNS1_11target_archE1030ELNS1_3gpuE2ELNS1_3repE0EEENS1_30default_config_static_selectorELNS0_4arch9wavefront6targetE1EEEvT1_
		.amdhsa_group_segment_fixed_size 0
		.amdhsa_private_segment_fixed_size 0
		.amdhsa_kernarg_size 112
		.amdhsa_user_sgpr_count 6
		.amdhsa_user_sgpr_private_segment_buffer 1
		.amdhsa_user_sgpr_dispatch_ptr 0
		.amdhsa_user_sgpr_queue_ptr 0
		.amdhsa_user_sgpr_kernarg_segment_ptr 1
		.amdhsa_user_sgpr_dispatch_id 0
		.amdhsa_user_sgpr_flat_scratch_init 0
		.amdhsa_user_sgpr_kernarg_preload_length 0
		.amdhsa_user_sgpr_kernarg_preload_offset 0
		.amdhsa_user_sgpr_private_segment_size 0
		.amdhsa_uses_dynamic_stack 0
		.amdhsa_system_sgpr_private_segment_wavefront_offset 0
		.amdhsa_system_sgpr_workgroup_id_x 1
		.amdhsa_system_sgpr_workgroup_id_y 0
		.amdhsa_system_sgpr_workgroup_id_z 0
		.amdhsa_system_sgpr_workgroup_info 0
		.amdhsa_system_vgpr_workitem_id 0
		.amdhsa_next_free_vgpr 1
		.amdhsa_next_free_sgpr 0
		.amdhsa_accum_offset 4
		.amdhsa_reserve_vcc 0
		.amdhsa_reserve_flat_scratch 0
		.amdhsa_float_round_mode_32 0
		.amdhsa_float_round_mode_16_64 0
		.amdhsa_float_denorm_mode_32 3
		.amdhsa_float_denorm_mode_16_64 3
		.amdhsa_dx10_clamp 1
		.amdhsa_ieee_mode 1
		.amdhsa_fp16_overflow 0
		.amdhsa_tg_split 0
		.amdhsa_exception_fp_ieee_invalid_op 0
		.amdhsa_exception_fp_denorm_src 0
		.amdhsa_exception_fp_ieee_div_zero 0
		.amdhsa_exception_fp_ieee_overflow 0
		.amdhsa_exception_fp_ieee_underflow 0
		.amdhsa_exception_fp_ieee_inexact 0
		.amdhsa_exception_int_div_zero 0
	.end_amdhsa_kernel
	.section	.text._ZN7rocprim17ROCPRIM_400000_NS6detail17trampoline_kernelINS0_14default_configENS1_27scan_by_key_config_selectorIiiEEZZNS1_16scan_by_key_implILNS1_25lookback_scan_determinismE0ELb0ES3_N6thrust23THRUST_200600_302600_NS6detail15normal_iteratorINS9_10device_ptrIiEEEESE_SE_iNS9_4plusIvEENS9_8equal_toIvEEiEE10hipError_tPvRmT2_T3_T4_T5_mT6_T7_P12ihipStream_tbENKUlT_T0_E_clISt17integral_constantIbLb1EESY_IbLb0EEEEDaSU_SV_EUlSU_E_NS1_11comp_targetILNS1_3genE8ELNS1_11target_archE1030ELNS1_3gpuE2ELNS1_3repE0EEENS1_30default_config_static_selectorELNS0_4arch9wavefront6targetE1EEEvT1_,"axG",@progbits,_ZN7rocprim17ROCPRIM_400000_NS6detail17trampoline_kernelINS0_14default_configENS1_27scan_by_key_config_selectorIiiEEZZNS1_16scan_by_key_implILNS1_25lookback_scan_determinismE0ELb0ES3_N6thrust23THRUST_200600_302600_NS6detail15normal_iteratorINS9_10device_ptrIiEEEESE_SE_iNS9_4plusIvEENS9_8equal_toIvEEiEE10hipError_tPvRmT2_T3_T4_T5_mT6_T7_P12ihipStream_tbENKUlT_T0_E_clISt17integral_constantIbLb1EESY_IbLb0EEEEDaSU_SV_EUlSU_E_NS1_11comp_targetILNS1_3genE8ELNS1_11target_archE1030ELNS1_3gpuE2ELNS1_3repE0EEENS1_30default_config_static_selectorELNS0_4arch9wavefront6targetE1EEEvT1_,comdat
.Lfunc_end33:
	.size	_ZN7rocprim17ROCPRIM_400000_NS6detail17trampoline_kernelINS0_14default_configENS1_27scan_by_key_config_selectorIiiEEZZNS1_16scan_by_key_implILNS1_25lookback_scan_determinismE0ELb0ES3_N6thrust23THRUST_200600_302600_NS6detail15normal_iteratorINS9_10device_ptrIiEEEESE_SE_iNS9_4plusIvEENS9_8equal_toIvEEiEE10hipError_tPvRmT2_T3_T4_T5_mT6_T7_P12ihipStream_tbENKUlT_T0_E_clISt17integral_constantIbLb1EESY_IbLb0EEEEDaSU_SV_EUlSU_E_NS1_11comp_targetILNS1_3genE8ELNS1_11target_archE1030ELNS1_3gpuE2ELNS1_3repE0EEENS1_30default_config_static_selectorELNS0_4arch9wavefront6targetE1EEEvT1_, .Lfunc_end33-_ZN7rocprim17ROCPRIM_400000_NS6detail17trampoline_kernelINS0_14default_configENS1_27scan_by_key_config_selectorIiiEEZZNS1_16scan_by_key_implILNS1_25lookback_scan_determinismE0ELb0ES3_N6thrust23THRUST_200600_302600_NS6detail15normal_iteratorINS9_10device_ptrIiEEEESE_SE_iNS9_4plusIvEENS9_8equal_toIvEEiEE10hipError_tPvRmT2_T3_T4_T5_mT6_T7_P12ihipStream_tbENKUlT_T0_E_clISt17integral_constantIbLb1EESY_IbLb0EEEEDaSU_SV_EUlSU_E_NS1_11comp_targetILNS1_3genE8ELNS1_11target_archE1030ELNS1_3gpuE2ELNS1_3repE0EEENS1_30default_config_static_selectorELNS0_4arch9wavefront6targetE1EEEvT1_
                                        ; -- End function
	.section	.AMDGPU.csdata,"",@progbits
; Kernel info:
; codeLenInByte = 0
; NumSgprs: 4
; NumVgprs: 0
; NumAgprs: 0
; TotalNumVgprs: 0
; ScratchSize: 0
; MemoryBound: 0
; FloatMode: 240
; IeeeMode: 1
; LDSByteSize: 0 bytes/workgroup (compile time only)
; SGPRBlocks: 0
; VGPRBlocks: 0
; NumSGPRsForWavesPerEU: 4
; NumVGPRsForWavesPerEU: 1
; AccumOffset: 4
; Occupancy: 8
; WaveLimiterHint : 0
; COMPUTE_PGM_RSRC2:SCRATCH_EN: 0
; COMPUTE_PGM_RSRC2:USER_SGPR: 6
; COMPUTE_PGM_RSRC2:TRAP_HANDLER: 0
; COMPUTE_PGM_RSRC2:TGID_X_EN: 1
; COMPUTE_PGM_RSRC2:TGID_Y_EN: 0
; COMPUTE_PGM_RSRC2:TGID_Z_EN: 0
; COMPUTE_PGM_RSRC2:TIDIG_COMP_CNT: 0
; COMPUTE_PGM_RSRC3_GFX90A:ACCUM_OFFSET: 0
; COMPUTE_PGM_RSRC3_GFX90A:TG_SPLIT: 0
	.section	.text._ZN7rocprim17ROCPRIM_400000_NS6detail30init_device_scan_by_key_kernelINS1_19lookback_scan_stateINS0_5tupleIJibEEELb0ELb1EEEN6thrust23THRUST_200600_302600_NS6detail15normal_iteratorINS8_10device_ptrIiEEEEjNS1_16block_id_wrapperIjLb1EEEEEvT_jjPNSG_10value_typeET0_PNSt15iterator_traitsISJ_E10value_typeEmT1_T2_,"axG",@progbits,_ZN7rocprim17ROCPRIM_400000_NS6detail30init_device_scan_by_key_kernelINS1_19lookback_scan_stateINS0_5tupleIJibEEELb0ELb1EEEN6thrust23THRUST_200600_302600_NS6detail15normal_iteratorINS8_10device_ptrIiEEEEjNS1_16block_id_wrapperIjLb1EEEEEvT_jjPNSG_10value_typeET0_PNSt15iterator_traitsISJ_E10value_typeEmT1_T2_,comdat
	.protected	_ZN7rocprim17ROCPRIM_400000_NS6detail30init_device_scan_by_key_kernelINS1_19lookback_scan_stateINS0_5tupleIJibEEELb0ELb1EEEN6thrust23THRUST_200600_302600_NS6detail15normal_iteratorINS8_10device_ptrIiEEEEjNS1_16block_id_wrapperIjLb1EEEEEvT_jjPNSG_10value_typeET0_PNSt15iterator_traitsISJ_E10value_typeEmT1_T2_ ; -- Begin function _ZN7rocprim17ROCPRIM_400000_NS6detail30init_device_scan_by_key_kernelINS1_19lookback_scan_stateINS0_5tupleIJibEEELb0ELb1EEEN6thrust23THRUST_200600_302600_NS6detail15normal_iteratorINS8_10device_ptrIiEEEEjNS1_16block_id_wrapperIjLb1EEEEEvT_jjPNSG_10value_typeET0_PNSt15iterator_traitsISJ_E10value_typeEmT1_T2_
	.globl	_ZN7rocprim17ROCPRIM_400000_NS6detail30init_device_scan_by_key_kernelINS1_19lookback_scan_stateINS0_5tupleIJibEEELb0ELb1EEEN6thrust23THRUST_200600_302600_NS6detail15normal_iteratorINS8_10device_ptrIiEEEEjNS1_16block_id_wrapperIjLb1EEEEEvT_jjPNSG_10value_typeET0_PNSt15iterator_traitsISJ_E10value_typeEmT1_T2_
	.p2align	8
	.type	_ZN7rocprim17ROCPRIM_400000_NS6detail30init_device_scan_by_key_kernelINS1_19lookback_scan_stateINS0_5tupleIJibEEELb0ELb1EEEN6thrust23THRUST_200600_302600_NS6detail15normal_iteratorINS8_10device_ptrIiEEEEjNS1_16block_id_wrapperIjLb1EEEEEvT_jjPNSG_10value_typeET0_PNSt15iterator_traitsISJ_E10value_typeEmT1_T2_,@function
_ZN7rocprim17ROCPRIM_400000_NS6detail30init_device_scan_by_key_kernelINS1_19lookback_scan_stateINS0_5tupleIJibEEELb0ELb1EEEN6thrust23THRUST_200600_302600_NS6detail15normal_iteratorINS8_10device_ptrIiEEEEjNS1_16block_id_wrapperIjLb1EEEEEvT_jjPNSG_10value_typeET0_PNSt15iterator_traitsISJ_E10value_typeEmT1_T2_: ; @_ZN7rocprim17ROCPRIM_400000_NS6detail30init_device_scan_by_key_kernelINS1_19lookback_scan_stateINS0_5tupleIJibEEELb0ELb1EEEN6thrust23THRUST_200600_302600_NS6detail15normal_iteratorINS8_10device_ptrIiEEEEjNS1_16block_id_wrapperIjLb1EEEEEvT_jjPNSG_10value_typeET0_PNSt15iterator_traitsISJ_E10value_typeEmT1_T2_
; %bb.0:
	s_load_dword s0, s[4:5], 0x4c
	s_load_dwordx8 s[8:15], s[4:5], 0x0
	s_load_dword s18, s[4:5], 0x40
	s_waitcnt lgkmcnt(0)
	s_and_b32 s19, s0, 0xffff
	s_mul_i32 s6, s6, s19
	s_cmp_eq_u64 s[12:13], 0
	v_add_u32_e32 v4, s6, v0
	s_cbranch_scc1 .LBB34_8
; %bb.1:
	s_cmp_lt_u32 s11, s10
	s_cselect_b32 s0, s11, 0
	s_mov_b32 s3, 0
	v_cmp_eq_u32_e32 vcc, s0, v4
	s_and_saveexec_b64 s[0:1], vcc
	s_cbranch_execz .LBB34_7
; %bb.2:
	s_add_i32 s2, s11, 64
	s_lshl_b64 s[2:3], s[2:3], 4
	s_add_u32 s16, s8, s2
	s_addc_u32 s17, s9, s3
	v_pk_mov_b32 v[0:1], s[16:17], s[16:17] op_sel:[0,1]
	;;#ASMSTART
	global_load_dwordx4 v[0:3], v[0:1] off glc	
s_waitcnt vmcnt(0)
	;;#ASMEND
	v_mov_b32_e32 v7, 0
	v_and_b32_e32 v6, 0xff, v2
	s_mov_b64 s[6:7], 0
	v_cmp_eq_u64_e32 vcc, 0, v[6:7]
	s_and_saveexec_b64 s[2:3], vcc
	s_cbranch_execz .LBB34_6
; %bb.3:
	v_pk_mov_b32 v[8:9], s[16:17], s[16:17] op_sel:[0,1]
.LBB34_4:                               ; =>This Inner Loop Header: Depth=1
	;;#ASMSTART
	global_load_dwordx4 v[0:3], v[8:9] off glc	
s_waitcnt vmcnt(0)
	;;#ASMEND
	v_and_b32_e32 v6, 0xff, v2
	v_cmp_ne_u64_e32 vcc, 0, v[6:7]
	s_or_b64 s[6:7], vcc, s[6:7]
	s_andn2_b64 exec, exec, s[6:7]
	s_cbranch_execnz .LBB34_4
; %bb.5:
	s_or_b64 exec, exec, s[6:7]
.LBB34_6:
	s_or_b64 exec, exec, s[2:3]
	v_mov_b32_e32 v2, 0
	global_store_dword v2, v0, s[12:13]
	global_store_byte v2, v1, s[12:13] offset:4
.LBB34_7:
	s_or_b64 exec, exec, s[0:1]
.LBB34_8:
	v_cmp_eq_u32_e32 vcc, 0, v4
	s_and_saveexec_b64 s[0:1], vcc
	s_cbranch_execz .LBB34_10
; %bb.9:
	s_load_dwordx2 s[2:3], s[4:5], 0x38
	v_mov_b32_e32 v0, 0
	s_waitcnt lgkmcnt(0)
	global_store_dword v0, v0, s[2:3]
.LBB34_10:
	s_or_b64 exec, exec, s[0:1]
	v_cmp_gt_u32_e32 vcc, s10, v4
	s_and_saveexec_b64 s[0:1], vcc
	s_cbranch_execz .LBB34_12
; %bb.11:
	v_add_u32_e32 v0, 64, v4
	v_mov_b32_e32 v1, 0
	v_lshlrev_b64 v[2:3], 4, v[0:1]
	v_mov_b32_e32 v0, s9
	v_add_co_u32_e32 v6, vcc, s8, v2
	v_addc_co_u32_e32 v7, vcc, v0, v3, vcc
	v_mov_b32_e32 v0, v1
	v_mov_b32_e32 v2, v1
	;; [unrolled: 1-line block ×3, first 2 shown]
	global_store_dwordx4 v[6:7], v[0:3], off
.LBB34_12:
	s_or_b64 exec, exec, s[0:1]
	v_cmp_gt_u32_e32 vcc, 64, v4
	v_mov_b32_e32 v5, 0
	s_and_saveexec_b64 s[0:1], vcc
	s_cbranch_execz .LBB34_14
; %bb.13:
	v_lshlrev_b64 v[0:1], 4, v[4:5]
	v_mov_b32_e32 v2, s9
	v_add_co_u32_e32 v6, vcc, s8, v0
	v_addc_co_u32_e32 v7, vcc, v2, v1, vcc
	v_mov_b32_e32 v2, 0xff
	v_mov_b32_e32 v0, v5
	v_mov_b32_e32 v1, v5
	v_mov_b32_e32 v3, v5
	global_store_dwordx4 v[6:7], v[0:3], off
.LBB34_14:
	s_or_b64 exec, exec, s[0:1]
	s_load_dwordx2 s[0:1], s[4:5], 0x28
	s_waitcnt lgkmcnt(0)
	v_cmp_gt_u64_e32 vcc, s[0:1], v[4:5]
	s_and_saveexec_b64 s[2:3], vcc
	s_cbranch_execz .LBB34_17
; %bb.15:
	s_load_dword s10, s[4:5], 0x30
	s_load_dwordx2 s[6:7], s[4:5], 0x20
	s_mov_b32 s5, 0
	s_mov_b32 s3, s5
	s_mul_i32 s2, s18, s19
	s_waitcnt lgkmcnt(0)
	s_add_i32 s4, s10, -1
	s_lshl_b64 s[4:5], s[4:5], 2
	v_mad_u64_u32 v[0:1], s[8:9], s10, v4, 0
	s_add_u32 s4, s14, s4
	v_lshlrev_b64 v[0:1], 2, v[0:1]
	s_addc_u32 s5, s15, s5
	v_mov_b32_e32 v2, s5
	v_add_co_u32_e32 v0, vcc, s4, v0
	v_addc_co_u32_e32 v1, vcc, v2, v1, vcc
	s_mul_hi_u32 s5, s10, s2
	s_mul_i32 s4, s10, s2
	v_lshlrev_b64 v[2:3], 2, v[4:5]
	s_lshl_b64 s[4:5], s[4:5], 2
	v_mov_b32_e32 v6, s7
	v_add_co_u32_e32 v2, vcc, s6, v2
	s_lshl_b64 s[6:7], s[2:3], 2
	v_addc_co_u32_e32 v3, vcc, v6, v3, vcc
	s_mov_b64 s[8:9], 0
	v_mov_b32_e32 v6, s3
	v_mov_b32_e32 v7, s5
	;; [unrolled: 1-line block ×3, first 2 shown]
.LBB34_16:                              ; =>This Inner Loop Header: Depth=1
	global_load_dword v9, v[0:1], off
	v_add_co_u32_e32 v4, vcc, s2, v4
	v_addc_co_u32_e32 v5, vcc, v5, v6, vcc
	v_add_co_u32_e32 v0, vcc, s4, v0
	v_addc_co_u32_e32 v1, vcc, v1, v7, vcc
	v_cmp_le_u64_e32 vcc, s[0:1], v[4:5]
	s_or_b64 s[8:9], vcc, s[8:9]
	s_waitcnt vmcnt(0)
	global_store_dword v[2:3], v9, off
	v_add_co_u32_e32 v2, vcc, s6, v2
	v_addc_co_u32_e32 v3, vcc, v3, v8, vcc
	s_andn2_b64 exec, exec, s[8:9]
	s_cbranch_execnz .LBB34_16
.LBB34_17:
	s_endpgm
	.section	.rodata,"a",@progbits
	.p2align	6, 0x0
	.amdhsa_kernel _ZN7rocprim17ROCPRIM_400000_NS6detail30init_device_scan_by_key_kernelINS1_19lookback_scan_stateINS0_5tupleIJibEEELb0ELb1EEEN6thrust23THRUST_200600_302600_NS6detail15normal_iteratorINS8_10device_ptrIiEEEEjNS1_16block_id_wrapperIjLb1EEEEEvT_jjPNSG_10value_typeET0_PNSt15iterator_traitsISJ_E10value_typeEmT1_T2_
		.amdhsa_group_segment_fixed_size 0
		.amdhsa_private_segment_fixed_size 0
		.amdhsa_kernarg_size 320
		.amdhsa_user_sgpr_count 6
		.amdhsa_user_sgpr_private_segment_buffer 1
		.amdhsa_user_sgpr_dispatch_ptr 0
		.amdhsa_user_sgpr_queue_ptr 0
		.amdhsa_user_sgpr_kernarg_segment_ptr 1
		.amdhsa_user_sgpr_dispatch_id 0
		.amdhsa_user_sgpr_flat_scratch_init 0
		.amdhsa_user_sgpr_kernarg_preload_length 0
		.amdhsa_user_sgpr_kernarg_preload_offset 0
		.amdhsa_user_sgpr_private_segment_size 0
		.amdhsa_uses_dynamic_stack 0
		.amdhsa_system_sgpr_private_segment_wavefront_offset 0
		.amdhsa_system_sgpr_workgroup_id_x 1
		.amdhsa_system_sgpr_workgroup_id_y 0
		.amdhsa_system_sgpr_workgroup_id_z 0
		.amdhsa_system_sgpr_workgroup_info 0
		.amdhsa_system_vgpr_workitem_id 0
		.amdhsa_next_free_vgpr 10
		.amdhsa_next_free_sgpr 20
		.amdhsa_accum_offset 12
		.amdhsa_reserve_vcc 1
		.amdhsa_reserve_flat_scratch 0
		.amdhsa_float_round_mode_32 0
		.amdhsa_float_round_mode_16_64 0
		.amdhsa_float_denorm_mode_32 3
		.amdhsa_float_denorm_mode_16_64 3
		.amdhsa_dx10_clamp 1
		.amdhsa_ieee_mode 1
		.amdhsa_fp16_overflow 0
		.amdhsa_tg_split 0
		.amdhsa_exception_fp_ieee_invalid_op 0
		.amdhsa_exception_fp_denorm_src 0
		.amdhsa_exception_fp_ieee_div_zero 0
		.amdhsa_exception_fp_ieee_overflow 0
		.amdhsa_exception_fp_ieee_underflow 0
		.amdhsa_exception_fp_ieee_inexact 0
		.amdhsa_exception_int_div_zero 0
	.end_amdhsa_kernel
	.section	.text._ZN7rocprim17ROCPRIM_400000_NS6detail30init_device_scan_by_key_kernelINS1_19lookback_scan_stateINS0_5tupleIJibEEELb0ELb1EEEN6thrust23THRUST_200600_302600_NS6detail15normal_iteratorINS8_10device_ptrIiEEEEjNS1_16block_id_wrapperIjLb1EEEEEvT_jjPNSG_10value_typeET0_PNSt15iterator_traitsISJ_E10value_typeEmT1_T2_,"axG",@progbits,_ZN7rocprim17ROCPRIM_400000_NS6detail30init_device_scan_by_key_kernelINS1_19lookback_scan_stateINS0_5tupleIJibEEELb0ELb1EEEN6thrust23THRUST_200600_302600_NS6detail15normal_iteratorINS8_10device_ptrIiEEEEjNS1_16block_id_wrapperIjLb1EEEEEvT_jjPNSG_10value_typeET0_PNSt15iterator_traitsISJ_E10value_typeEmT1_T2_,comdat
.Lfunc_end34:
	.size	_ZN7rocprim17ROCPRIM_400000_NS6detail30init_device_scan_by_key_kernelINS1_19lookback_scan_stateINS0_5tupleIJibEEELb0ELb1EEEN6thrust23THRUST_200600_302600_NS6detail15normal_iteratorINS8_10device_ptrIiEEEEjNS1_16block_id_wrapperIjLb1EEEEEvT_jjPNSG_10value_typeET0_PNSt15iterator_traitsISJ_E10value_typeEmT1_T2_, .Lfunc_end34-_ZN7rocprim17ROCPRIM_400000_NS6detail30init_device_scan_by_key_kernelINS1_19lookback_scan_stateINS0_5tupleIJibEEELb0ELb1EEEN6thrust23THRUST_200600_302600_NS6detail15normal_iteratorINS8_10device_ptrIiEEEEjNS1_16block_id_wrapperIjLb1EEEEEvT_jjPNSG_10value_typeET0_PNSt15iterator_traitsISJ_E10value_typeEmT1_T2_
                                        ; -- End function
	.section	.AMDGPU.csdata,"",@progbits
; Kernel info:
; codeLenInByte = 612
; NumSgprs: 24
; NumVgprs: 10
; NumAgprs: 0
; TotalNumVgprs: 10
; ScratchSize: 0
; MemoryBound: 0
; FloatMode: 240
; IeeeMode: 1
; LDSByteSize: 0 bytes/workgroup (compile time only)
; SGPRBlocks: 2
; VGPRBlocks: 1
; NumSGPRsForWavesPerEU: 24
; NumVGPRsForWavesPerEU: 10
; AccumOffset: 12
; Occupancy: 8
; WaveLimiterHint : 0
; COMPUTE_PGM_RSRC2:SCRATCH_EN: 0
; COMPUTE_PGM_RSRC2:USER_SGPR: 6
; COMPUTE_PGM_RSRC2:TRAP_HANDLER: 0
; COMPUTE_PGM_RSRC2:TGID_X_EN: 1
; COMPUTE_PGM_RSRC2:TGID_Y_EN: 0
; COMPUTE_PGM_RSRC2:TGID_Z_EN: 0
; COMPUTE_PGM_RSRC2:TIDIG_COMP_CNT: 0
; COMPUTE_PGM_RSRC3_GFX90A:ACCUM_OFFSET: 2
; COMPUTE_PGM_RSRC3_GFX90A:TG_SPLIT: 0
	.section	.text._ZN7rocprim17ROCPRIM_400000_NS6detail30init_device_scan_by_key_kernelINS1_19lookback_scan_stateINS0_5tupleIJibEEELb0ELb1EEENS1_16block_id_wrapperIjLb1EEEEEvT_jjPNS9_10value_typeET0_,"axG",@progbits,_ZN7rocprim17ROCPRIM_400000_NS6detail30init_device_scan_by_key_kernelINS1_19lookback_scan_stateINS0_5tupleIJibEEELb0ELb1EEENS1_16block_id_wrapperIjLb1EEEEEvT_jjPNS9_10value_typeET0_,comdat
	.protected	_ZN7rocprim17ROCPRIM_400000_NS6detail30init_device_scan_by_key_kernelINS1_19lookback_scan_stateINS0_5tupleIJibEEELb0ELb1EEENS1_16block_id_wrapperIjLb1EEEEEvT_jjPNS9_10value_typeET0_ ; -- Begin function _ZN7rocprim17ROCPRIM_400000_NS6detail30init_device_scan_by_key_kernelINS1_19lookback_scan_stateINS0_5tupleIJibEEELb0ELb1EEENS1_16block_id_wrapperIjLb1EEEEEvT_jjPNS9_10value_typeET0_
	.globl	_ZN7rocprim17ROCPRIM_400000_NS6detail30init_device_scan_by_key_kernelINS1_19lookback_scan_stateINS0_5tupleIJibEEELb0ELb1EEENS1_16block_id_wrapperIjLb1EEEEEvT_jjPNS9_10value_typeET0_
	.p2align	8
	.type	_ZN7rocprim17ROCPRIM_400000_NS6detail30init_device_scan_by_key_kernelINS1_19lookback_scan_stateINS0_5tupleIJibEEELb0ELb1EEENS1_16block_id_wrapperIjLb1EEEEEvT_jjPNS9_10value_typeET0_,@function
_ZN7rocprim17ROCPRIM_400000_NS6detail30init_device_scan_by_key_kernelINS1_19lookback_scan_stateINS0_5tupleIJibEEELb0ELb1EEENS1_16block_id_wrapperIjLb1EEEEEvT_jjPNS9_10value_typeET0_: ; @_ZN7rocprim17ROCPRIM_400000_NS6detail30init_device_scan_by_key_kernelINS1_19lookback_scan_stateINS0_5tupleIJibEEELb0ELb1EEENS1_16block_id_wrapperIjLb1EEEEEvT_jjPNS9_10value_typeET0_
; %bb.0:
	s_load_dword s0, s[4:5], 0x2c
	s_load_dwordx8 s[8:15], s[4:5], 0x0
	s_waitcnt lgkmcnt(0)
	s_and_b32 s0, s0, 0xffff
	s_mul_i32 s6, s6, s0
	s_cmp_eq_u64 s[12:13], 0
	v_add_u32_e32 v0, s6, v0
	s_cbranch_scc1 .LBB35_8
; %bb.1:
	s_cmp_lt_u32 s11, s10
	s_cselect_b32 s0, s11, 0
	s_mov_b32 s3, 0
	v_cmp_eq_u32_e32 vcc, s0, v0
	s_and_saveexec_b64 s[0:1], vcc
	s_cbranch_execz .LBB35_7
; %bb.2:
	s_add_i32 s2, s11, 64
	s_lshl_b64 s[2:3], s[2:3], 4
	s_add_u32 s6, s8, s2
	s_addc_u32 s7, s9, s3
	v_pk_mov_b32 v[2:3], s[6:7], s[6:7] op_sel:[0,1]
	;;#ASMSTART
	global_load_dwordx4 v[2:5], v[2:3] off glc	
s_waitcnt vmcnt(0)
	;;#ASMEND
	v_mov_b32_e32 v7, 0
	v_and_b32_e32 v6, 0xff, v4
	s_mov_b64 s[4:5], 0
	v_cmp_eq_u64_e32 vcc, 0, v[6:7]
	s_and_saveexec_b64 s[2:3], vcc
	s_cbranch_execz .LBB35_6
; %bb.3:
	v_pk_mov_b32 v[8:9], s[6:7], s[6:7] op_sel:[0,1]
.LBB35_4:                               ; =>This Inner Loop Header: Depth=1
	;;#ASMSTART
	global_load_dwordx4 v[2:5], v[8:9] off glc	
s_waitcnt vmcnt(0)
	;;#ASMEND
	v_and_b32_e32 v6, 0xff, v4
	v_cmp_ne_u64_e32 vcc, 0, v[6:7]
	s_or_b64 s[4:5], vcc, s[4:5]
	s_andn2_b64 exec, exec, s[4:5]
	s_cbranch_execnz .LBB35_4
; %bb.5:
	s_or_b64 exec, exec, s[4:5]
.LBB35_6:
	s_or_b64 exec, exec, s[2:3]
	v_mov_b32_e32 v1, 0
	global_store_dword v1, v2, s[12:13]
	global_store_byte v1, v3, s[12:13] offset:4
.LBB35_7:
	s_or_b64 exec, exec, s[0:1]
.LBB35_8:
	v_cmp_eq_u32_e32 vcc, 0, v0
	s_and_saveexec_b64 s[0:1], vcc
	s_cbranch_execnz .LBB35_12
; %bb.9:
	s_or_b64 exec, exec, s[0:1]
	v_cmp_gt_u32_e32 vcc, s10, v0
	s_and_saveexec_b64 s[0:1], vcc
	s_cbranch_execnz .LBB35_13
.LBB35_10:
	s_or_b64 exec, exec, s[0:1]
	v_cmp_gt_u32_e32 vcc, 64, v0
	s_and_saveexec_b64 s[0:1], vcc
	s_cbranch_execnz .LBB35_14
.LBB35_11:
	s_endpgm
.LBB35_12:
	v_mov_b32_e32 v1, 0
	global_store_dword v1, v1, s[14:15]
	s_or_b64 exec, exec, s[0:1]
	v_cmp_gt_u32_e32 vcc, s10, v0
	s_and_saveexec_b64 s[0:1], vcc
	s_cbranch_execz .LBB35_10
.LBB35_13:
	v_add_u32_e32 v2, 64, v0
	v_mov_b32_e32 v3, 0
	v_lshlrev_b64 v[4:5], 4, v[2:3]
	v_mov_b32_e32 v1, s9
	v_add_co_u32_e32 v6, vcc, s8, v4
	v_addc_co_u32_e32 v7, vcc, v1, v5, vcc
	v_mov_b32_e32 v2, v3
	v_mov_b32_e32 v4, v3
	v_mov_b32_e32 v5, v3
	global_store_dwordx4 v[6:7], v[2:5], off
	s_or_b64 exec, exec, s[0:1]
	v_cmp_gt_u32_e32 vcc, 64, v0
	s_and_saveexec_b64 s[0:1], vcc
	s_cbranch_execz .LBB35_11
.LBB35_14:
	v_mov_b32_e32 v1, 0
	v_lshlrev_b64 v[2:3], 4, v[0:1]
	v_mov_b32_e32 v0, s9
	v_add_co_u32_e32 v4, vcc, s8, v2
	v_addc_co_u32_e32 v5, vcc, v0, v3, vcc
	v_mov_b32_e32 v2, 0xff
	v_mov_b32_e32 v0, v1
	;; [unrolled: 1-line block ×3, first 2 shown]
	global_store_dwordx4 v[4:5], v[0:3], off
	s_endpgm
	.section	.rodata,"a",@progbits
	.p2align	6, 0x0
	.amdhsa_kernel _ZN7rocprim17ROCPRIM_400000_NS6detail30init_device_scan_by_key_kernelINS1_19lookback_scan_stateINS0_5tupleIJibEEELb0ELb1EEENS1_16block_id_wrapperIjLb1EEEEEvT_jjPNS9_10value_typeET0_
		.amdhsa_group_segment_fixed_size 0
		.amdhsa_private_segment_fixed_size 0
		.amdhsa_kernarg_size 288
		.amdhsa_user_sgpr_count 6
		.amdhsa_user_sgpr_private_segment_buffer 1
		.amdhsa_user_sgpr_dispatch_ptr 0
		.amdhsa_user_sgpr_queue_ptr 0
		.amdhsa_user_sgpr_kernarg_segment_ptr 1
		.amdhsa_user_sgpr_dispatch_id 0
		.amdhsa_user_sgpr_flat_scratch_init 0
		.amdhsa_user_sgpr_kernarg_preload_length 0
		.amdhsa_user_sgpr_kernarg_preload_offset 0
		.amdhsa_user_sgpr_private_segment_size 0
		.amdhsa_uses_dynamic_stack 0
		.amdhsa_system_sgpr_private_segment_wavefront_offset 0
		.amdhsa_system_sgpr_workgroup_id_x 1
		.amdhsa_system_sgpr_workgroup_id_y 0
		.amdhsa_system_sgpr_workgroup_id_z 0
		.amdhsa_system_sgpr_workgroup_info 0
		.amdhsa_system_vgpr_workitem_id 0
		.amdhsa_next_free_vgpr 10
		.amdhsa_next_free_sgpr 16
		.amdhsa_accum_offset 12
		.amdhsa_reserve_vcc 1
		.amdhsa_reserve_flat_scratch 0
		.amdhsa_float_round_mode_32 0
		.amdhsa_float_round_mode_16_64 0
		.amdhsa_float_denorm_mode_32 3
		.amdhsa_float_denorm_mode_16_64 3
		.amdhsa_dx10_clamp 1
		.amdhsa_ieee_mode 1
		.amdhsa_fp16_overflow 0
		.amdhsa_tg_split 0
		.amdhsa_exception_fp_ieee_invalid_op 0
		.amdhsa_exception_fp_denorm_src 0
		.amdhsa_exception_fp_ieee_div_zero 0
		.amdhsa_exception_fp_ieee_overflow 0
		.amdhsa_exception_fp_ieee_underflow 0
		.amdhsa_exception_fp_ieee_inexact 0
		.amdhsa_exception_int_div_zero 0
	.end_amdhsa_kernel
	.section	.text._ZN7rocprim17ROCPRIM_400000_NS6detail30init_device_scan_by_key_kernelINS1_19lookback_scan_stateINS0_5tupleIJibEEELb0ELb1EEENS1_16block_id_wrapperIjLb1EEEEEvT_jjPNS9_10value_typeET0_,"axG",@progbits,_ZN7rocprim17ROCPRIM_400000_NS6detail30init_device_scan_by_key_kernelINS1_19lookback_scan_stateINS0_5tupleIJibEEELb0ELb1EEENS1_16block_id_wrapperIjLb1EEEEEvT_jjPNS9_10value_typeET0_,comdat
.Lfunc_end35:
	.size	_ZN7rocprim17ROCPRIM_400000_NS6detail30init_device_scan_by_key_kernelINS1_19lookback_scan_stateINS0_5tupleIJibEEELb0ELb1EEENS1_16block_id_wrapperIjLb1EEEEEvT_jjPNS9_10value_typeET0_, .Lfunc_end35-_ZN7rocprim17ROCPRIM_400000_NS6detail30init_device_scan_by_key_kernelINS1_19lookback_scan_stateINS0_5tupleIJibEEELb0ELb1EEENS1_16block_id_wrapperIjLb1EEEEEvT_jjPNS9_10value_typeET0_
                                        ; -- End function
	.section	.AMDGPU.csdata,"",@progbits
; Kernel info:
; codeLenInByte = 408
; NumSgprs: 20
; NumVgprs: 10
; NumAgprs: 0
; TotalNumVgprs: 10
; ScratchSize: 0
; MemoryBound: 0
; FloatMode: 240
; IeeeMode: 1
; LDSByteSize: 0 bytes/workgroup (compile time only)
; SGPRBlocks: 2
; VGPRBlocks: 1
; NumSGPRsForWavesPerEU: 20
; NumVGPRsForWavesPerEU: 10
; AccumOffset: 12
; Occupancy: 8
; WaveLimiterHint : 0
; COMPUTE_PGM_RSRC2:SCRATCH_EN: 0
; COMPUTE_PGM_RSRC2:USER_SGPR: 6
; COMPUTE_PGM_RSRC2:TRAP_HANDLER: 0
; COMPUTE_PGM_RSRC2:TGID_X_EN: 1
; COMPUTE_PGM_RSRC2:TGID_Y_EN: 0
; COMPUTE_PGM_RSRC2:TGID_Z_EN: 0
; COMPUTE_PGM_RSRC2:TIDIG_COMP_CNT: 0
; COMPUTE_PGM_RSRC3_GFX90A:ACCUM_OFFSET: 2
; COMPUTE_PGM_RSRC3_GFX90A:TG_SPLIT: 0
	.section	.text._ZN7rocprim17ROCPRIM_400000_NS6detail17trampoline_kernelINS0_14default_configENS1_27scan_by_key_config_selectorIiiEEZZNS1_16scan_by_key_implILNS1_25lookback_scan_determinismE0ELb0ES3_N6thrust23THRUST_200600_302600_NS6detail15normal_iteratorINS9_10device_ptrIiEEEESE_SE_iNS9_4plusIvEENS9_8equal_toIvEEiEE10hipError_tPvRmT2_T3_T4_T5_mT6_T7_P12ihipStream_tbENKUlT_T0_E_clISt17integral_constantIbLb0EESY_IbLb1EEEEDaSU_SV_EUlSU_E_NS1_11comp_targetILNS1_3genE0ELNS1_11target_archE4294967295ELNS1_3gpuE0ELNS1_3repE0EEENS1_30default_config_static_selectorELNS0_4arch9wavefront6targetE1EEEvT1_,"axG",@progbits,_ZN7rocprim17ROCPRIM_400000_NS6detail17trampoline_kernelINS0_14default_configENS1_27scan_by_key_config_selectorIiiEEZZNS1_16scan_by_key_implILNS1_25lookback_scan_determinismE0ELb0ES3_N6thrust23THRUST_200600_302600_NS6detail15normal_iteratorINS9_10device_ptrIiEEEESE_SE_iNS9_4plusIvEENS9_8equal_toIvEEiEE10hipError_tPvRmT2_T3_T4_T5_mT6_T7_P12ihipStream_tbENKUlT_T0_E_clISt17integral_constantIbLb0EESY_IbLb1EEEEDaSU_SV_EUlSU_E_NS1_11comp_targetILNS1_3genE0ELNS1_11target_archE4294967295ELNS1_3gpuE0ELNS1_3repE0EEENS1_30default_config_static_selectorELNS0_4arch9wavefront6targetE1EEEvT1_,comdat
	.protected	_ZN7rocprim17ROCPRIM_400000_NS6detail17trampoline_kernelINS0_14default_configENS1_27scan_by_key_config_selectorIiiEEZZNS1_16scan_by_key_implILNS1_25lookback_scan_determinismE0ELb0ES3_N6thrust23THRUST_200600_302600_NS6detail15normal_iteratorINS9_10device_ptrIiEEEESE_SE_iNS9_4plusIvEENS9_8equal_toIvEEiEE10hipError_tPvRmT2_T3_T4_T5_mT6_T7_P12ihipStream_tbENKUlT_T0_E_clISt17integral_constantIbLb0EESY_IbLb1EEEEDaSU_SV_EUlSU_E_NS1_11comp_targetILNS1_3genE0ELNS1_11target_archE4294967295ELNS1_3gpuE0ELNS1_3repE0EEENS1_30default_config_static_selectorELNS0_4arch9wavefront6targetE1EEEvT1_ ; -- Begin function _ZN7rocprim17ROCPRIM_400000_NS6detail17trampoline_kernelINS0_14default_configENS1_27scan_by_key_config_selectorIiiEEZZNS1_16scan_by_key_implILNS1_25lookback_scan_determinismE0ELb0ES3_N6thrust23THRUST_200600_302600_NS6detail15normal_iteratorINS9_10device_ptrIiEEEESE_SE_iNS9_4plusIvEENS9_8equal_toIvEEiEE10hipError_tPvRmT2_T3_T4_T5_mT6_T7_P12ihipStream_tbENKUlT_T0_E_clISt17integral_constantIbLb0EESY_IbLb1EEEEDaSU_SV_EUlSU_E_NS1_11comp_targetILNS1_3genE0ELNS1_11target_archE4294967295ELNS1_3gpuE0ELNS1_3repE0EEENS1_30default_config_static_selectorELNS0_4arch9wavefront6targetE1EEEvT1_
	.globl	_ZN7rocprim17ROCPRIM_400000_NS6detail17trampoline_kernelINS0_14default_configENS1_27scan_by_key_config_selectorIiiEEZZNS1_16scan_by_key_implILNS1_25lookback_scan_determinismE0ELb0ES3_N6thrust23THRUST_200600_302600_NS6detail15normal_iteratorINS9_10device_ptrIiEEEESE_SE_iNS9_4plusIvEENS9_8equal_toIvEEiEE10hipError_tPvRmT2_T3_T4_T5_mT6_T7_P12ihipStream_tbENKUlT_T0_E_clISt17integral_constantIbLb0EESY_IbLb1EEEEDaSU_SV_EUlSU_E_NS1_11comp_targetILNS1_3genE0ELNS1_11target_archE4294967295ELNS1_3gpuE0ELNS1_3repE0EEENS1_30default_config_static_selectorELNS0_4arch9wavefront6targetE1EEEvT1_
	.p2align	8
	.type	_ZN7rocprim17ROCPRIM_400000_NS6detail17trampoline_kernelINS0_14default_configENS1_27scan_by_key_config_selectorIiiEEZZNS1_16scan_by_key_implILNS1_25lookback_scan_determinismE0ELb0ES3_N6thrust23THRUST_200600_302600_NS6detail15normal_iteratorINS9_10device_ptrIiEEEESE_SE_iNS9_4plusIvEENS9_8equal_toIvEEiEE10hipError_tPvRmT2_T3_T4_T5_mT6_T7_P12ihipStream_tbENKUlT_T0_E_clISt17integral_constantIbLb0EESY_IbLb1EEEEDaSU_SV_EUlSU_E_NS1_11comp_targetILNS1_3genE0ELNS1_11target_archE4294967295ELNS1_3gpuE0ELNS1_3repE0EEENS1_30default_config_static_selectorELNS0_4arch9wavefront6targetE1EEEvT1_,@function
_ZN7rocprim17ROCPRIM_400000_NS6detail17trampoline_kernelINS0_14default_configENS1_27scan_by_key_config_selectorIiiEEZZNS1_16scan_by_key_implILNS1_25lookback_scan_determinismE0ELb0ES3_N6thrust23THRUST_200600_302600_NS6detail15normal_iteratorINS9_10device_ptrIiEEEESE_SE_iNS9_4plusIvEENS9_8equal_toIvEEiEE10hipError_tPvRmT2_T3_T4_T5_mT6_T7_P12ihipStream_tbENKUlT_T0_E_clISt17integral_constantIbLb0EESY_IbLb1EEEEDaSU_SV_EUlSU_E_NS1_11comp_targetILNS1_3genE0ELNS1_11target_archE4294967295ELNS1_3gpuE0ELNS1_3repE0EEENS1_30default_config_static_selectorELNS0_4arch9wavefront6targetE1EEEvT1_: ; @_ZN7rocprim17ROCPRIM_400000_NS6detail17trampoline_kernelINS0_14default_configENS1_27scan_by_key_config_selectorIiiEEZZNS1_16scan_by_key_implILNS1_25lookback_scan_determinismE0ELb0ES3_N6thrust23THRUST_200600_302600_NS6detail15normal_iteratorINS9_10device_ptrIiEEEESE_SE_iNS9_4plusIvEENS9_8equal_toIvEEiEE10hipError_tPvRmT2_T3_T4_T5_mT6_T7_P12ihipStream_tbENKUlT_T0_E_clISt17integral_constantIbLb0EESY_IbLb1EEEEDaSU_SV_EUlSU_E_NS1_11comp_targetILNS1_3genE0ELNS1_11target_archE4294967295ELNS1_3gpuE0ELNS1_3repE0EEENS1_30default_config_static_selectorELNS0_4arch9wavefront6targetE1EEEvT1_
; %bb.0:
	.section	.rodata,"a",@progbits
	.p2align	6, 0x0
	.amdhsa_kernel _ZN7rocprim17ROCPRIM_400000_NS6detail17trampoline_kernelINS0_14default_configENS1_27scan_by_key_config_selectorIiiEEZZNS1_16scan_by_key_implILNS1_25lookback_scan_determinismE0ELb0ES3_N6thrust23THRUST_200600_302600_NS6detail15normal_iteratorINS9_10device_ptrIiEEEESE_SE_iNS9_4plusIvEENS9_8equal_toIvEEiEE10hipError_tPvRmT2_T3_T4_T5_mT6_T7_P12ihipStream_tbENKUlT_T0_E_clISt17integral_constantIbLb0EESY_IbLb1EEEEDaSU_SV_EUlSU_E_NS1_11comp_targetILNS1_3genE0ELNS1_11target_archE4294967295ELNS1_3gpuE0ELNS1_3repE0EEENS1_30default_config_static_selectorELNS0_4arch9wavefront6targetE1EEEvT1_
		.amdhsa_group_segment_fixed_size 0
		.amdhsa_private_segment_fixed_size 0
		.amdhsa_kernarg_size 112
		.amdhsa_user_sgpr_count 6
		.amdhsa_user_sgpr_private_segment_buffer 1
		.amdhsa_user_sgpr_dispatch_ptr 0
		.amdhsa_user_sgpr_queue_ptr 0
		.amdhsa_user_sgpr_kernarg_segment_ptr 1
		.amdhsa_user_sgpr_dispatch_id 0
		.amdhsa_user_sgpr_flat_scratch_init 0
		.amdhsa_user_sgpr_kernarg_preload_length 0
		.amdhsa_user_sgpr_kernarg_preload_offset 0
		.amdhsa_user_sgpr_private_segment_size 0
		.amdhsa_uses_dynamic_stack 0
		.amdhsa_system_sgpr_private_segment_wavefront_offset 0
		.amdhsa_system_sgpr_workgroup_id_x 1
		.amdhsa_system_sgpr_workgroup_id_y 0
		.amdhsa_system_sgpr_workgroup_id_z 0
		.amdhsa_system_sgpr_workgroup_info 0
		.amdhsa_system_vgpr_workitem_id 0
		.amdhsa_next_free_vgpr 1
		.amdhsa_next_free_sgpr 0
		.amdhsa_accum_offset 4
		.amdhsa_reserve_vcc 0
		.amdhsa_reserve_flat_scratch 0
		.amdhsa_float_round_mode_32 0
		.amdhsa_float_round_mode_16_64 0
		.amdhsa_float_denorm_mode_32 3
		.amdhsa_float_denorm_mode_16_64 3
		.amdhsa_dx10_clamp 1
		.amdhsa_ieee_mode 1
		.amdhsa_fp16_overflow 0
		.amdhsa_tg_split 0
		.amdhsa_exception_fp_ieee_invalid_op 0
		.amdhsa_exception_fp_denorm_src 0
		.amdhsa_exception_fp_ieee_div_zero 0
		.amdhsa_exception_fp_ieee_overflow 0
		.amdhsa_exception_fp_ieee_underflow 0
		.amdhsa_exception_fp_ieee_inexact 0
		.amdhsa_exception_int_div_zero 0
	.end_amdhsa_kernel
	.section	.text._ZN7rocprim17ROCPRIM_400000_NS6detail17trampoline_kernelINS0_14default_configENS1_27scan_by_key_config_selectorIiiEEZZNS1_16scan_by_key_implILNS1_25lookback_scan_determinismE0ELb0ES3_N6thrust23THRUST_200600_302600_NS6detail15normal_iteratorINS9_10device_ptrIiEEEESE_SE_iNS9_4plusIvEENS9_8equal_toIvEEiEE10hipError_tPvRmT2_T3_T4_T5_mT6_T7_P12ihipStream_tbENKUlT_T0_E_clISt17integral_constantIbLb0EESY_IbLb1EEEEDaSU_SV_EUlSU_E_NS1_11comp_targetILNS1_3genE0ELNS1_11target_archE4294967295ELNS1_3gpuE0ELNS1_3repE0EEENS1_30default_config_static_selectorELNS0_4arch9wavefront6targetE1EEEvT1_,"axG",@progbits,_ZN7rocprim17ROCPRIM_400000_NS6detail17trampoline_kernelINS0_14default_configENS1_27scan_by_key_config_selectorIiiEEZZNS1_16scan_by_key_implILNS1_25lookback_scan_determinismE0ELb0ES3_N6thrust23THRUST_200600_302600_NS6detail15normal_iteratorINS9_10device_ptrIiEEEESE_SE_iNS9_4plusIvEENS9_8equal_toIvEEiEE10hipError_tPvRmT2_T3_T4_T5_mT6_T7_P12ihipStream_tbENKUlT_T0_E_clISt17integral_constantIbLb0EESY_IbLb1EEEEDaSU_SV_EUlSU_E_NS1_11comp_targetILNS1_3genE0ELNS1_11target_archE4294967295ELNS1_3gpuE0ELNS1_3repE0EEENS1_30default_config_static_selectorELNS0_4arch9wavefront6targetE1EEEvT1_,comdat
.Lfunc_end36:
	.size	_ZN7rocprim17ROCPRIM_400000_NS6detail17trampoline_kernelINS0_14default_configENS1_27scan_by_key_config_selectorIiiEEZZNS1_16scan_by_key_implILNS1_25lookback_scan_determinismE0ELb0ES3_N6thrust23THRUST_200600_302600_NS6detail15normal_iteratorINS9_10device_ptrIiEEEESE_SE_iNS9_4plusIvEENS9_8equal_toIvEEiEE10hipError_tPvRmT2_T3_T4_T5_mT6_T7_P12ihipStream_tbENKUlT_T0_E_clISt17integral_constantIbLb0EESY_IbLb1EEEEDaSU_SV_EUlSU_E_NS1_11comp_targetILNS1_3genE0ELNS1_11target_archE4294967295ELNS1_3gpuE0ELNS1_3repE0EEENS1_30default_config_static_selectorELNS0_4arch9wavefront6targetE1EEEvT1_, .Lfunc_end36-_ZN7rocprim17ROCPRIM_400000_NS6detail17trampoline_kernelINS0_14default_configENS1_27scan_by_key_config_selectorIiiEEZZNS1_16scan_by_key_implILNS1_25lookback_scan_determinismE0ELb0ES3_N6thrust23THRUST_200600_302600_NS6detail15normal_iteratorINS9_10device_ptrIiEEEESE_SE_iNS9_4plusIvEENS9_8equal_toIvEEiEE10hipError_tPvRmT2_T3_T4_T5_mT6_T7_P12ihipStream_tbENKUlT_T0_E_clISt17integral_constantIbLb0EESY_IbLb1EEEEDaSU_SV_EUlSU_E_NS1_11comp_targetILNS1_3genE0ELNS1_11target_archE4294967295ELNS1_3gpuE0ELNS1_3repE0EEENS1_30default_config_static_selectorELNS0_4arch9wavefront6targetE1EEEvT1_
                                        ; -- End function
	.section	.AMDGPU.csdata,"",@progbits
; Kernel info:
; codeLenInByte = 0
; NumSgprs: 4
; NumVgprs: 0
; NumAgprs: 0
; TotalNumVgprs: 0
; ScratchSize: 0
; MemoryBound: 0
; FloatMode: 240
; IeeeMode: 1
; LDSByteSize: 0 bytes/workgroup (compile time only)
; SGPRBlocks: 0
; VGPRBlocks: 0
; NumSGPRsForWavesPerEU: 4
; NumVGPRsForWavesPerEU: 1
; AccumOffset: 4
; Occupancy: 8
; WaveLimiterHint : 0
; COMPUTE_PGM_RSRC2:SCRATCH_EN: 0
; COMPUTE_PGM_RSRC2:USER_SGPR: 6
; COMPUTE_PGM_RSRC2:TRAP_HANDLER: 0
; COMPUTE_PGM_RSRC2:TGID_X_EN: 1
; COMPUTE_PGM_RSRC2:TGID_Y_EN: 0
; COMPUTE_PGM_RSRC2:TGID_Z_EN: 0
; COMPUTE_PGM_RSRC2:TIDIG_COMP_CNT: 0
; COMPUTE_PGM_RSRC3_GFX90A:ACCUM_OFFSET: 0
; COMPUTE_PGM_RSRC3_GFX90A:TG_SPLIT: 0
	.section	.text._ZN7rocprim17ROCPRIM_400000_NS6detail17trampoline_kernelINS0_14default_configENS1_27scan_by_key_config_selectorIiiEEZZNS1_16scan_by_key_implILNS1_25lookback_scan_determinismE0ELb0ES3_N6thrust23THRUST_200600_302600_NS6detail15normal_iteratorINS9_10device_ptrIiEEEESE_SE_iNS9_4plusIvEENS9_8equal_toIvEEiEE10hipError_tPvRmT2_T3_T4_T5_mT6_T7_P12ihipStream_tbENKUlT_T0_E_clISt17integral_constantIbLb0EESY_IbLb1EEEEDaSU_SV_EUlSU_E_NS1_11comp_targetILNS1_3genE10ELNS1_11target_archE1201ELNS1_3gpuE5ELNS1_3repE0EEENS1_30default_config_static_selectorELNS0_4arch9wavefront6targetE1EEEvT1_,"axG",@progbits,_ZN7rocprim17ROCPRIM_400000_NS6detail17trampoline_kernelINS0_14default_configENS1_27scan_by_key_config_selectorIiiEEZZNS1_16scan_by_key_implILNS1_25lookback_scan_determinismE0ELb0ES3_N6thrust23THRUST_200600_302600_NS6detail15normal_iteratorINS9_10device_ptrIiEEEESE_SE_iNS9_4plusIvEENS9_8equal_toIvEEiEE10hipError_tPvRmT2_T3_T4_T5_mT6_T7_P12ihipStream_tbENKUlT_T0_E_clISt17integral_constantIbLb0EESY_IbLb1EEEEDaSU_SV_EUlSU_E_NS1_11comp_targetILNS1_3genE10ELNS1_11target_archE1201ELNS1_3gpuE5ELNS1_3repE0EEENS1_30default_config_static_selectorELNS0_4arch9wavefront6targetE1EEEvT1_,comdat
	.protected	_ZN7rocprim17ROCPRIM_400000_NS6detail17trampoline_kernelINS0_14default_configENS1_27scan_by_key_config_selectorIiiEEZZNS1_16scan_by_key_implILNS1_25lookback_scan_determinismE0ELb0ES3_N6thrust23THRUST_200600_302600_NS6detail15normal_iteratorINS9_10device_ptrIiEEEESE_SE_iNS9_4plusIvEENS9_8equal_toIvEEiEE10hipError_tPvRmT2_T3_T4_T5_mT6_T7_P12ihipStream_tbENKUlT_T0_E_clISt17integral_constantIbLb0EESY_IbLb1EEEEDaSU_SV_EUlSU_E_NS1_11comp_targetILNS1_3genE10ELNS1_11target_archE1201ELNS1_3gpuE5ELNS1_3repE0EEENS1_30default_config_static_selectorELNS0_4arch9wavefront6targetE1EEEvT1_ ; -- Begin function _ZN7rocprim17ROCPRIM_400000_NS6detail17trampoline_kernelINS0_14default_configENS1_27scan_by_key_config_selectorIiiEEZZNS1_16scan_by_key_implILNS1_25lookback_scan_determinismE0ELb0ES3_N6thrust23THRUST_200600_302600_NS6detail15normal_iteratorINS9_10device_ptrIiEEEESE_SE_iNS9_4plusIvEENS9_8equal_toIvEEiEE10hipError_tPvRmT2_T3_T4_T5_mT6_T7_P12ihipStream_tbENKUlT_T0_E_clISt17integral_constantIbLb0EESY_IbLb1EEEEDaSU_SV_EUlSU_E_NS1_11comp_targetILNS1_3genE10ELNS1_11target_archE1201ELNS1_3gpuE5ELNS1_3repE0EEENS1_30default_config_static_selectorELNS0_4arch9wavefront6targetE1EEEvT1_
	.globl	_ZN7rocprim17ROCPRIM_400000_NS6detail17trampoline_kernelINS0_14default_configENS1_27scan_by_key_config_selectorIiiEEZZNS1_16scan_by_key_implILNS1_25lookback_scan_determinismE0ELb0ES3_N6thrust23THRUST_200600_302600_NS6detail15normal_iteratorINS9_10device_ptrIiEEEESE_SE_iNS9_4plusIvEENS9_8equal_toIvEEiEE10hipError_tPvRmT2_T3_T4_T5_mT6_T7_P12ihipStream_tbENKUlT_T0_E_clISt17integral_constantIbLb0EESY_IbLb1EEEEDaSU_SV_EUlSU_E_NS1_11comp_targetILNS1_3genE10ELNS1_11target_archE1201ELNS1_3gpuE5ELNS1_3repE0EEENS1_30default_config_static_selectorELNS0_4arch9wavefront6targetE1EEEvT1_
	.p2align	8
	.type	_ZN7rocprim17ROCPRIM_400000_NS6detail17trampoline_kernelINS0_14default_configENS1_27scan_by_key_config_selectorIiiEEZZNS1_16scan_by_key_implILNS1_25lookback_scan_determinismE0ELb0ES3_N6thrust23THRUST_200600_302600_NS6detail15normal_iteratorINS9_10device_ptrIiEEEESE_SE_iNS9_4plusIvEENS9_8equal_toIvEEiEE10hipError_tPvRmT2_T3_T4_T5_mT6_T7_P12ihipStream_tbENKUlT_T0_E_clISt17integral_constantIbLb0EESY_IbLb1EEEEDaSU_SV_EUlSU_E_NS1_11comp_targetILNS1_3genE10ELNS1_11target_archE1201ELNS1_3gpuE5ELNS1_3repE0EEENS1_30default_config_static_selectorELNS0_4arch9wavefront6targetE1EEEvT1_,@function
_ZN7rocprim17ROCPRIM_400000_NS6detail17trampoline_kernelINS0_14default_configENS1_27scan_by_key_config_selectorIiiEEZZNS1_16scan_by_key_implILNS1_25lookback_scan_determinismE0ELb0ES3_N6thrust23THRUST_200600_302600_NS6detail15normal_iteratorINS9_10device_ptrIiEEEESE_SE_iNS9_4plusIvEENS9_8equal_toIvEEiEE10hipError_tPvRmT2_T3_T4_T5_mT6_T7_P12ihipStream_tbENKUlT_T0_E_clISt17integral_constantIbLb0EESY_IbLb1EEEEDaSU_SV_EUlSU_E_NS1_11comp_targetILNS1_3genE10ELNS1_11target_archE1201ELNS1_3gpuE5ELNS1_3repE0EEENS1_30default_config_static_selectorELNS0_4arch9wavefront6targetE1EEEvT1_: ; @_ZN7rocprim17ROCPRIM_400000_NS6detail17trampoline_kernelINS0_14default_configENS1_27scan_by_key_config_selectorIiiEEZZNS1_16scan_by_key_implILNS1_25lookback_scan_determinismE0ELb0ES3_N6thrust23THRUST_200600_302600_NS6detail15normal_iteratorINS9_10device_ptrIiEEEESE_SE_iNS9_4plusIvEENS9_8equal_toIvEEiEE10hipError_tPvRmT2_T3_T4_T5_mT6_T7_P12ihipStream_tbENKUlT_T0_E_clISt17integral_constantIbLb0EESY_IbLb1EEEEDaSU_SV_EUlSU_E_NS1_11comp_targetILNS1_3genE10ELNS1_11target_archE1201ELNS1_3gpuE5ELNS1_3repE0EEENS1_30default_config_static_selectorELNS0_4arch9wavefront6targetE1EEEvT1_
; %bb.0:
	.section	.rodata,"a",@progbits
	.p2align	6, 0x0
	.amdhsa_kernel _ZN7rocprim17ROCPRIM_400000_NS6detail17trampoline_kernelINS0_14default_configENS1_27scan_by_key_config_selectorIiiEEZZNS1_16scan_by_key_implILNS1_25lookback_scan_determinismE0ELb0ES3_N6thrust23THRUST_200600_302600_NS6detail15normal_iteratorINS9_10device_ptrIiEEEESE_SE_iNS9_4plusIvEENS9_8equal_toIvEEiEE10hipError_tPvRmT2_T3_T4_T5_mT6_T7_P12ihipStream_tbENKUlT_T0_E_clISt17integral_constantIbLb0EESY_IbLb1EEEEDaSU_SV_EUlSU_E_NS1_11comp_targetILNS1_3genE10ELNS1_11target_archE1201ELNS1_3gpuE5ELNS1_3repE0EEENS1_30default_config_static_selectorELNS0_4arch9wavefront6targetE1EEEvT1_
		.amdhsa_group_segment_fixed_size 0
		.amdhsa_private_segment_fixed_size 0
		.amdhsa_kernarg_size 112
		.amdhsa_user_sgpr_count 6
		.amdhsa_user_sgpr_private_segment_buffer 1
		.amdhsa_user_sgpr_dispatch_ptr 0
		.amdhsa_user_sgpr_queue_ptr 0
		.amdhsa_user_sgpr_kernarg_segment_ptr 1
		.amdhsa_user_sgpr_dispatch_id 0
		.amdhsa_user_sgpr_flat_scratch_init 0
		.amdhsa_user_sgpr_kernarg_preload_length 0
		.amdhsa_user_sgpr_kernarg_preload_offset 0
		.amdhsa_user_sgpr_private_segment_size 0
		.amdhsa_uses_dynamic_stack 0
		.amdhsa_system_sgpr_private_segment_wavefront_offset 0
		.amdhsa_system_sgpr_workgroup_id_x 1
		.amdhsa_system_sgpr_workgroup_id_y 0
		.amdhsa_system_sgpr_workgroup_id_z 0
		.amdhsa_system_sgpr_workgroup_info 0
		.amdhsa_system_vgpr_workitem_id 0
		.amdhsa_next_free_vgpr 1
		.amdhsa_next_free_sgpr 0
		.amdhsa_accum_offset 4
		.amdhsa_reserve_vcc 0
		.amdhsa_reserve_flat_scratch 0
		.amdhsa_float_round_mode_32 0
		.amdhsa_float_round_mode_16_64 0
		.amdhsa_float_denorm_mode_32 3
		.amdhsa_float_denorm_mode_16_64 3
		.amdhsa_dx10_clamp 1
		.amdhsa_ieee_mode 1
		.amdhsa_fp16_overflow 0
		.amdhsa_tg_split 0
		.amdhsa_exception_fp_ieee_invalid_op 0
		.amdhsa_exception_fp_denorm_src 0
		.amdhsa_exception_fp_ieee_div_zero 0
		.amdhsa_exception_fp_ieee_overflow 0
		.amdhsa_exception_fp_ieee_underflow 0
		.amdhsa_exception_fp_ieee_inexact 0
		.amdhsa_exception_int_div_zero 0
	.end_amdhsa_kernel
	.section	.text._ZN7rocprim17ROCPRIM_400000_NS6detail17trampoline_kernelINS0_14default_configENS1_27scan_by_key_config_selectorIiiEEZZNS1_16scan_by_key_implILNS1_25lookback_scan_determinismE0ELb0ES3_N6thrust23THRUST_200600_302600_NS6detail15normal_iteratorINS9_10device_ptrIiEEEESE_SE_iNS9_4plusIvEENS9_8equal_toIvEEiEE10hipError_tPvRmT2_T3_T4_T5_mT6_T7_P12ihipStream_tbENKUlT_T0_E_clISt17integral_constantIbLb0EESY_IbLb1EEEEDaSU_SV_EUlSU_E_NS1_11comp_targetILNS1_3genE10ELNS1_11target_archE1201ELNS1_3gpuE5ELNS1_3repE0EEENS1_30default_config_static_selectorELNS0_4arch9wavefront6targetE1EEEvT1_,"axG",@progbits,_ZN7rocprim17ROCPRIM_400000_NS6detail17trampoline_kernelINS0_14default_configENS1_27scan_by_key_config_selectorIiiEEZZNS1_16scan_by_key_implILNS1_25lookback_scan_determinismE0ELb0ES3_N6thrust23THRUST_200600_302600_NS6detail15normal_iteratorINS9_10device_ptrIiEEEESE_SE_iNS9_4plusIvEENS9_8equal_toIvEEiEE10hipError_tPvRmT2_T3_T4_T5_mT6_T7_P12ihipStream_tbENKUlT_T0_E_clISt17integral_constantIbLb0EESY_IbLb1EEEEDaSU_SV_EUlSU_E_NS1_11comp_targetILNS1_3genE10ELNS1_11target_archE1201ELNS1_3gpuE5ELNS1_3repE0EEENS1_30default_config_static_selectorELNS0_4arch9wavefront6targetE1EEEvT1_,comdat
.Lfunc_end37:
	.size	_ZN7rocprim17ROCPRIM_400000_NS6detail17trampoline_kernelINS0_14default_configENS1_27scan_by_key_config_selectorIiiEEZZNS1_16scan_by_key_implILNS1_25lookback_scan_determinismE0ELb0ES3_N6thrust23THRUST_200600_302600_NS6detail15normal_iteratorINS9_10device_ptrIiEEEESE_SE_iNS9_4plusIvEENS9_8equal_toIvEEiEE10hipError_tPvRmT2_T3_T4_T5_mT6_T7_P12ihipStream_tbENKUlT_T0_E_clISt17integral_constantIbLb0EESY_IbLb1EEEEDaSU_SV_EUlSU_E_NS1_11comp_targetILNS1_3genE10ELNS1_11target_archE1201ELNS1_3gpuE5ELNS1_3repE0EEENS1_30default_config_static_selectorELNS0_4arch9wavefront6targetE1EEEvT1_, .Lfunc_end37-_ZN7rocprim17ROCPRIM_400000_NS6detail17trampoline_kernelINS0_14default_configENS1_27scan_by_key_config_selectorIiiEEZZNS1_16scan_by_key_implILNS1_25lookback_scan_determinismE0ELb0ES3_N6thrust23THRUST_200600_302600_NS6detail15normal_iteratorINS9_10device_ptrIiEEEESE_SE_iNS9_4plusIvEENS9_8equal_toIvEEiEE10hipError_tPvRmT2_T3_T4_T5_mT6_T7_P12ihipStream_tbENKUlT_T0_E_clISt17integral_constantIbLb0EESY_IbLb1EEEEDaSU_SV_EUlSU_E_NS1_11comp_targetILNS1_3genE10ELNS1_11target_archE1201ELNS1_3gpuE5ELNS1_3repE0EEENS1_30default_config_static_selectorELNS0_4arch9wavefront6targetE1EEEvT1_
                                        ; -- End function
	.section	.AMDGPU.csdata,"",@progbits
; Kernel info:
; codeLenInByte = 0
; NumSgprs: 4
; NumVgprs: 0
; NumAgprs: 0
; TotalNumVgprs: 0
; ScratchSize: 0
; MemoryBound: 0
; FloatMode: 240
; IeeeMode: 1
; LDSByteSize: 0 bytes/workgroup (compile time only)
; SGPRBlocks: 0
; VGPRBlocks: 0
; NumSGPRsForWavesPerEU: 4
; NumVGPRsForWavesPerEU: 1
; AccumOffset: 4
; Occupancy: 8
; WaveLimiterHint : 0
; COMPUTE_PGM_RSRC2:SCRATCH_EN: 0
; COMPUTE_PGM_RSRC2:USER_SGPR: 6
; COMPUTE_PGM_RSRC2:TRAP_HANDLER: 0
; COMPUTE_PGM_RSRC2:TGID_X_EN: 1
; COMPUTE_PGM_RSRC2:TGID_Y_EN: 0
; COMPUTE_PGM_RSRC2:TGID_Z_EN: 0
; COMPUTE_PGM_RSRC2:TIDIG_COMP_CNT: 0
; COMPUTE_PGM_RSRC3_GFX90A:ACCUM_OFFSET: 0
; COMPUTE_PGM_RSRC3_GFX90A:TG_SPLIT: 0
	.section	.text._ZN7rocprim17ROCPRIM_400000_NS6detail17trampoline_kernelINS0_14default_configENS1_27scan_by_key_config_selectorIiiEEZZNS1_16scan_by_key_implILNS1_25lookback_scan_determinismE0ELb0ES3_N6thrust23THRUST_200600_302600_NS6detail15normal_iteratorINS9_10device_ptrIiEEEESE_SE_iNS9_4plusIvEENS9_8equal_toIvEEiEE10hipError_tPvRmT2_T3_T4_T5_mT6_T7_P12ihipStream_tbENKUlT_T0_E_clISt17integral_constantIbLb0EESY_IbLb1EEEEDaSU_SV_EUlSU_E_NS1_11comp_targetILNS1_3genE5ELNS1_11target_archE942ELNS1_3gpuE9ELNS1_3repE0EEENS1_30default_config_static_selectorELNS0_4arch9wavefront6targetE1EEEvT1_,"axG",@progbits,_ZN7rocprim17ROCPRIM_400000_NS6detail17trampoline_kernelINS0_14default_configENS1_27scan_by_key_config_selectorIiiEEZZNS1_16scan_by_key_implILNS1_25lookback_scan_determinismE0ELb0ES3_N6thrust23THRUST_200600_302600_NS6detail15normal_iteratorINS9_10device_ptrIiEEEESE_SE_iNS9_4plusIvEENS9_8equal_toIvEEiEE10hipError_tPvRmT2_T3_T4_T5_mT6_T7_P12ihipStream_tbENKUlT_T0_E_clISt17integral_constantIbLb0EESY_IbLb1EEEEDaSU_SV_EUlSU_E_NS1_11comp_targetILNS1_3genE5ELNS1_11target_archE942ELNS1_3gpuE9ELNS1_3repE0EEENS1_30default_config_static_selectorELNS0_4arch9wavefront6targetE1EEEvT1_,comdat
	.protected	_ZN7rocprim17ROCPRIM_400000_NS6detail17trampoline_kernelINS0_14default_configENS1_27scan_by_key_config_selectorIiiEEZZNS1_16scan_by_key_implILNS1_25lookback_scan_determinismE0ELb0ES3_N6thrust23THRUST_200600_302600_NS6detail15normal_iteratorINS9_10device_ptrIiEEEESE_SE_iNS9_4plusIvEENS9_8equal_toIvEEiEE10hipError_tPvRmT2_T3_T4_T5_mT6_T7_P12ihipStream_tbENKUlT_T0_E_clISt17integral_constantIbLb0EESY_IbLb1EEEEDaSU_SV_EUlSU_E_NS1_11comp_targetILNS1_3genE5ELNS1_11target_archE942ELNS1_3gpuE9ELNS1_3repE0EEENS1_30default_config_static_selectorELNS0_4arch9wavefront6targetE1EEEvT1_ ; -- Begin function _ZN7rocprim17ROCPRIM_400000_NS6detail17trampoline_kernelINS0_14default_configENS1_27scan_by_key_config_selectorIiiEEZZNS1_16scan_by_key_implILNS1_25lookback_scan_determinismE0ELb0ES3_N6thrust23THRUST_200600_302600_NS6detail15normal_iteratorINS9_10device_ptrIiEEEESE_SE_iNS9_4plusIvEENS9_8equal_toIvEEiEE10hipError_tPvRmT2_T3_T4_T5_mT6_T7_P12ihipStream_tbENKUlT_T0_E_clISt17integral_constantIbLb0EESY_IbLb1EEEEDaSU_SV_EUlSU_E_NS1_11comp_targetILNS1_3genE5ELNS1_11target_archE942ELNS1_3gpuE9ELNS1_3repE0EEENS1_30default_config_static_selectorELNS0_4arch9wavefront6targetE1EEEvT1_
	.globl	_ZN7rocprim17ROCPRIM_400000_NS6detail17trampoline_kernelINS0_14default_configENS1_27scan_by_key_config_selectorIiiEEZZNS1_16scan_by_key_implILNS1_25lookback_scan_determinismE0ELb0ES3_N6thrust23THRUST_200600_302600_NS6detail15normal_iteratorINS9_10device_ptrIiEEEESE_SE_iNS9_4plusIvEENS9_8equal_toIvEEiEE10hipError_tPvRmT2_T3_T4_T5_mT6_T7_P12ihipStream_tbENKUlT_T0_E_clISt17integral_constantIbLb0EESY_IbLb1EEEEDaSU_SV_EUlSU_E_NS1_11comp_targetILNS1_3genE5ELNS1_11target_archE942ELNS1_3gpuE9ELNS1_3repE0EEENS1_30default_config_static_selectorELNS0_4arch9wavefront6targetE1EEEvT1_
	.p2align	8
	.type	_ZN7rocprim17ROCPRIM_400000_NS6detail17trampoline_kernelINS0_14default_configENS1_27scan_by_key_config_selectorIiiEEZZNS1_16scan_by_key_implILNS1_25lookback_scan_determinismE0ELb0ES3_N6thrust23THRUST_200600_302600_NS6detail15normal_iteratorINS9_10device_ptrIiEEEESE_SE_iNS9_4plusIvEENS9_8equal_toIvEEiEE10hipError_tPvRmT2_T3_T4_T5_mT6_T7_P12ihipStream_tbENKUlT_T0_E_clISt17integral_constantIbLb0EESY_IbLb1EEEEDaSU_SV_EUlSU_E_NS1_11comp_targetILNS1_3genE5ELNS1_11target_archE942ELNS1_3gpuE9ELNS1_3repE0EEENS1_30default_config_static_selectorELNS0_4arch9wavefront6targetE1EEEvT1_,@function
_ZN7rocprim17ROCPRIM_400000_NS6detail17trampoline_kernelINS0_14default_configENS1_27scan_by_key_config_selectorIiiEEZZNS1_16scan_by_key_implILNS1_25lookback_scan_determinismE0ELb0ES3_N6thrust23THRUST_200600_302600_NS6detail15normal_iteratorINS9_10device_ptrIiEEEESE_SE_iNS9_4plusIvEENS9_8equal_toIvEEiEE10hipError_tPvRmT2_T3_T4_T5_mT6_T7_P12ihipStream_tbENKUlT_T0_E_clISt17integral_constantIbLb0EESY_IbLb1EEEEDaSU_SV_EUlSU_E_NS1_11comp_targetILNS1_3genE5ELNS1_11target_archE942ELNS1_3gpuE9ELNS1_3repE0EEENS1_30default_config_static_selectorELNS0_4arch9wavefront6targetE1EEEvT1_: ; @_ZN7rocprim17ROCPRIM_400000_NS6detail17trampoline_kernelINS0_14default_configENS1_27scan_by_key_config_selectorIiiEEZZNS1_16scan_by_key_implILNS1_25lookback_scan_determinismE0ELb0ES3_N6thrust23THRUST_200600_302600_NS6detail15normal_iteratorINS9_10device_ptrIiEEEESE_SE_iNS9_4plusIvEENS9_8equal_toIvEEiEE10hipError_tPvRmT2_T3_T4_T5_mT6_T7_P12ihipStream_tbENKUlT_T0_E_clISt17integral_constantIbLb0EESY_IbLb1EEEEDaSU_SV_EUlSU_E_NS1_11comp_targetILNS1_3genE5ELNS1_11target_archE942ELNS1_3gpuE9ELNS1_3repE0EEENS1_30default_config_static_selectorELNS0_4arch9wavefront6targetE1EEEvT1_
; %bb.0:
	.section	.rodata,"a",@progbits
	.p2align	6, 0x0
	.amdhsa_kernel _ZN7rocprim17ROCPRIM_400000_NS6detail17trampoline_kernelINS0_14default_configENS1_27scan_by_key_config_selectorIiiEEZZNS1_16scan_by_key_implILNS1_25lookback_scan_determinismE0ELb0ES3_N6thrust23THRUST_200600_302600_NS6detail15normal_iteratorINS9_10device_ptrIiEEEESE_SE_iNS9_4plusIvEENS9_8equal_toIvEEiEE10hipError_tPvRmT2_T3_T4_T5_mT6_T7_P12ihipStream_tbENKUlT_T0_E_clISt17integral_constantIbLb0EESY_IbLb1EEEEDaSU_SV_EUlSU_E_NS1_11comp_targetILNS1_3genE5ELNS1_11target_archE942ELNS1_3gpuE9ELNS1_3repE0EEENS1_30default_config_static_selectorELNS0_4arch9wavefront6targetE1EEEvT1_
		.amdhsa_group_segment_fixed_size 0
		.amdhsa_private_segment_fixed_size 0
		.amdhsa_kernarg_size 112
		.amdhsa_user_sgpr_count 6
		.amdhsa_user_sgpr_private_segment_buffer 1
		.amdhsa_user_sgpr_dispatch_ptr 0
		.amdhsa_user_sgpr_queue_ptr 0
		.amdhsa_user_sgpr_kernarg_segment_ptr 1
		.amdhsa_user_sgpr_dispatch_id 0
		.amdhsa_user_sgpr_flat_scratch_init 0
		.amdhsa_user_sgpr_kernarg_preload_length 0
		.amdhsa_user_sgpr_kernarg_preload_offset 0
		.amdhsa_user_sgpr_private_segment_size 0
		.amdhsa_uses_dynamic_stack 0
		.amdhsa_system_sgpr_private_segment_wavefront_offset 0
		.amdhsa_system_sgpr_workgroup_id_x 1
		.amdhsa_system_sgpr_workgroup_id_y 0
		.amdhsa_system_sgpr_workgroup_id_z 0
		.amdhsa_system_sgpr_workgroup_info 0
		.amdhsa_system_vgpr_workitem_id 0
		.amdhsa_next_free_vgpr 1
		.amdhsa_next_free_sgpr 0
		.amdhsa_accum_offset 4
		.amdhsa_reserve_vcc 0
		.amdhsa_reserve_flat_scratch 0
		.amdhsa_float_round_mode_32 0
		.amdhsa_float_round_mode_16_64 0
		.amdhsa_float_denorm_mode_32 3
		.amdhsa_float_denorm_mode_16_64 3
		.amdhsa_dx10_clamp 1
		.amdhsa_ieee_mode 1
		.amdhsa_fp16_overflow 0
		.amdhsa_tg_split 0
		.amdhsa_exception_fp_ieee_invalid_op 0
		.amdhsa_exception_fp_denorm_src 0
		.amdhsa_exception_fp_ieee_div_zero 0
		.amdhsa_exception_fp_ieee_overflow 0
		.amdhsa_exception_fp_ieee_underflow 0
		.amdhsa_exception_fp_ieee_inexact 0
		.amdhsa_exception_int_div_zero 0
	.end_amdhsa_kernel
	.section	.text._ZN7rocprim17ROCPRIM_400000_NS6detail17trampoline_kernelINS0_14default_configENS1_27scan_by_key_config_selectorIiiEEZZNS1_16scan_by_key_implILNS1_25lookback_scan_determinismE0ELb0ES3_N6thrust23THRUST_200600_302600_NS6detail15normal_iteratorINS9_10device_ptrIiEEEESE_SE_iNS9_4plusIvEENS9_8equal_toIvEEiEE10hipError_tPvRmT2_T3_T4_T5_mT6_T7_P12ihipStream_tbENKUlT_T0_E_clISt17integral_constantIbLb0EESY_IbLb1EEEEDaSU_SV_EUlSU_E_NS1_11comp_targetILNS1_3genE5ELNS1_11target_archE942ELNS1_3gpuE9ELNS1_3repE0EEENS1_30default_config_static_selectorELNS0_4arch9wavefront6targetE1EEEvT1_,"axG",@progbits,_ZN7rocprim17ROCPRIM_400000_NS6detail17trampoline_kernelINS0_14default_configENS1_27scan_by_key_config_selectorIiiEEZZNS1_16scan_by_key_implILNS1_25lookback_scan_determinismE0ELb0ES3_N6thrust23THRUST_200600_302600_NS6detail15normal_iteratorINS9_10device_ptrIiEEEESE_SE_iNS9_4plusIvEENS9_8equal_toIvEEiEE10hipError_tPvRmT2_T3_T4_T5_mT6_T7_P12ihipStream_tbENKUlT_T0_E_clISt17integral_constantIbLb0EESY_IbLb1EEEEDaSU_SV_EUlSU_E_NS1_11comp_targetILNS1_3genE5ELNS1_11target_archE942ELNS1_3gpuE9ELNS1_3repE0EEENS1_30default_config_static_selectorELNS0_4arch9wavefront6targetE1EEEvT1_,comdat
.Lfunc_end38:
	.size	_ZN7rocprim17ROCPRIM_400000_NS6detail17trampoline_kernelINS0_14default_configENS1_27scan_by_key_config_selectorIiiEEZZNS1_16scan_by_key_implILNS1_25lookback_scan_determinismE0ELb0ES3_N6thrust23THRUST_200600_302600_NS6detail15normal_iteratorINS9_10device_ptrIiEEEESE_SE_iNS9_4plusIvEENS9_8equal_toIvEEiEE10hipError_tPvRmT2_T3_T4_T5_mT6_T7_P12ihipStream_tbENKUlT_T0_E_clISt17integral_constantIbLb0EESY_IbLb1EEEEDaSU_SV_EUlSU_E_NS1_11comp_targetILNS1_3genE5ELNS1_11target_archE942ELNS1_3gpuE9ELNS1_3repE0EEENS1_30default_config_static_selectorELNS0_4arch9wavefront6targetE1EEEvT1_, .Lfunc_end38-_ZN7rocprim17ROCPRIM_400000_NS6detail17trampoline_kernelINS0_14default_configENS1_27scan_by_key_config_selectorIiiEEZZNS1_16scan_by_key_implILNS1_25lookback_scan_determinismE0ELb0ES3_N6thrust23THRUST_200600_302600_NS6detail15normal_iteratorINS9_10device_ptrIiEEEESE_SE_iNS9_4plusIvEENS9_8equal_toIvEEiEE10hipError_tPvRmT2_T3_T4_T5_mT6_T7_P12ihipStream_tbENKUlT_T0_E_clISt17integral_constantIbLb0EESY_IbLb1EEEEDaSU_SV_EUlSU_E_NS1_11comp_targetILNS1_3genE5ELNS1_11target_archE942ELNS1_3gpuE9ELNS1_3repE0EEENS1_30default_config_static_selectorELNS0_4arch9wavefront6targetE1EEEvT1_
                                        ; -- End function
	.section	.AMDGPU.csdata,"",@progbits
; Kernel info:
; codeLenInByte = 0
; NumSgprs: 4
; NumVgprs: 0
; NumAgprs: 0
; TotalNumVgprs: 0
; ScratchSize: 0
; MemoryBound: 0
; FloatMode: 240
; IeeeMode: 1
; LDSByteSize: 0 bytes/workgroup (compile time only)
; SGPRBlocks: 0
; VGPRBlocks: 0
; NumSGPRsForWavesPerEU: 4
; NumVGPRsForWavesPerEU: 1
; AccumOffset: 4
; Occupancy: 8
; WaveLimiterHint : 0
; COMPUTE_PGM_RSRC2:SCRATCH_EN: 0
; COMPUTE_PGM_RSRC2:USER_SGPR: 6
; COMPUTE_PGM_RSRC2:TRAP_HANDLER: 0
; COMPUTE_PGM_RSRC2:TGID_X_EN: 1
; COMPUTE_PGM_RSRC2:TGID_Y_EN: 0
; COMPUTE_PGM_RSRC2:TGID_Z_EN: 0
; COMPUTE_PGM_RSRC2:TIDIG_COMP_CNT: 0
; COMPUTE_PGM_RSRC3_GFX90A:ACCUM_OFFSET: 0
; COMPUTE_PGM_RSRC3_GFX90A:TG_SPLIT: 0
	.section	.text._ZN7rocprim17ROCPRIM_400000_NS6detail17trampoline_kernelINS0_14default_configENS1_27scan_by_key_config_selectorIiiEEZZNS1_16scan_by_key_implILNS1_25lookback_scan_determinismE0ELb0ES3_N6thrust23THRUST_200600_302600_NS6detail15normal_iteratorINS9_10device_ptrIiEEEESE_SE_iNS9_4plusIvEENS9_8equal_toIvEEiEE10hipError_tPvRmT2_T3_T4_T5_mT6_T7_P12ihipStream_tbENKUlT_T0_E_clISt17integral_constantIbLb0EESY_IbLb1EEEEDaSU_SV_EUlSU_E_NS1_11comp_targetILNS1_3genE4ELNS1_11target_archE910ELNS1_3gpuE8ELNS1_3repE0EEENS1_30default_config_static_selectorELNS0_4arch9wavefront6targetE1EEEvT1_,"axG",@progbits,_ZN7rocprim17ROCPRIM_400000_NS6detail17trampoline_kernelINS0_14default_configENS1_27scan_by_key_config_selectorIiiEEZZNS1_16scan_by_key_implILNS1_25lookback_scan_determinismE0ELb0ES3_N6thrust23THRUST_200600_302600_NS6detail15normal_iteratorINS9_10device_ptrIiEEEESE_SE_iNS9_4plusIvEENS9_8equal_toIvEEiEE10hipError_tPvRmT2_T3_T4_T5_mT6_T7_P12ihipStream_tbENKUlT_T0_E_clISt17integral_constantIbLb0EESY_IbLb1EEEEDaSU_SV_EUlSU_E_NS1_11comp_targetILNS1_3genE4ELNS1_11target_archE910ELNS1_3gpuE8ELNS1_3repE0EEENS1_30default_config_static_selectorELNS0_4arch9wavefront6targetE1EEEvT1_,comdat
	.protected	_ZN7rocprim17ROCPRIM_400000_NS6detail17trampoline_kernelINS0_14default_configENS1_27scan_by_key_config_selectorIiiEEZZNS1_16scan_by_key_implILNS1_25lookback_scan_determinismE0ELb0ES3_N6thrust23THRUST_200600_302600_NS6detail15normal_iteratorINS9_10device_ptrIiEEEESE_SE_iNS9_4plusIvEENS9_8equal_toIvEEiEE10hipError_tPvRmT2_T3_T4_T5_mT6_T7_P12ihipStream_tbENKUlT_T0_E_clISt17integral_constantIbLb0EESY_IbLb1EEEEDaSU_SV_EUlSU_E_NS1_11comp_targetILNS1_3genE4ELNS1_11target_archE910ELNS1_3gpuE8ELNS1_3repE0EEENS1_30default_config_static_selectorELNS0_4arch9wavefront6targetE1EEEvT1_ ; -- Begin function _ZN7rocprim17ROCPRIM_400000_NS6detail17trampoline_kernelINS0_14default_configENS1_27scan_by_key_config_selectorIiiEEZZNS1_16scan_by_key_implILNS1_25lookback_scan_determinismE0ELb0ES3_N6thrust23THRUST_200600_302600_NS6detail15normal_iteratorINS9_10device_ptrIiEEEESE_SE_iNS9_4plusIvEENS9_8equal_toIvEEiEE10hipError_tPvRmT2_T3_T4_T5_mT6_T7_P12ihipStream_tbENKUlT_T0_E_clISt17integral_constantIbLb0EESY_IbLb1EEEEDaSU_SV_EUlSU_E_NS1_11comp_targetILNS1_3genE4ELNS1_11target_archE910ELNS1_3gpuE8ELNS1_3repE0EEENS1_30default_config_static_selectorELNS0_4arch9wavefront6targetE1EEEvT1_
	.globl	_ZN7rocprim17ROCPRIM_400000_NS6detail17trampoline_kernelINS0_14default_configENS1_27scan_by_key_config_selectorIiiEEZZNS1_16scan_by_key_implILNS1_25lookback_scan_determinismE0ELb0ES3_N6thrust23THRUST_200600_302600_NS6detail15normal_iteratorINS9_10device_ptrIiEEEESE_SE_iNS9_4plusIvEENS9_8equal_toIvEEiEE10hipError_tPvRmT2_T3_T4_T5_mT6_T7_P12ihipStream_tbENKUlT_T0_E_clISt17integral_constantIbLb0EESY_IbLb1EEEEDaSU_SV_EUlSU_E_NS1_11comp_targetILNS1_3genE4ELNS1_11target_archE910ELNS1_3gpuE8ELNS1_3repE0EEENS1_30default_config_static_selectorELNS0_4arch9wavefront6targetE1EEEvT1_
	.p2align	8
	.type	_ZN7rocprim17ROCPRIM_400000_NS6detail17trampoline_kernelINS0_14default_configENS1_27scan_by_key_config_selectorIiiEEZZNS1_16scan_by_key_implILNS1_25lookback_scan_determinismE0ELb0ES3_N6thrust23THRUST_200600_302600_NS6detail15normal_iteratorINS9_10device_ptrIiEEEESE_SE_iNS9_4plusIvEENS9_8equal_toIvEEiEE10hipError_tPvRmT2_T3_T4_T5_mT6_T7_P12ihipStream_tbENKUlT_T0_E_clISt17integral_constantIbLb0EESY_IbLb1EEEEDaSU_SV_EUlSU_E_NS1_11comp_targetILNS1_3genE4ELNS1_11target_archE910ELNS1_3gpuE8ELNS1_3repE0EEENS1_30default_config_static_selectorELNS0_4arch9wavefront6targetE1EEEvT1_,@function
_ZN7rocprim17ROCPRIM_400000_NS6detail17trampoline_kernelINS0_14default_configENS1_27scan_by_key_config_selectorIiiEEZZNS1_16scan_by_key_implILNS1_25lookback_scan_determinismE0ELb0ES3_N6thrust23THRUST_200600_302600_NS6detail15normal_iteratorINS9_10device_ptrIiEEEESE_SE_iNS9_4plusIvEENS9_8equal_toIvEEiEE10hipError_tPvRmT2_T3_T4_T5_mT6_T7_P12ihipStream_tbENKUlT_T0_E_clISt17integral_constantIbLb0EESY_IbLb1EEEEDaSU_SV_EUlSU_E_NS1_11comp_targetILNS1_3genE4ELNS1_11target_archE910ELNS1_3gpuE8ELNS1_3repE0EEENS1_30default_config_static_selectorELNS0_4arch9wavefront6targetE1EEEvT1_: ; @_ZN7rocprim17ROCPRIM_400000_NS6detail17trampoline_kernelINS0_14default_configENS1_27scan_by_key_config_selectorIiiEEZZNS1_16scan_by_key_implILNS1_25lookback_scan_determinismE0ELb0ES3_N6thrust23THRUST_200600_302600_NS6detail15normal_iteratorINS9_10device_ptrIiEEEESE_SE_iNS9_4plusIvEENS9_8equal_toIvEEiEE10hipError_tPvRmT2_T3_T4_T5_mT6_T7_P12ihipStream_tbENKUlT_T0_E_clISt17integral_constantIbLb0EESY_IbLb1EEEEDaSU_SV_EUlSU_E_NS1_11comp_targetILNS1_3genE4ELNS1_11target_archE910ELNS1_3gpuE8ELNS1_3repE0EEENS1_30default_config_static_selectorELNS0_4arch9wavefront6targetE1EEEvT1_
; %bb.0:
	s_load_dwordx4 s[56:59], s[4:5], 0x28
	s_load_dwordx2 s[60:61], s[4:5], 0x38
	v_cmp_ne_u32_e64 s[36:37], 0, v0
	v_cmp_eq_u32_e64 s[0:1], 0, v0
	s_and_saveexec_b64 s[2:3], s[0:1]
	s_cbranch_execz .LBB39_4
; %bb.1:
	s_mov_b64 s[8:9], exec
	v_mbcnt_lo_u32_b32 v1, s8, 0
	v_mbcnt_hi_u32_b32 v1, s9, v1
	v_cmp_eq_u32_e32 vcc, 0, v1
                                        ; implicit-def: $vgpr2
	s_and_saveexec_b64 s[6:7], vcc
	s_cbranch_execz .LBB39_3
; %bb.2:
	s_load_dwordx2 s[10:11], s[4:5], 0x68
	s_bcnt1_i32_b64 s8, s[8:9]
	v_mov_b32_e32 v2, 0
	v_mov_b32_e32 v3, s8
	s_waitcnt lgkmcnt(0)
	global_atomic_add v2, v2, v3, s[10:11] glc
.LBB39_3:
	s_or_b64 exec, exec, s[6:7]
	s_waitcnt vmcnt(0)
	v_readfirstlane_b32 s6, v2
	v_add_u32_e32 v1, s6, v1
	v_mov_b32_e32 v2, 0
	ds_write_b32 v2, v1
.LBB39_4:
	s_or_b64 exec, exec, s[2:3]
	s_load_dwordx8 s[40:47], s[4:5], 0x0
	s_load_dword s2, s[4:5], 0x40
	s_load_dwordx8 s[48:55], s[4:5], 0x48
	v_mov_b32_e32 v1, 0
	s_waitcnt lgkmcnt(0)
	s_barrier
	ds_read_b32 v1, v1
	s_lshl_b64 s[38:39], s[42:43], 2
	s_add_u32 s4, s40, s38
	s_addc_u32 s5, s41, s39
	s_add_u32 s6, s44, s38
	s_mul_i32 s3, s61, s2
	s_mul_hi_u32 s8, s60, s2
	s_addc_u32 s7, s45, s39
	s_add_i32 s8, s8, s3
	s_waitcnt lgkmcnt(0)
	v_readfirstlane_b32 s59, v1
	s_mul_i32 s9, s60, s2
	s_cmp_lg_u64 s[52:53], 0
	s_mov_b32 s3, 0
	s_mul_i32 s2, s59, 0xe00
	s_cselect_b64 s[44:45], -1, 0
	s_lshl_b64 s[40:41], s[2:3], 2
	s_add_u32 s42, s4, s40
	s_addc_u32 s43, s5, s41
	s_add_u32 s62, s6, s40
	s_addc_u32 s63, s7, s41
	;; [unrolled: 2-line block ×3, first 2 shown]
	s_add_u32 s4, s48, -1
	s_addc_u32 s5, s49, -1
	v_pk_mov_b32 v[2:3], s[4:5], s[4:5] op_sel:[0,1]
	v_cmp_ge_u64_e64 s[2:3], s[52:53], v[2:3]
	s_mov_b64 s[18:19], 0
	s_mov_b64 s[12:13], -1
	s_and_b64 vcc, exec, s[2:3]
	s_mul_i32 s33, s4, 0xfffff200
	s_barrier
	s_barrier
	s_cbranch_vccz .LBB39_81
; %bb.5:
	v_pk_mov_b32 v[2:3], s[42:43], s[42:43] op_sel:[0,1]
	flat_load_dword v1, v[2:3]
	s_add_i32 s64, s33, s58
	v_cmp_gt_u32_e64 s[6:7], s64, v0
	s_waitcnt vmcnt(0) lgkmcnt(0)
	v_mov_b32_e32 v13, v1
	s_and_saveexec_b64 s[4:5], s[6:7]
	s_cbranch_execz .LBB39_7
; %bb.6:
	v_lshlrev_b32_e32 v2, 2, v0
	v_mov_b32_e32 v3, s43
	v_add_co_u32_e32 v2, vcc, s42, v2
	v_addc_co_u32_e32 v3, vcc, 0, v3, vcc
	flat_load_dword v13, v[2:3]
.LBB39_7:
	s_or_b64 exec, exec, s[4:5]
	v_or_b32_e32 v2, 0x100, v0
	v_cmp_gt_u32_e64 s[8:9], s64, v2
	v_mov_b32_e32 v14, v1
	s_and_saveexec_b64 s[4:5], s[8:9]
	s_cbranch_execz .LBB39_9
; %bb.8:
	v_lshlrev_b32_e32 v2, 2, v0
	v_mov_b32_e32 v3, s43
	v_add_co_u32_e32 v2, vcc, s42, v2
	v_addc_co_u32_e32 v3, vcc, 0, v3, vcc
	flat_load_dword v14, v[2:3] offset:1024
.LBB39_9:
	s_or_b64 exec, exec, s[4:5]
	v_or_b32_e32 v2, 0x200, v0
	v_cmp_gt_u32_e64 s[10:11], s64, v2
	v_mov_b32_e32 v15, v1
	s_and_saveexec_b64 s[4:5], s[10:11]
	s_cbranch_execz .LBB39_11
; %bb.10:
	v_lshlrev_b32_e32 v2, 2, v0
	v_mov_b32_e32 v3, s43
	v_add_co_u32_e32 v2, vcc, s42, v2
	v_addc_co_u32_e32 v3, vcc, 0, v3, vcc
	flat_load_dword v15, v[2:3] offset:2048
.LBB39_11:
	;; [unrolled: 13-line block ×3, first 2 shown]
	s_or_b64 exec, exec, s[4:5]
	v_or_b32_e32 v2, 0x400, v0
	v_cmp_gt_u32_e64 s[14:15], s64, v2
	v_lshlrev_b32_e32 v2, 2, v2
	v_mov_b32_e32 v17, v1
	s_and_saveexec_b64 s[4:5], s[14:15]
	s_cbranch_execz .LBB39_15
; %bb.14:
	v_mov_b32_e32 v3, s43
	v_add_co_u32_e32 v4, vcc, s42, v2
	v_addc_co_u32_e32 v5, vcc, 0, v3, vcc
	flat_load_dword v17, v[4:5]
.LBB39_15:
	s_or_b64 exec, exec, s[4:5]
	v_or_b32_e32 v3, 0x500, v0
	v_cmp_gt_u32_e64 s[16:17], s64, v3
	v_lshlrev_b32_e32 v3, 2, v3
	v_mov_b32_e32 v18, v1
	s_and_saveexec_b64 s[4:5], s[16:17]
	s_cbranch_execz .LBB39_17
; %bb.16:
	v_mov_b32_e32 v5, s43
	v_add_co_u32_e32 v4, vcc, s42, v3
	v_addc_co_u32_e32 v5, vcc, 0, v5, vcc
	flat_load_dword v18, v[4:5]
.LBB39_17:
	;; [unrolled: 13-line block ×9, first 2 shown]
	s_or_b64 exec, exec, s[4:5]
	v_or_b32_e32 v11, 0xd00, v0
	v_cmp_gt_u32_e64 s[34:35], s64, v11
	v_lshlrev_b32_e32 v11, 2, v11
	s_and_saveexec_b64 s[4:5], s[34:35]
	s_cbranch_execz .LBB39_33
; %bb.32:
	v_mov_b32_e32 v1, s43
	v_add_co_u32_e32 v26, vcc, s42, v11
	v_addc_co_u32_e32 v27, vcc, 0, v1, vcc
	flat_load_dword v1, v[26:27]
.LBB39_33:
	s_or_b64 exec, exec, s[4:5]
	v_lshlrev_b32_e32 v12, 2, v0
	s_waitcnt vmcnt(0) lgkmcnt(0)
	ds_write2st64_b32 v12, v13, v14 offset1:4
	ds_write2st64_b32 v12, v15, v16 offset0:8 offset1:12
	ds_write2st64_b32 v12, v17, v18 offset0:16 offset1:20
	;; [unrolled: 1-line block ×6, first 2 shown]
	v_mad_u32_u24 v1, v0, 52, v12
	s_waitcnt lgkmcnt(0)
	s_barrier
	ds_read2_b64 v[34:37], v1 offset1:1
	ds_read2_b64 v[30:33], v1 offset0:2 offset1:3
	ds_read2_b64 v[26:29], v1 offset0:4 offset1:5
	ds_read_b64 v[40:41], v1 offset:48
	s_cmp_eq_u64 s[52:53], 0
	s_mov_b64 s[4:5], s[42:43]
	s_cbranch_scc1 .LBB39_37
; %bb.34:
	s_andn2_b64 vcc, exec, s[44:45]
	s_cbranch_vccnz .LBB39_183
; %bb.35:
	s_lshl_b64 s[4:5], s[52:53], 2
	s_add_u32 s4, s54, s4
	s_addc_u32 s5, s55, s5
	s_add_u32 s4, s4, -4
	s_addc_u32 s5, s5, -1
	s_cbranch_execnz .LBB39_37
.LBB39_36:
	s_add_u32 s4, s42, -4
	s_addc_u32 s5, s43, -1
.LBB39_37:
	v_pk_mov_b32 v[14:15], s[4:5], s[4:5] op_sel:[0,1]
	flat_load_dword v44, v[14:15]
	s_movk_i32 s4, 0xffcc
	v_mad_i32_i24 v13, v0, s4, v1
	s_waitcnt lgkmcnt(0)
	ds_write_b32 v13, v41 offset:14336
	s_waitcnt lgkmcnt(0)
	s_barrier
	s_and_saveexec_b64 s[4:5], s[36:37]
	s_cbranch_execz .LBB39_39
; %bb.38:
	v_mul_i32_i24_e32 v13, 0xffffffcc, v0
	v_add_u32_e32 v13, v1, v13
	s_waitcnt vmcnt(0)
	ds_read_b32 v44, v13 offset:14332
.LBB39_39:
	s_or_b64 exec, exec, s[4:5]
	s_waitcnt lgkmcnt(0)
	s_barrier
	s_waitcnt lgkmcnt(0)
                                        ; implicit-def: $vgpr13
	s_and_saveexec_b64 s[4:5], s[6:7]
	s_cbranch_execnz .LBB39_170
; %bb.40:
	s_or_b64 exec, exec, s[4:5]
                                        ; implicit-def: $vgpr14
	s_and_saveexec_b64 s[4:5], s[8:9]
	s_cbranch_execnz .LBB39_171
.LBB39_41:
	s_or_b64 exec, exec, s[4:5]
                                        ; implicit-def: $vgpr15
	s_and_saveexec_b64 s[4:5], s[10:11]
	s_cbranch_execnz .LBB39_172
.LBB39_42:
	s_or_b64 exec, exec, s[4:5]
                                        ; implicit-def: $vgpr16
	s_and_saveexec_b64 s[4:5], s[12:13]
	s_cbranch_execnz .LBB39_173
.LBB39_43:
	s_or_b64 exec, exec, s[4:5]
                                        ; implicit-def: $vgpr17
	s_and_saveexec_b64 s[4:5], s[14:15]
	s_cbranch_execnz .LBB39_174
.LBB39_44:
	s_or_b64 exec, exec, s[4:5]
                                        ; implicit-def: $vgpr2
	s_and_saveexec_b64 s[4:5], s[16:17]
	s_cbranch_execnz .LBB39_175
.LBB39_45:
	s_or_b64 exec, exec, s[4:5]
                                        ; implicit-def: $vgpr3
	s_and_saveexec_b64 s[4:5], s[18:19]
	s_cbranch_execnz .LBB39_176
.LBB39_46:
	s_or_b64 exec, exec, s[4:5]
                                        ; implicit-def: $vgpr4
	s_and_saveexec_b64 s[4:5], s[20:21]
	s_cbranch_execnz .LBB39_177
.LBB39_47:
	s_or_b64 exec, exec, s[4:5]
                                        ; implicit-def: $vgpr5
	s_and_saveexec_b64 s[4:5], s[22:23]
	s_cbranch_execnz .LBB39_178
.LBB39_48:
	s_or_b64 exec, exec, s[4:5]
                                        ; implicit-def: $vgpr6
	s_and_saveexec_b64 s[4:5], s[24:25]
	s_cbranch_execnz .LBB39_179
.LBB39_49:
	s_or_b64 exec, exec, s[4:5]
                                        ; implicit-def: $vgpr7
	s_and_saveexec_b64 s[4:5], s[26:27]
	s_cbranch_execnz .LBB39_180
.LBB39_50:
	s_or_b64 exec, exec, s[4:5]
                                        ; implicit-def: $vgpr8
	s_and_saveexec_b64 s[4:5], s[28:29]
	s_cbranch_execnz .LBB39_181
.LBB39_51:
	s_or_b64 exec, exec, s[4:5]
                                        ; implicit-def: $vgpr9
	s_and_saveexec_b64 s[4:5], s[30:31]
	s_cbranch_execnz .LBB39_182
.LBB39_52:
	s_or_b64 exec, exec, s[4:5]
                                        ; implicit-def: $vgpr10
	s_and_saveexec_b64 s[4:5], s[34:35]
	s_cbranch_execz .LBB39_54
.LBB39_53:
	v_mov_b32_e32 v18, s63
	v_add_co_u32_e32 v10, vcc, s62, v11
	v_addc_co_u32_e32 v11, vcc, 0, v18, vcc
	flat_load_dword v10, v[10:11]
.LBB39_54:
	s_or_b64 exec, exec, s[4:5]
	s_mov_b32 s4, 0
	s_mov_b32 s5, s4
	s_waitcnt vmcnt(0) lgkmcnt(0)
	ds_write2st64_b32 v12, v13, v14 offset1:4
	ds_write2st64_b32 v12, v15, v16 offset0:8 offset1:12
	ds_write2st64_b32 v12, v17, v2 offset0:16 offset1:20
	;; [unrolled: 1-line block ×6, first 2 shown]
	s_mov_b32 s6, s4
	s_mov_b32 s7, s4
	;; [unrolled: 1-line block ×6, first 2 shown]
	v_pk_mov_b32 v[2:3], s[4:5], s[4:5] op_sel:[0,1]
	v_pk_mov_b32 v[8:9], s[10:11], s[10:11] op_sel:[0,1]
	v_mul_u32_u24_e32 v42, 14, v0
	v_pk_mov_b32 v[4:5], s[6:7], s[6:7] op_sel:[0,1]
	v_pk_mov_b32 v[6:7], s[8:9], s[8:9] op_sel:[0,1]
	;; [unrolled: 1-line block ×4, first 2 shown]
	v_cmp_gt_u32_e32 vcc, s64, v42
	s_mov_b64 s[12:13], 0
	v_pk_mov_b32 v[38:39], 0, 0
	s_mov_b64 s[18:19], 0
	v_pk_mov_b32 v[14:15], v[6:7], v[6:7] op_sel:[0,1]
	v_pk_mov_b32 v[12:13], v[4:5], v[4:5] op_sel:[0,1]
	;; [unrolled: 1-line block ×6, first 2 shown]
	s_waitcnt lgkmcnt(0)
	s_barrier
	s_waitcnt lgkmcnt(0)
                                        ; implicit-def: $sgpr16_sgpr17
                                        ; implicit-def: $vgpr43
	s_and_saveexec_b64 s[14:15], vcc
	s_cbranch_execz .LBB39_80
; %bb.55:
	v_or_b32_e32 v2, 1, v42
	ds_read_b32 v38, v1
	v_cmp_ne_u32_e32 vcc, v44, v34
	v_cndmask_b32_e64 v39, 0, 1, vcc
	v_cmp_gt_u32_e32 vcc, s64, v2
	v_pk_mov_b32 v[2:3], s[4:5], s[4:5] op_sel:[0,1]
	v_pk_mov_b32 v[8:9], s[10:11], s[10:11] op_sel:[0,1]
	;; [unrolled: 1-line block ×12, first 2 shown]
                                        ; implicit-def: $sgpr4_sgpr5
                                        ; implicit-def: $vgpr43
	s_and_saveexec_b64 s[16:17], vcc
	s_cbranch_execz .LBB39_79
; %bb.56:
	ds_read2_b32 v[44:45], v1 offset0:1 offset1:2
	s_mov_b32 s4, 0
	s_mov_b32 s10, s4
	;; [unrolled: 1-line block ×8, first 2 shown]
	v_pk_mov_b32 v[16:17], s[10:11], s[10:11] op_sel:[0,1]
	v_add_u32_e32 v2, 2, v42
	v_cmp_ne_u32_e32 vcc, v34, v35
	v_mov_b32_e32 v6, 0
	v_pk_mov_b32 v[14:15], s[8:9], s[8:9] op_sel:[0,1]
	v_pk_mov_b32 v[12:13], s[6:7], s[6:7] op_sel:[0,1]
	;; [unrolled: 1-line block ×4, first 2 shown]
	v_cndmask_b32_e64 v3, 0, 1, vcc
	v_cmp_gt_u32_e32 vcc, s64, v2
	s_waitcnt lgkmcnt(0)
	v_mov_b32_e32 v2, v44
	v_mov_b32_e32 v4, v6
	;; [unrolled: 1-line block ×6, first 2 shown]
	s_mov_b64 s[20:21], 0
	v_pk_mov_b32 v[22:23], v[14:15], v[14:15] op_sel:[0,1]
	v_pk_mov_b32 v[20:21], v[12:13], v[12:13] op_sel:[0,1]
	;; [unrolled: 1-line block ×3, first 2 shown]
                                        ; implicit-def: $sgpr24_sgpr25
                                        ; implicit-def: $vgpr43
	s_and_saveexec_b64 s[18:19], vcc
	s_cbranch_execz .LBB39_78
; %bb.57:
	v_pk_mov_b32 v[16:17], s[10:11], s[10:11] op_sel:[0,1]
	v_add_u32_e32 v2, 3, v42
	v_cmp_ne_u32_e32 vcc, v35, v36
	v_pk_mov_b32 v[14:15], s[8:9], s[8:9] op_sel:[0,1]
	v_pk_mov_b32 v[12:13], s[6:7], s[6:7] op_sel:[0,1]
	v_pk_mov_b32 v[10:11], s[4:5], s[4:5] op_sel:[0,1]
	v_pk_mov_b32 v[24:25], v[16:17], v[16:17] op_sel:[0,1]
	v_cndmask_b32_e64 v5, 0, 1, vcc
	v_cmp_gt_u32_e32 vcc, s64, v2
	v_mov_b32_e32 v2, v44
	v_mov_b32_e32 v4, v45
	;; [unrolled: 1-line block ×5, first 2 shown]
	s_mov_b64 s[22:23], 0
	v_pk_mov_b32 v[22:23], v[14:15], v[14:15] op_sel:[0,1]
	v_pk_mov_b32 v[20:21], v[12:13], v[12:13] op_sel:[0,1]
	;; [unrolled: 1-line block ×3, first 2 shown]
                                        ; implicit-def: $sgpr4_sgpr5
                                        ; implicit-def: $vgpr43
	s_and_saveexec_b64 s[20:21], vcc
	s_cbranch_execz .LBB39_77
; %bb.58:
	ds_read2_b32 v[34:35], v1 offset0:3 offset1:4
	s_mov_b32 s4, 0
	s_mov_b32 s10, s4
	s_mov_b32 s11, s4
	s_mov_b32 s5, s4
	s_mov_b32 s6, s4
	s_mov_b32 s7, s4
	s_mov_b32 s8, s4
	s_mov_b32 s9, s4
	v_pk_mov_b32 v[16:17], s[10:11], s[10:11] op_sel:[0,1]
	v_add_u32_e32 v6, 4, v42
	v_cmp_ne_u32_e32 vcc, v36, v37
	v_pk_mov_b32 v[14:15], s[8:9], s[8:9] op_sel:[0,1]
	v_pk_mov_b32 v[12:13], s[6:7], s[6:7] op_sel:[0,1]
	;; [unrolled: 1-line block ×4, first 2 shown]
	v_cndmask_b32_e64 v7, 0, 1, vcc
	v_cmp_gt_u32_e32 vcc, s64, v6
	s_waitcnt lgkmcnt(0)
	v_mov_b32_e32 v6, v34
	v_mov_b32_e32 v8, s4
	;; [unrolled: 1-line block ×3, first 2 shown]
	s_mov_b64 s[24:25], 0
	v_pk_mov_b32 v[22:23], v[14:15], v[14:15] op_sel:[0,1]
	v_pk_mov_b32 v[20:21], v[12:13], v[12:13] op_sel:[0,1]
	;; [unrolled: 1-line block ×3, first 2 shown]
                                        ; implicit-def: $sgpr26_sgpr27
                                        ; implicit-def: $vgpr43
	s_and_saveexec_b64 s[22:23], vcc
	s_cbranch_execz .LBB39_76
; %bb.59:
	v_pk_mov_b32 v[16:17], s[10:11], s[10:11] op_sel:[0,1]
	v_add_u32_e32 v8, 5, v42
	v_cmp_ne_u32_e32 vcc, v37, v30
	v_pk_mov_b32 v[14:15], s[8:9], s[8:9] op_sel:[0,1]
	v_pk_mov_b32 v[12:13], s[6:7], s[6:7] op_sel:[0,1]
	;; [unrolled: 1-line block ×4, first 2 shown]
	v_cndmask_b32_e64 v9, 0, 1, vcc
	v_cmp_gt_u32_e32 vcc, s64, v8
	v_mov_b32_e32 v8, v35
	s_mov_b64 s[28:29], 0
	v_pk_mov_b32 v[22:23], v[14:15], v[14:15] op_sel:[0,1]
	v_pk_mov_b32 v[20:21], v[12:13], v[12:13] op_sel:[0,1]
	;; [unrolled: 1-line block ×3, first 2 shown]
                                        ; implicit-def: $sgpr4_sgpr5
                                        ; implicit-def: $vgpr43
	s_and_saveexec_b64 s[24:25], vcc
	s_cbranch_execz .LBB39_75
; %bb.60:
	ds_read2_b32 v[34:35], v1 offset0:5 offset1:6
	s_mov_b32 s4, 0
	s_mov_b32 s10, s4
	;; [unrolled: 1-line block ×3, first 2 shown]
	v_add_u32_e32 v10, 6, v42
	v_cmp_ne_u32_e32 vcc, v30, v31
	v_mov_b32_e32 v14, 0
	s_mov_b32 s5, s4
	s_mov_b32 s6, s4
	;; [unrolled: 1-line block ×5, first 2 shown]
	v_pk_mov_b32 v[24:25], s[10:11], s[10:11] op_sel:[0,1]
	v_cndmask_b32_e64 v11, 0, 1, vcc
	v_cmp_gt_u32_e32 vcc, s64, v10
	s_waitcnt lgkmcnt(0)
	v_mov_b32_e32 v10, v34
	v_mov_b32_e32 v12, v14
	;; [unrolled: 1-line block ×6, first 2 shown]
	v_pk_mov_b32 v[22:23], s[8:9], s[8:9] op_sel:[0,1]
	v_pk_mov_b32 v[20:21], s[6:7], s[6:7] op_sel:[0,1]
	;; [unrolled: 1-line block ×3, first 2 shown]
                                        ; implicit-def: $sgpr34_sgpr35
                                        ; implicit-def: $vgpr43
	s_and_saveexec_b64 s[26:27], vcc
	s_cbranch_execz .LBB39_74
; %bb.61:
	v_add_u32_e32 v10, 7, v42
	v_cmp_ne_u32_e32 vcc, v31, v32
	v_pk_mov_b32 v[24:25], s[10:11], s[10:11] op_sel:[0,1]
	v_cndmask_b32_e64 v13, 0, 1, vcc
	v_cmp_gt_u32_e32 vcc, s64, v10
	v_mov_b32_e32 v10, v34
	v_mov_b32_e32 v12, v35
	;; [unrolled: 1-line block ×5, first 2 shown]
	s_mov_b64 s[30:31], 0
	v_pk_mov_b32 v[22:23], s[8:9], s[8:9] op_sel:[0,1]
	v_pk_mov_b32 v[20:21], s[6:7], s[6:7] op_sel:[0,1]
	;; [unrolled: 1-line block ×3, first 2 shown]
                                        ; implicit-def: $sgpr4_sgpr5
                                        ; implicit-def: $vgpr43
	s_and_saveexec_b64 s[28:29], vcc
	s_cbranch_execz .LBB39_73
; %bb.62:
	ds_read2_b32 v[30:31], v1 offset0:7 offset1:8
	s_mov_b32 s4, 0
	s_mov_b32 s10, s4
	;; [unrolled: 1-line block ×3, first 2 shown]
	v_add_u32_e32 v14, 8, v42
	v_cmp_ne_u32_e32 vcc, v32, v33
	s_mov_b32 s5, s4
	s_mov_b32 s6, s4
	;; [unrolled: 1-line block ×5, first 2 shown]
	v_pk_mov_b32 v[24:25], s[10:11], s[10:11] op_sel:[0,1]
	v_cndmask_b32_e64 v15, 0, 1, vcc
	v_cmp_gt_u32_e32 vcc, s64, v14
	s_waitcnt lgkmcnt(0)
	v_mov_b32_e32 v14, v30
	v_mov_b32_e32 v16, s4
	;; [unrolled: 1-line block ×3, first 2 shown]
	s_mov_b64 s[34:35], 0
	v_pk_mov_b32 v[22:23], s[8:9], s[8:9] op_sel:[0,1]
	v_pk_mov_b32 v[20:21], s[6:7], s[6:7] op_sel:[0,1]
	;; [unrolled: 1-line block ×3, first 2 shown]
                                        ; implicit-def: $sgpr48_sgpr49
                                        ; implicit-def: $vgpr43
	s_and_saveexec_b64 s[30:31], vcc
	s_cbranch_execz .LBB39_72
; %bb.63:
	v_add_u32_e32 v16, 9, v42
	v_cmp_ne_u32_e32 vcc, v33, v26
	v_pk_mov_b32 v[24:25], s[10:11], s[10:11] op_sel:[0,1]
	v_cndmask_b32_e64 v17, 0, 1, vcc
	v_cmp_gt_u32_e32 vcc, s64, v16
	v_mov_b32_e32 v16, v31
	v_pk_mov_b32 v[22:23], s[8:9], s[8:9] op_sel:[0,1]
	v_pk_mov_b32 v[20:21], s[6:7], s[6:7] op_sel:[0,1]
	;; [unrolled: 1-line block ×3, first 2 shown]
                                        ; implicit-def: $sgpr8_sgpr9
                                        ; implicit-def: $vgpr43
	s_and_saveexec_b64 s[6:7], vcc
	s_cbranch_execz .LBB39_71
; %bb.64:
	ds_read2_b32 v[30:31], v1 offset0:9 offset1:10
	v_add_u32_e32 v18, 10, v42
	v_cmp_ne_u32_e32 vcc, v26, v27
	v_mov_b32_e32 v22, 0
	v_cndmask_b32_e64 v19, 0, 1, vcc
	v_cmp_gt_u32_e32 vcc, s64, v18
	s_waitcnt lgkmcnt(0)
	v_mov_b32_e32 v18, v30
	v_mov_b32_e32 v20, v22
	;; [unrolled: 1-line block ×6, first 2 shown]
	s_mov_b64 s[4:5], 0
                                        ; implicit-def: $sgpr10_sgpr11
                                        ; implicit-def: $vgpr43
	s_and_saveexec_b64 s[8:9], vcc
	s_cbranch_execz .LBB39_70
; %bb.65:
	v_add_u32_e32 v18, 11, v42
	v_cmp_ne_u32_e32 vcc, v27, v28
	v_cndmask_b32_e64 v21, 0, 1, vcc
	v_cmp_gt_u32_e32 vcc, s64, v18
	s_mov_b32 s48, 0
	v_mov_b32_e32 v18, v30
	v_mov_b32_e32 v20, v31
	v_mov_b32_e32 v23, v22
	v_mov_b32_e32 v24, v22
	v_mov_b32_e32 v25, v22
                                        ; implicit-def: $sgpr34_sgpr35
                                        ; implicit-def: $vgpr43
	s_and_saveexec_b64 s[10:11], vcc
	s_cbranch_execz .LBB39_69
; %bb.66:
	ds_read2_b32 v[26:27], v1 offset0:11 offset1:12
	v_add_u32_e32 v22, 12, v42
	v_cmp_ne_u32_e32 vcc, v28, v29
	v_cndmask_b32_e64 v23, 0, 1, vcc
	v_cmp_gt_u32_e32 vcc, s64, v22
	s_waitcnt lgkmcnt(0)
	v_mov_b32_e32 v22, v26
	v_mov_b32_e32 v24, s48
	;; [unrolled: 1-line block ×3, first 2 shown]
                                        ; implicit-def: $sgpr34_sgpr35
                                        ; implicit-def: $vgpr43
	s_and_saveexec_b64 s[48:49], vcc
	s_xor_b64 s[48:49], exec, s[48:49]
	s_cbranch_execz .LBB39_68
; %bb.67:
	ds_read_b32 v43, v1 offset:52
	v_add_u32_e32 v1, 13, v42
	v_cmp_ne_u32_e64 s[4:5], v29, v40
	v_cmp_ne_u32_e32 vcc, v40, v41
	v_cndmask_b32_e64 v25, 0, 1, s[4:5]
	v_cmp_gt_u32_e64 s[4:5], s64, v1
	v_mov_b32_e32 v24, v27
	s_and_b64 s[34:35], vcc, exec
	s_and_b64 s[4:5], s[4:5], exec
.LBB39_68:
	s_or_b64 exec, exec, s[48:49]
	s_and_b64 s[34:35], s[34:35], exec
	s_and_b64 s[4:5], s[4:5], exec
.LBB39_69:
	s_or_b64 exec, exec, s[10:11]
	s_and_b64 s[10:11], s[34:35], exec
	s_and_b64 s[4:5], s[4:5], exec
.LBB39_70:
	s_or_b64 exec, exec, s[8:9]
	s_and_b64 s[8:9], s[10:11], exec
	s_and_b64 s[34:35], s[4:5], exec
.LBB39_71:
	s_or_b64 exec, exec, s[6:7]
	s_and_b64 s[48:49], s[8:9], exec
	s_and_b64 s[34:35], s[34:35], exec
.LBB39_72:
	s_or_b64 exec, exec, s[30:31]
	s_and_b64 s[4:5], s[48:49], exec
	s_and_b64 s[30:31], s[34:35], exec
.LBB39_73:
	s_or_b64 exec, exec, s[28:29]
	s_and_b64 s[34:35], s[4:5], exec
	s_and_b64 s[28:29], s[30:31], exec
.LBB39_74:
	s_or_b64 exec, exec, s[26:27]
	s_and_b64 s[4:5], s[34:35], exec
	s_and_b64 s[28:29], s[28:29], exec
.LBB39_75:
	s_or_b64 exec, exec, s[24:25]
	s_and_b64 s[26:27], s[4:5], exec
	s_and_b64 s[24:25], s[28:29], exec
.LBB39_76:
	s_or_b64 exec, exec, s[22:23]
	s_and_b64 s[4:5], s[26:27], exec
	s_and_b64 s[22:23], s[24:25], exec
.LBB39_77:
	s_or_b64 exec, exec, s[20:21]
	s_and_b64 s[24:25], s[4:5], exec
	s_and_b64 s[20:21], s[22:23], exec
.LBB39_78:
	s_or_b64 exec, exec, s[18:19]
	s_and_b64 s[4:5], s[24:25], exec
	s_and_b64 s[18:19], s[20:21], exec
.LBB39_79:
	s_or_b64 exec, exec, s[16:17]
	s_and_b64 s[16:17], s[4:5], exec
	s_and_b64 s[18:19], s[18:19], exec
.LBB39_80:
	s_or_b64 exec, exec, s[14:15]
	s_and_b64 vcc, exec, s[12:13]
	v_lshlrev_b32_e32 v50, 2, v0
	s_cbranch_vccnz .LBB39_82
	s_branch .LBB39_90
.LBB39_81:
                                        ; implicit-def: $sgpr16_sgpr17
                                        ; implicit-def: $vgpr2_vgpr3_vgpr4_vgpr5_vgpr6_vgpr7_vgpr8_vgpr9
                                        ; implicit-def: $vgpr10_vgpr11_vgpr12_vgpr13_vgpr14_vgpr15_vgpr16_vgpr17
                                        ; implicit-def: $vgpr18_vgpr19_vgpr20_vgpr21_vgpr22_vgpr23_vgpr24_vgpr25
                                        ; implicit-def: $vgpr43
                                        ; implicit-def: $vgpr38_vgpr39
	s_and_b64 vcc, exec, s[12:13]
	v_lshlrev_b32_e32 v50, 2, v0
	s_cbranch_vccz .LBB39_90
.LBB39_82:
	v_mov_b32_e32 v1, s43
	v_add_co_u32_e32 v2, vcc, s42, v50
	v_addc_co_u32_e32 v3, vcc, 0, v1, vcc
	v_add_co_u32_e32 v4, vcc, 0x1000, v2
	v_addc_co_u32_e32 v5, vcc, 0, v3, vcc
	flat_load_dword v6, v[2:3]
	flat_load_dword v7, v[2:3] offset:1024
	flat_load_dword v8, v[2:3] offset:2048
	;; [unrolled: 1-line block ×3, first 2 shown]
	flat_load_dword v10, v[4:5]
	flat_load_dword v11, v[4:5] offset:1024
	flat_load_dword v12, v[4:5] offset:2048
	;; [unrolled: 1-line block ×3, first 2 shown]
	v_add_co_u32_e32 v4, vcc, 0x2000, v2
	v_addc_co_u32_e32 v5, vcc, 0, v3, vcc
	v_add_co_u32_e32 v2, vcc, 0x3000, v2
	v_addc_co_u32_e32 v3, vcc, 0, v3, vcc
	flat_load_dword v14, v[4:5]
	flat_load_dword v15, v[4:5] offset:1024
	flat_load_dword v16, v[4:5] offset:2048
	;; [unrolled: 1-line block ×3, first 2 shown]
	flat_load_dword v18, v[2:3]
	flat_load_dword v19, v[2:3] offset:1024
	v_mad_u32_u24 v1, v0, 52, v50
	s_cmp_eq_u64 s[52:53], 0
	s_waitcnt vmcnt(0) lgkmcnt(0)
	ds_write2st64_b32 v50, v6, v7 offset1:4
	ds_write2st64_b32 v50, v8, v9 offset0:8 offset1:12
	ds_write2st64_b32 v50, v10, v11 offset0:16 offset1:20
	;; [unrolled: 1-line block ×6, first 2 shown]
	s_waitcnt lgkmcnt(0)
	s_barrier
	ds_read2_b64 v[2:5], v1 offset1:1
	ds_read2_b64 v[10:13], v1 offset0:2 offset1:3
	ds_read2_b64 v[18:21], v1 offset0:4 offset1:5
	ds_read_b64 v[6:7], v1 offset:48
	s_cbranch_scc1 .LBB39_87
; %bb.83:
	s_andn2_b64 vcc, exec, s[44:45]
	s_cbranch_vccnz .LBB39_184
; %bb.84:
	s_lshl_b64 s[4:5], s[52:53], 2
	s_add_u32 s4, s54, s4
	s_addc_u32 s5, s55, s5
	s_add_u32 s4, s4, -4
	s_addc_u32 s5, s5, -1
	s_cbranch_execnz .LBB39_86
.LBB39_85:
	s_add_u32 s4, s42, -4
	s_addc_u32 s5, s43, -1
.LBB39_86:
	s_mov_b64 s[42:43], s[4:5]
.LBB39_87:
	v_pk_mov_b32 v[8:9], s[42:43], s[42:43] op_sel:[0,1]
	flat_load_dword v8, v[8:9]
	s_movk_i32 s4, 0xffcc
	v_mad_i32_i24 v9, v0, s4, v1
	s_waitcnt lgkmcnt(0)
	ds_write_b32 v9, v7 offset:14336
	s_waitcnt lgkmcnt(0)
	s_barrier
	s_and_saveexec_b64 s[4:5], s[36:37]
	s_cbranch_execz .LBB39_89
; %bb.88:
	s_waitcnt vmcnt(0)
	v_mul_i32_i24_e32 v8, 0xffffffcc, v0
	v_add_u32_e32 v8, v1, v8
	ds_read_b32 v8, v8 offset:14332
.LBB39_89:
	s_or_b64 exec, exec, s[4:5]
	v_mov_b32_e32 v9, s63
	v_add_co_u32_e32 v14, vcc, s62, v50
	v_addc_co_u32_e32 v15, vcc, 0, v9, vcc
	s_movk_i32 s4, 0x1000
	v_add_co_u32_e32 v16, vcc, s4, v14
	v_addc_co_u32_e32 v17, vcc, 0, v15, vcc
	s_movk_i32 s4, 0x2000
	s_waitcnt lgkmcnt(0)
	s_barrier
	flat_load_dword v22, v[14:15]
	flat_load_dword v24, v[14:15] offset:1024
	flat_load_dword v26, v[14:15] offset:2048
	;; [unrolled: 1-line block ×3, first 2 shown]
	flat_load_dword v28, v[16:17]
	flat_load_dword v29, v[16:17] offset:1024
	flat_load_dword v30, v[16:17] offset:2048
	;; [unrolled: 1-line block ×3, first 2 shown]
	v_add_co_u32_e32 v16, vcc, s4, v14
	v_addc_co_u32_e32 v17, vcc, 0, v15, vcc
	s_movk_i32 s4, 0x3000
	v_add_co_u32_e32 v14, vcc, s4, v14
	v_addc_co_u32_e32 v15, vcc, 0, v15, vcc
	flat_load_dword v32, v[16:17]
	flat_load_dword v33, v[16:17] offset:1024
	flat_load_dword v34, v[16:17] offset:2048
	;; [unrolled: 1-line block ×3, first 2 shown]
	flat_load_dword v36, v[14:15]
	flat_load_dword v37, v[14:15] offset:1024
	s_waitcnt vmcnt(0)
	v_cmp_ne_u32_e32 vcc, v8, v2
	v_cndmask_b32_e64 v39, 0, 1, vcc
	v_cmp_ne_u32_e32 vcc, v5, v10
	v_cndmask_b32_e64 v9, 0, 1, vcc
	v_cmp_ne_u32_e32 vcc, v4, v5
	v_cmp_ne_u32_e64 s[16:17], v6, v7
	v_cndmask_b32_e64 v7, 0, 1, vcc
	v_cmp_ne_u32_e32 vcc, v3, v4
	v_cndmask_b32_e64 v5, 0, 1, vcc
	v_cmp_ne_u32_e32 vcc, v2, v3
	;; [unrolled: 2-line block ×10, first 2 shown]
	v_cndmask_b32_e64 v19, 0, 1, vcc
	s_mov_b64 s[18:19], -1
                                        ; implicit-def: $sgpr12_sgpr13
	s_waitcnt lgkmcnt(0)
	ds_write2st64_b32 v50, v22, v24 offset1:4
	ds_write2st64_b32 v50, v26, v27 offset0:8 offset1:12
	ds_write2st64_b32 v50, v28, v29 offset0:16 offset1:20
	;; [unrolled: 1-line block ×6, first 2 shown]
	s_waitcnt lgkmcnt(0)
	s_barrier
	ds_read2_b32 v[42:43], v1 offset1:13
	ds_read2_b32 v[26:27], v1 offset0:7 offset1:8
	ds_read2_b32 v[28:29], v1 offset0:5 offset1:6
	;; [unrolled: 1-line block ×6, first 2 shown]
	s_waitcnt lgkmcnt(6)
	v_mov_b32_e32 v38, v42
	s_waitcnt lgkmcnt(4)
	v_mov_b32_e32 v10, v28
	s_waitcnt lgkmcnt(3)
	v_mov_b32_e32 v6, v30
	s_waitcnt lgkmcnt(2)
	v_mov_b32_e32 v2, v32
	v_mov_b32_e32 v4, v33
	v_mov_b32_e32 v8, v31
	;; [unrolled: 1-line block ×5, first 2 shown]
	s_waitcnt lgkmcnt(0)
	v_mov_b32_e32 v18, v36
	v_mov_b32_e32 v20, v37
	;; [unrolled: 1-line block ×4, first 2 shown]
.LBB39_90:
	v_pk_mov_b32 v[40:41], s[12:13], s[12:13] op_sel:[0,1]
	s_and_saveexec_b64 s[4:5], s[18:19]
	s_cbranch_execz .LBB39_92
; %bb.91:
	v_cndmask_b32_e64 v41, 0, 1, s[16:17]
	s_waitcnt lgkmcnt(0)
	v_mov_b32_e32 v40, v43
.LBB39_92:
	s_or_b64 exec, exec, s[4:5]
	s_mov_b32 s4, 0
	s_cmp_lg_u32 s59, 0
	v_mbcnt_lo_u32_b32 v52, -1, 0
	v_lshrrev_b32_e32 v1, 6, v0
	v_or_b32_e32 v51, 63, v0
	s_waitcnt lgkmcnt(0)
	s_barrier
	s_cbranch_scc0 .LBB39_121
; %bb.93:
	s_mov_b32 s5, 1
	v_cmp_gt_u64_e64 s[6:7], s[4:5], v[2:3]
	v_cndmask_b32_e64 v27, 0, v38, s[6:7]
	v_add_u32_e32 v27, v27, v2
	v_cmp_gt_u64_e64 s[8:9], s[4:5], v[4:5]
	v_cndmask_b32_e64 v27, 0, v27, s[8:9]
	v_add_u32_e32 v27, v27, v4
	;; [unrolled: 3-line block ×13, first 2 shown]
	v_or3_b32 v27, v41, v25, v23
	v_or3_b32 v27, v27, v21, v19
	;; [unrolled: 1-line block ×6, first 2 shown]
	v_mov_b32_e32 v26, 0
	v_and_b32_e32 v27, 1, v27
	v_cmp_eq_u64_e32 vcc, 0, v[26:27]
	v_cndmask_b32_e32 v26, 1, v39, vcc
	v_mbcnt_hi_u32_b32 v46, -1, v52
	v_mov_b32_dpp v29, v28 row_shr:1 row_mask:0xf bank_mask:0xf
	v_mov_b32_dpp v30, v26 row_shr:1 row_mask:0xf bank_mask:0xf
	v_cmp_eq_u32_e32 vcc, 0, v26
	v_and_b32_e32 v31, 1, v26
	v_and_b32_e32 v27, 15, v46
	v_cndmask_b32_e32 v29, 0, v29, vcc
	v_and_b32_e32 v30, 1, v30
	v_cmp_eq_u32_e32 vcc, 1, v31
	v_cndmask_b32_e64 v30, v30, 1, vcc
	v_cmp_eq_u32_e32 vcc, 0, v27
	v_cndmask_b32_e32 v26, v30, v26, vcc
	v_and_b32_e32 v31, 1, v26
	v_cmp_eq_u32_e64 s[4:5], 1, v31
	v_mov_b32_dpp v30, v26 row_shr:2 row_mask:0xf bank_mask:0xf
	v_and_b32_e32 v30, 1, v30
	v_cndmask_b32_e64 v30, v30, 1, s[4:5]
	v_cmp_lt_u32_e64 s[4:5], 1, v27
	v_cndmask_b32_e64 v29, v29, 0, vcc
	v_cmp_eq_u32_e32 vcc, 0, v26
	v_cndmask_b32_e64 v26, v26, v30, s[4:5]
	v_add_u32_e32 v28, v29, v28
	v_and_b32_e32 v31, 1, v26
	v_mov_b32_dpp v30, v26 row_shr:4 row_mask:0xf bank_mask:0xf
	v_mov_b32_dpp v29, v28 row_shr:2 row_mask:0xf bank_mask:0xf
	s_and_b64 vcc, s[4:5], vcc
	v_and_b32_e32 v30, 1, v30
	v_cmp_eq_u32_e64 s[4:5], 1, v31
	v_cndmask_b32_e32 v29, 0, v29, vcc
	v_cndmask_b32_e64 v30, v30, 1, s[4:5]
	v_cmp_lt_u32_e64 s[4:5], 3, v27
	v_add_u32_e32 v28, v29, v28
	v_cmp_eq_u32_e32 vcc, 0, v26
	v_cndmask_b32_e64 v26, v26, v30, s[4:5]
	v_mov_b32_dpp v29, v28 row_shr:4 row_mask:0xf bank_mask:0xf
	s_and_b64 vcc, s[4:5], vcc
	v_mov_b32_dpp v30, v26 row_shr:8 row_mask:0xf bank_mask:0xf
	v_and_b32_e32 v31, 1, v26
	v_cndmask_b32_e32 v29, 0, v29, vcc
	v_and_b32_e32 v30, 1, v30
	v_cmp_eq_u32_e64 s[4:5], 1, v31
	v_add_u32_e32 v28, v29, v28
	v_cmp_eq_u32_e32 vcc, 0, v26
	v_cndmask_b32_e64 v30, v30, 1, s[4:5]
	v_cmp_lt_u32_e64 s[4:5], 7, v27
	v_mov_b32_dpp v29, v28 row_shr:8 row_mask:0xf bank_mask:0xf
	s_and_b64 vcc, s[4:5], vcc
	v_cndmask_b32_e32 v27, 0, v29, vcc
	v_cndmask_b32_e64 v26, v26, v30, s[4:5]
	v_add_u32_e32 v27, v27, v28
	v_cmp_eq_u32_e32 vcc, 0, v26
	v_mov_b32_dpp v29, v26 row_bcast:15 row_mask:0xf bank_mask:0xf
	v_mov_b32_dpp v28, v27 row_bcast:15 row_mask:0xf bank_mask:0xf
	v_and_b32_e32 v32, 1, v26
	v_and_b32_e32 v31, 16, v46
	v_cndmask_b32_e32 v28, 0, v28, vcc
	v_and_b32_e32 v29, 1, v29
	v_cmp_eq_u32_e32 vcc, 1, v32
	v_bfe_i32 v30, v46, 4, 1
	v_cndmask_b32_e64 v29, v29, 1, vcc
	v_cmp_eq_u32_e32 vcc, 0, v31
	v_and_b32_e32 v28, v30, v28
	v_cndmask_b32_e32 v26, v29, v26, vcc
	v_add_u32_e32 v27, v28, v27
	v_and_b32_e32 v30, 1, v26
	v_mov_b32_dpp v28, v26 row_bcast:31 row_mask:0xf bank_mask:0xf
	v_and_b32_e32 v28, 1, v28
	v_cmp_eq_u32_e64 s[4:5], 1, v30
	v_cmp_eq_u32_e32 vcc, 0, v26
	v_cndmask_b32_e64 v28, v28, 1, s[4:5]
	v_cmp_lt_u32_e64 s[4:5], 31, v46
	v_mov_b32_dpp v29, v27 row_bcast:31 row_mask:0xf bank_mask:0xf
	s_and_b64 vcc, s[4:5], vcc
	v_cndmask_b32_e64 v28, v26, v28, s[4:5]
	v_cndmask_b32_e32 v26, 0, v29, vcc
	v_add_u32_e32 v29, v26, v27
	v_cmp_eq_u32_e32 vcc, v51, v0
	s_and_saveexec_b64 s[4:5], vcc
	s_cbranch_execz .LBB39_95
; %bb.94:
	v_lshlrev_b32_e32 v26, 3, v1
	ds_write_b32 v26, v29
	ds_write_b8 v26, v28 offset:4
.LBB39_95:
	s_or_b64 exec, exec, s[4:5]
	v_cmp_gt_u32_e32 vcc, 4, v0
	s_waitcnt lgkmcnt(0)
	s_barrier
	s_and_saveexec_b64 s[4:5], vcc
	s_cbranch_execz .LBB39_99
; %bb.96:
	v_lshlrev_b32_e32 v30, 3, v0
	ds_read_b64 v[26:27], v30
	v_and_b32_e32 v31, 3, v46
	v_cmp_ne_u32_e32 vcc, 0, v31
	s_waitcnt lgkmcnt(0)
	v_mov_b32_dpp v32, v26 row_shr:1 row_mask:0xf bank_mask:0xf
	v_mov_b32_dpp v34, v27 row_shr:1 row_mask:0xf bank_mask:0xf
	v_mov_b32_e32 v33, v27
	s_and_saveexec_b64 s[34:35], vcc
	s_cbranch_execz .LBB39_98
; %bb.97:
	v_and_b32_e32 v33, 1, v27
	v_and_b32_e32 v34, 1, v34
	v_cmp_eq_u32_e32 vcc, 1, v33
	v_mov_b32_e32 v33, 0
	v_cndmask_b32_e64 v34, v34, 1, vcc
	v_cmp_eq_u16_sdwa vcc, v27, v33 src0_sel:BYTE_0 src1_sel:DWORD
	v_cndmask_b32_e32 v32, 0, v32, vcc
	v_add_u32_e32 v26, v32, v26
	v_and_b32_e32 v32, 0xffff, v34
	s_movk_i32 s42, 0xff00
	v_and_or_b32 v33, v27, s42, v32
	v_mov_b32_e32 v27, v34
.LBB39_98:
	s_or_b64 exec, exec, s[34:35]
	v_mov_b32_dpp v33, v33 row_shr:2 row_mask:0xf bank_mask:0xf
	v_and_b32_e32 v34, 1, v27
	v_and_b32_e32 v33, 1, v33
	v_cmp_eq_u32_e32 vcc, 1, v34
	v_mov_b32_e32 v34, 0
	v_cndmask_b32_e64 v33, v33, 1, vcc
	v_cmp_eq_u16_sdwa s[34:35], v27, v34 src0_sel:BYTE_0 src1_sel:DWORD
	v_cmp_lt_u32_e32 vcc, 1, v31
	v_mov_b32_dpp v32, v26 row_shr:2 row_mask:0xf bank_mask:0xf
	v_cndmask_b32_e32 v27, v27, v33, vcc
	s_and_b64 vcc, vcc, s[34:35]
	v_cndmask_b32_e32 v31, 0, v32, vcc
	v_add_u32_e32 v26, v31, v26
	ds_write_b32 v30, v26
	ds_write_b8 v30, v27 offset:4
.LBB39_99:
	s_or_b64 exec, exec, s[4:5]
	v_cmp_gt_u32_e32 vcc, 64, v0
	v_cmp_lt_u32_e64 s[4:5], 63, v0
	v_mov_b32_e32 v42, 0
	v_mov_b32_e32 v43, 0
	s_waitcnt lgkmcnt(0)
	s_barrier
	s_and_saveexec_b64 s[34:35], s[4:5]
	s_cbranch_execz .LBB39_101
; %bb.100:
	v_lshl_add_u32 v26, v1, 3, -8
	ds_read_b32 v42, v26
	ds_read_u8 v43, v26 offset:4
	v_and_b32_e32 v27, 1, v28
	v_cmp_eq_u32_e64 s[4:5], 0, v28
	s_waitcnt lgkmcnt(1)
	v_cndmask_b32_e64 v26, 0, v42, s[4:5]
	v_cmp_eq_u32_e64 s[4:5], 1, v27
	v_add_u32_e32 v29, v26, v29
	s_waitcnt lgkmcnt(0)
	v_cndmask_b32_e64 v28, v43, 1, s[4:5]
.LBB39_101:
	s_or_b64 exec, exec, s[34:35]
	v_add_u32_e32 v26, -1, v46
	v_and_b32_e32 v27, 64, v46
	v_cmp_lt_i32_e64 s[4:5], v26, v27
	v_cndmask_b32_e64 v26, v26, v46, s[4:5]
	v_lshlrev_b32_e32 v26, 2, v26
	ds_bpermute_b32 v44, v26, v29
	ds_bpermute_b32 v45, v26, v28
	v_cmp_eq_u32_e64 s[34:35], 0, v46
	s_and_saveexec_b64 s[42:43], vcc
	s_cbranch_execz .LBB39_120
; %bb.102:
	v_mov_b32_e32 v29, 0
	ds_read_b64 v[26:27], v29 offset:24
	s_waitcnt lgkmcnt(0)
	v_readfirstlane_b32 s52, v27
	s_and_saveexec_b64 s[4:5], s[34:35]
	s_cbranch_execz .LBB39_104
; %bb.103:
	s_add_i32 s44, s59, 64
	s_mov_b32 s45, 0
	s_lshl_b64 s[48:49], s[44:45], 4
	s_add_u32 s48, s56, s48
	s_addc_u32 s49, s57, s49
	s_and_b32 s55, s52, 0xff000000
	s_mov_b32 s54, s45
	s_and_b32 s63, s52, 0xff0000
	s_mov_b32 s62, s45
	s_or_b64 s[54:55], s[62:63], s[54:55]
	s_and_b32 s63, s52, 0xff00
	s_or_b64 s[54:55], s[54:55], s[62:63]
	s_and_b32 s63, s52, 0xff
	s_or_b64 s[44:45], s[54:55], s[62:63]
	v_mov_b32_e32 v27, s45
	v_mov_b32_e32 v28, 1
	v_pk_mov_b32 v[30:31], s[48:49], s[48:49] op_sel:[0,1]
	;;#ASMSTART
	global_store_dwordx4 v[30:31], v[26:29] off	
s_waitcnt vmcnt(0)
	;;#ASMEND
.LBB39_104:
	s_or_b64 exec, exec, s[4:5]
	v_xad_u32 v34, v46, -1, s59
	v_add_u32_e32 v28, 64, v34
	v_lshlrev_b64 v[30:31], 4, v[28:29]
	v_mov_b32_e32 v27, s57
	v_add_co_u32_e32 v36, vcc, s56, v30
	v_addc_co_u32_e32 v37, vcc, v27, v31, vcc
	;;#ASMSTART
	global_load_dwordx4 v[30:33], v[36:37] off glc	
s_waitcnt vmcnt(0)
	;;#ASMEND
	v_and_b32_e32 v27, 0xff0000, v30
	v_or_b32_sdwa v27, v30, v27 dst_sel:DWORD dst_unused:UNUSED_PAD src0_sel:WORD_0 src1_sel:DWORD
	v_and_b32_e32 v28, 0xff000000, v30
	v_and_b32_e32 v30, 0xff, v31
	v_or3_b32 v31, 0, 0, v30
	v_or3_b32 v30, v27, v28, 0
	v_cmp_eq_u16_sdwa s[44:45], v32, v29 src0_sel:BYTE_0 src1_sel:DWORD
	s_and_saveexec_b64 s[4:5], s[44:45]
	s_cbranch_execz .LBB39_108
; %bb.105:
	s_mov_b64 s[44:45], 0
	v_mov_b32_e32 v27, 0
.LBB39_106:                             ; =>This Inner Loop Header: Depth=1
	;;#ASMSTART
	global_load_dwordx4 v[30:33], v[36:37] off glc	
s_waitcnt vmcnt(0)
	;;#ASMEND
	v_cmp_ne_u16_sdwa s[48:49], v32, v27 src0_sel:BYTE_0 src1_sel:DWORD
	s_or_b64 s[44:45], s[48:49], s[44:45]
	s_andn2_b64 exec, exec, s[44:45]
	s_cbranch_execnz .LBB39_106
; %bb.107:
	s_or_b64 exec, exec, s[44:45]
	v_and_b32_e32 v31, 0xff, v31
.LBB39_108:
	s_or_b64 exec, exec, s[4:5]
	v_mov_b32_e32 v27, 2
	v_cmp_eq_u16_sdwa s[4:5], v32, v27 src0_sel:BYTE_0 src1_sel:DWORD
	v_lshlrev_b64 v[28:29], v46, -1
	v_and_b32_e32 v33, s5, v29
	v_or_b32_e32 v33, 0x80000000, v33
	v_and_b32_e32 v35, s4, v28
	v_ffbl_b32_e32 v33, v33
	v_and_b32_e32 v47, 63, v46
	v_add_u32_e32 v33, 32, v33
	v_ffbl_b32_e32 v35, v35
	v_cmp_ne_u32_e32 vcc, 63, v47
	v_min_u32_e32 v33, v35, v33
	v_addc_co_u32_e32 v35, vcc, 0, v46, vcc
	v_lshlrev_b32_e32 v48, 2, v35
	ds_bpermute_b32 v35, v48, v31
	ds_bpermute_b32 v36, v48, v30
	s_mov_b32 s44, 0
	v_and_b32_e32 v37, 1, v31
	s_mov_b32 s45, 1
	s_waitcnt lgkmcnt(1)
	v_and_b32_e32 v35, 1, v35
	v_cmp_eq_u32_e32 vcc, 1, v37
	v_cndmask_b32_e64 v35, v35, 1, vcc
	v_cmp_gt_u64_e32 vcc, s[44:45], v[30:31]
	v_cmp_lt_u32_e64 s[4:5], v47, v33
	s_and_b64 vcc, s[4:5], vcc
	v_and_b32_e32 v37, 0xffff, v35
	v_cndmask_b32_e64 v54, v31, v35, s[4:5]
	s_waitcnt lgkmcnt(0)
	v_cndmask_b32_e32 v35, 0, v36, vcc
	v_cmp_gt_u32_e32 vcc, 62, v47
	v_cndmask_b32_e64 v36, 0, 1, vcc
	v_lshlrev_b32_e32 v36, 1, v36
	v_cndmask_b32_e64 v31, v31, v37, s[4:5]
	v_add_lshl_u32 v49, v36, v46, 2
	ds_bpermute_b32 v36, v49, v31
	v_add_u32_e32 v30, v35, v30
	ds_bpermute_b32 v37, v49, v30
	v_and_b32_e32 v35, 1, v54
	v_cmp_eq_u32_e32 vcc, 1, v35
	s_waitcnt lgkmcnt(1)
	v_and_b32_e32 v36, 1, v36
	v_mov_b32_e32 v35, 0
	v_add_u32_e32 v53, 2, v47
	v_cndmask_b32_e64 v36, v36, 1, vcc
	v_cmp_eq_u16_sdwa vcc, v54, v35 src0_sel:BYTE_0 src1_sel:DWORD
	v_and_b32_e32 v55, 0xffff, v36
	s_waitcnt lgkmcnt(0)
	v_cndmask_b32_e32 v37, 0, v37, vcc
	v_cmp_gt_u32_e32 vcc, v53, v33
	v_cndmask_b32_e32 v36, v36, v54, vcc
	v_cndmask_b32_e64 v37, v37, 0, vcc
	v_cndmask_b32_e32 v31, v55, v31, vcc
	v_cmp_gt_u32_e32 vcc, 60, v47
	v_cndmask_b32_e64 v54, 0, 1, vcc
	v_lshlrev_b32_e32 v54, 2, v54
	v_add_lshl_u32 v54, v54, v46, 2
	ds_bpermute_b32 v56, v54, v31
	v_add_u32_e32 v30, v37, v30
	ds_bpermute_b32 v37, v54, v30
	v_and_b32_e32 v57, 1, v36
	v_cmp_eq_u32_e32 vcc, 1, v57
	s_waitcnt lgkmcnt(1)
	v_and_b32_e32 v56, 1, v56
	v_add_u32_e32 v55, 4, v47
	v_cndmask_b32_e64 v56, v56, 1, vcc
	v_cmp_eq_u16_sdwa vcc, v36, v35 src0_sel:BYTE_0 src1_sel:DWORD
	v_and_b32_e32 v57, 0xffff, v56
	s_waitcnt lgkmcnt(0)
	v_cndmask_b32_e32 v37, 0, v37, vcc
	v_cmp_gt_u32_e32 vcc, v55, v33
	v_cndmask_b32_e32 v36, v56, v36, vcc
	v_cndmask_b32_e64 v37, v37, 0, vcc
	v_cndmask_b32_e32 v31, v57, v31, vcc
	v_cmp_gt_u32_e32 vcc, 56, v47
	v_cndmask_b32_e64 v56, 0, 1, vcc
	v_lshlrev_b32_e32 v56, 3, v56
	v_add_lshl_u32 v56, v56, v46, 2
	ds_bpermute_b32 v58, v56, v31
	v_add_u32_e32 v30, v37, v30
	ds_bpermute_b32 v37, v56, v30
	v_and_b32_e32 v59, 1, v36
	v_cmp_eq_u32_e32 vcc, 1, v59
	s_waitcnt lgkmcnt(1)
	v_and_b32_e32 v58, 1, v58
	;; [unrolled: 21-line block ×4, first 2 shown]
	v_add_u32_e32 v62, 32, v47
	v_cndmask_b32_e64 v31, v31, 1, vcc
	v_cmp_eq_u16_sdwa vcc, v36, v35 src0_sel:BYTE_0 src1_sel:DWORD
	s_waitcnt lgkmcnt(0)
	v_cndmask_b32_e32 v37, 0, v37, vcc
	v_cmp_gt_u32_e32 vcc, v62, v33
	v_cndmask_b32_e64 v33, v37, 0, vcc
	v_cndmask_b32_e32 v31, v31, v36, vcc
	v_add_u32_e32 v30, v33, v30
	s_branch .LBB39_110
.LBB39_109:                             ;   in Loop: Header=BB39_110 Depth=1
	s_or_b64 exec, exec, s[4:5]
	v_cmp_eq_u16_sdwa s[4:5], v32, v27 src0_sel:BYTE_0 src1_sel:DWORD
	v_and_b32_e32 v33, s5, v29
	ds_bpermute_b32 v37, v48, v31
	v_or_b32_e32 v33, 0x80000000, v33
	v_and_b32_e32 v36, s4, v28
	v_ffbl_b32_e32 v33, v33
	v_add_u32_e32 v33, 32, v33
	v_ffbl_b32_e32 v36, v36
	v_min_u32_e32 v33, v36, v33
	ds_bpermute_b32 v36, v48, v30
	v_and_b32_e32 v63, 1, v31
	s_waitcnt lgkmcnt(1)
	v_and_b32_e32 v37, 1, v37
	v_cmp_eq_u32_e32 vcc, 1, v63
	v_cndmask_b32_e64 v37, v37, 1, vcc
	v_cmp_gt_u64_e32 vcc, s[44:45], v[30:31]
	v_and_b32_e32 v63, 0xffff, v37
	v_cmp_lt_u32_e64 s[4:5], v47, v33
	v_cndmask_b32_e64 v37, v31, v37, s[4:5]
	v_cndmask_b32_e64 v31, v31, v63, s[4:5]
	s_and_b64 vcc, s[4:5], vcc
	ds_bpermute_b32 v63, v49, v31
	s_waitcnt lgkmcnt(1)
	v_cndmask_b32_e32 v36, 0, v36, vcc
	v_add_u32_e32 v30, v36, v30
	ds_bpermute_b32 v36, v49, v30
	v_and_b32_e32 v64, 1, v37
	s_waitcnt lgkmcnt(1)
	v_and_b32_e32 v63, 1, v63
	v_cmp_eq_u32_e32 vcc, 1, v64
	v_cndmask_b32_e64 v63, v63, 1, vcc
	v_cmp_eq_u16_sdwa vcc, v37, v35 src0_sel:BYTE_0 src1_sel:DWORD
	v_and_b32_e32 v64, 0xffff, v63
	s_waitcnt lgkmcnt(0)
	v_cndmask_b32_e32 v36, 0, v36, vcc
	v_cmp_gt_u32_e32 vcc, v53, v33
	v_cndmask_b32_e32 v31, v64, v31, vcc
	v_cndmask_b32_e32 v37, v63, v37, vcc
	ds_bpermute_b32 v63, v54, v31
	v_cndmask_b32_e64 v36, v36, 0, vcc
	v_add_u32_e32 v30, v36, v30
	ds_bpermute_b32 v36, v54, v30
	v_and_b32_e32 v64, 1, v37
	s_waitcnt lgkmcnt(1)
	v_and_b32_e32 v63, 1, v63
	v_cmp_eq_u32_e32 vcc, 1, v64
	v_cndmask_b32_e64 v63, v63, 1, vcc
	v_cmp_eq_u16_sdwa vcc, v37, v35 src0_sel:BYTE_0 src1_sel:DWORD
	v_and_b32_e32 v64, 0xffff, v63
	s_waitcnt lgkmcnt(0)
	v_cndmask_b32_e32 v36, 0, v36, vcc
	v_cmp_gt_u32_e32 vcc, v55, v33
	v_cndmask_b32_e32 v31, v64, v31, vcc
	v_cndmask_b32_e32 v37, v63, v37, vcc
	ds_bpermute_b32 v63, v56, v31
	v_cndmask_b32_e64 v36, v36, 0, vcc
	v_add_u32_e32 v30, v36, v30
	ds_bpermute_b32 v36, v56, v30
	v_and_b32_e32 v64, 1, v37
	s_waitcnt lgkmcnt(1)
	v_and_b32_e32 v63, 1, v63
	v_cmp_eq_u32_e32 vcc, 1, v64
	v_cndmask_b32_e64 v63, v63, 1, vcc
	v_cmp_eq_u16_sdwa vcc, v37, v35 src0_sel:BYTE_0 src1_sel:DWORD
	v_and_b32_e32 v64, 0xffff, v63
	s_waitcnt lgkmcnt(0)
	v_cndmask_b32_e32 v36, 0, v36, vcc
	v_cmp_gt_u32_e32 vcc, v57, v33
	v_cndmask_b32_e32 v31, v64, v31, vcc
	v_cndmask_b32_e32 v37, v63, v37, vcc
	ds_bpermute_b32 v63, v58, v31
	v_cndmask_b32_e64 v36, v36, 0, vcc
	v_add_u32_e32 v30, v36, v30
	ds_bpermute_b32 v36, v58, v30
	v_and_b32_e32 v64, 1, v37
	s_waitcnt lgkmcnt(1)
	v_and_b32_e32 v63, 1, v63
	v_cmp_eq_u32_e32 vcc, 1, v64
	v_cndmask_b32_e64 v63, v63, 1, vcc
	v_cmp_eq_u16_sdwa vcc, v37, v35 src0_sel:BYTE_0 src1_sel:DWORD
	v_and_b32_e32 v64, 0xffff, v63
	s_waitcnt lgkmcnt(0)
	v_cndmask_b32_e32 v36, 0, v36, vcc
	v_cmp_gt_u32_e32 vcc, v59, v33
	v_cndmask_b32_e64 v36, v36, 0, vcc
	v_cndmask_b32_e32 v31, v64, v31, vcc
	ds_bpermute_b32 v31, v61, v31
	v_add_u32_e32 v30, v36, v30
	ds_bpermute_b32 v36, v61, v30
	v_cndmask_b32_e32 v37, v63, v37, vcc
	v_and_b32_e32 v63, 1, v37
	v_cmp_eq_u32_e32 vcc, 1, v63
	s_waitcnt lgkmcnt(1)
	v_cndmask_b32_e64 v31, v31, 1, vcc
	v_cmp_eq_u16_sdwa vcc, v37, v35 src0_sel:BYTE_0 src1_sel:DWORD
	s_waitcnt lgkmcnt(0)
	v_cndmask_b32_e32 v36, 0, v36, vcc
	v_cmp_gt_u32_e32 vcc, v62, v33
	v_cndmask_b32_e64 v33, v36, 0, vcc
	v_cndmask_b32_e32 v31, v31, v37, vcc
	v_add_u32_e32 v30, v33, v30
	v_cmp_eq_u16_sdwa vcc, v46, v35 src0_sel:BYTE_0 src1_sel:DWORD
	v_and_b32_e32 v33, 1, v46
	v_cndmask_b32_e32 v30, 0, v30, vcc
	v_and_b32_e32 v31, 1, v31
	v_cmp_eq_u32_e32 vcc, 1, v33
	v_subrev_u32_e32 v34, 64, v34
	v_add_u32_e32 v30, v30, v60
	v_cndmask_b32_e64 v31, v31, 1, vcc
.LBB39_110:                             ; =>This Loop Header: Depth=1
                                        ;     Child Loop BB39_113 Depth 2
	v_cmp_ne_u16_sdwa s[4:5], v32, v27 src0_sel:BYTE_0 src1_sel:DWORD
	v_mov_b32_e32 v46, v31
	v_cndmask_b32_e64 v31, 0, 1, s[4:5]
	;;#ASMSTART
	;;#ASMEND
	v_cmp_ne_u32_e32 vcc, 0, v31
	s_cmp_lg_u64 vcc, exec
	v_mov_b32_e32 v60, v30
	s_cbranch_scc1 .LBB39_115
; %bb.111:                              ;   in Loop: Header=BB39_110 Depth=1
	v_lshlrev_b64 v[30:31], 4, v[34:35]
	v_mov_b32_e32 v32, s57
	v_add_co_u32_e32 v36, vcc, s56, v30
	v_addc_co_u32_e32 v37, vcc, v32, v31, vcc
	;;#ASMSTART
	global_load_dwordx4 v[30:33], v[36:37] off glc	
s_waitcnt vmcnt(0)
	;;#ASMEND
	v_and_b32_e32 v33, 0xff0000, v30
	v_or_b32_sdwa v33, v30, v33 dst_sel:DWORD dst_unused:UNUSED_PAD src0_sel:WORD_0 src1_sel:DWORD
	v_and_b32_e32 v30, 0xff000000, v30
	v_and_b32_e32 v31, 0xff, v31
	v_or3_b32 v31, 0, 0, v31
	v_or3_b32 v30, v33, v30, 0
	v_cmp_eq_u16_sdwa s[48:49], v32, v35 src0_sel:BYTE_0 src1_sel:DWORD
	s_and_saveexec_b64 s[4:5], s[48:49]
	s_cbranch_execz .LBB39_109
; %bb.112:                              ;   in Loop: Header=BB39_110 Depth=1
	s_mov_b64 s[48:49], 0
.LBB39_113:                             ;   Parent Loop BB39_110 Depth=1
                                        ; =>  This Inner Loop Header: Depth=2
	;;#ASMSTART
	global_load_dwordx4 v[30:33], v[36:37] off glc	
s_waitcnt vmcnt(0)
	;;#ASMEND
	v_cmp_ne_u16_sdwa s[54:55], v32, v35 src0_sel:BYTE_0 src1_sel:DWORD
	s_or_b64 s[48:49], s[54:55], s[48:49]
	s_andn2_b64 exec, exec, s[48:49]
	s_cbranch_execnz .LBB39_113
; %bb.114:                              ;   in Loop: Header=BB39_110 Depth=1
	s_or_b64 exec, exec, s[48:49]
	v_and_b32_e32 v31, 0xff, v31
	s_branch .LBB39_109
.LBB39_115:                             ;   in Loop: Header=BB39_110 Depth=1
                                        ; implicit-def: $vgpr31
                                        ; implicit-def: $vgpr30
                                        ; implicit-def: $vgpr32
	s_cbranch_execz .LBB39_110
; %bb.116:
	s_and_saveexec_b64 s[4:5], s[34:35]
	s_cbranch_execz .LBB39_118
; %bb.117:
	s_and_b32 s44, s52, 0xff
	s_cmp_eq_u32 s44, 0
	s_cselect_b64 vcc, -1, 0
	s_bitcmp1_b32 s52, 0
	s_mov_b32 s45, 0
	s_cselect_b64 s[48:49], -1, 0
	s_add_i32 s44, s59, 64
	s_lshl_b64 s[44:45], s[44:45], 4
	v_cndmask_b32_e32 v27, 0, v60, vcc
	s_add_u32 s44, s56, s44
	v_add_u32_e32 v26, v27, v26
	v_and_b32_e32 v27, 1, v46
	s_addc_u32 s45, s57, s45
	v_mov_b32_e32 v29, 0
	v_cndmask_b32_e64 v27, v27, 1, s[48:49]
	v_mov_b32_e32 v28, 2
	v_pk_mov_b32 v[30:31], s[44:45], s[44:45] op_sel:[0,1]
	;;#ASMSTART
	global_store_dwordx4 v[30:31], v[26:29] off	
s_waitcnt vmcnt(0)
	;;#ASMEND
.LBB39_118:
	s_or_b64 exec, exec, s[4:5]
	s_and_b64 exec, exec, s[0:1]
	s_cbranch_execz .LBB39_120
; %bb.119:
	v_mov_b32_e32 v26, 0
	ds_write_b32 v26, v60 offset:24
	ds_write_b8 v26, v46 offset:28
.LBB39_120:
	s_or_b64 exec, exec, s[42:43]
	s_mov_b32 s4, 0
	v_mov_b32_e32 v28, 0
	s_mov_b32 s5, 1
	s_waitcnt lgkmcnt(0)
	v_cndmask_b32_e64 v26, v45, v43, s[34:35]
	v_cndmask_b32_e64 v27, v44, v42, s[34:35]
	s_barrier
	ds_read_b32 v29, v28 offset:24
	v_cmp_gt_u64_e32 vcc, s[4:5], v[38:39]
	v_and_b32_e32 v30, 1, v39
	v_cndmask_b32_e32 v27, 0, v27, vcc
	v_and_b32_e32 v26, 1, v26
	v_cmp_eq_u32_e32 vcc, 1, v30
	v_cndmask_b32_e64 v26, v26, 1, vcc
	v_cndmask_b32_e64 v26, v26, v39, s[0:1]
	v_cmp_eq_u16_sdwa vcc, v26, v28 src0_sel:BYTE_0 src1_sel:DWORD
	v_cndmask_b32_e64 v27, v27, 0, s[0:1]
	s_waitcnt lgkmcnt(0)
	v_cndmask_b32_e32 v26, 0, v29, vcc
	v_add3_u32 v26, v27, v38, v26
	v_cndmask_b32_e64 v27, 0, v26, s[6:7]
	v_add_u32_e32 v27, v27, v2
	v_cndmask_b32_e64 v28, 0, v27, s[8:9]
	v_add_u32_e32 v42, v28, v4
	;; [unrolled: 2-line block ×13, first 2 shown]
	s_branch .LBB39_137
.LBB39_121:
                                        ; implicit-def: $vgpr49
                                        ; implicit-def: $vgpr47
                                        ; implicit-def: $vgpr45
                                        ; implicit-def: $vgpr43
                                        ; implicit-def: $vgpr34_vgpr35_vgpr36_vgpr37
                                        ; implicit-def: $vgpr30_vgpr31_vgpr32_vgpr33
                                        ; implicit-def: $vgpr26_vgpr27_vgpr28_vgpr29
	s_cbranch_execz .LBB39_137
; %bb.122:
	s_cmp_lg_u64 s[60:61], 0
	s_cselect_b32 s9, s51, 0
	s_cselect_b32 s8, s50, 0
	s_cmp_lg_u64 s[8:9], 0
	s_cselect_b64 s[6:7], -1, 0
	s_mov_b32 s4, 0
	s_and_b64 s[10:11], s[0:1], s[6:7]
	s_and_saveexec_b64 s[6:7], s[10:11]
	s_cbranch_execz .LBB39_124
; %bb.123:
	v_mov_b32_e32 v26, 0
	global_load_dword v28, v26, s[8:9]
	global_load_ubyte v29, v26, s[8:9] offset:4
	s_mov_b32 s5, 1
	v_and_b32_e32 v27, 1, v39
	v_cmp_gt_u64_e32 vcc, s[4:5], v[38:39]
	s_waitcnt vmcnt(1)
	v_cndmask_b32_e32 v28, 0, v28, vcc
	s_waitcnt vmcnt(0)
	v_and_b32_e32 v29, 1, v29
	v_cmp_eq_u64_e32 vcc, 0, v[26:27]
	v_add_u32_e32 v38, v28, v38
	v_cndmask_b32_e32 v39, 1, v29, vcc
.LBB39_124:
	s_or_b64 exec, exec, s[6:7]
	s_mov_b32 s5, 1
	v_cmp_gt_u64_e32 vcc, s[4:5], v[2:3]
	v_cndmask_b32_e32 v26, 0, v38, vcc
	v_add_u32_e32 v27, v26, v2
	v_cmp_gt_u64_e64 s[6:7], s[4:5], v[4:5]
	v_cndmask_b32_e64 v26, 0, v27, s[6:7]
	v_add_u32_e32 v42, v26, v4
	v_cmp_gt_u64_e64 s[8:9], s[4:5], v[6:7]
	v_cndmask_b32_e64 v26, 0, v42, s[8:9]
	;; [unrolled: 3-line block ×6, first 2 shown]
	v_add_u32_e32 v45, v26, v14
	v_cmp_gt_u64_e64 s[18:19], s[4:5], v[16:17]
	v_mov_b32_e32 v28, 0
	v_cndmask_b32_e64 v26, 0, v45, s[18:19]
	v_or3_b32 v7, v23, v15, v7
	v_add_u32_e32 v34, v26, v16
	v_cmp_gt_u64_e64 s[20:21], s[4:5], v[18:19]
	v_or3_b32 v9, v25, v17, v9
	v_and_b32_e32 v55, 1, v7
	v_mov_b32_e32 v54, v28
	v_cndmask_b32_e64 v26, 0, v34, s[20:21]
	v_or3_b32 v3, v19, v11, v3
	v_and_b32_e32 v37, 1, v9
	v_mov_b32_e32 v36, v28
	v_cmp_ne_u64_e64 s[30:31], 0, v[54:55]
	v_add_u32_e32 v35, v26, v18
	v_cmp_gt_u64_e64 s[22:23], s[4:5], v[20:21]
	v_or3_b32 v5, v21, v13, v5
	v_and_b32_e32 v29, 1, v3
	v_cndmask_b32_e64 v3, 0, 1, s[30:31]
	v_cmp_ne_u64_e64 s[30:31], 0, v[36:37]
	v_cndmask_b32_e64 v26, 0, v35, s[22:23]
	v_and_b32_e32 v33, 1, v5
	v_mov_b32_e32 v32, v28
	v_cndmask_b32_e64 v5, 0, 1, s[30:31]
	v_add_u32_e32 v46, v26, v20
	v_cmp_gt_u64_e64 s[24:25], s[4:5], v[22:23]
	v_lshlrev_b16_e32 v3, 2, v3
	v_lshlrev_b16_e32 v5, 3, v5
	v_cmp_ne_u64_e64 s[30:31], 0, v[32:33]
	v_cndmask_b32_e64 v26, 0, v46, s[24:25]
	v_or_b32_e32 v3, v5, v3
	v_cndmask_b32_e64 v5, 0, 1, s[30:31]
	v_cmp_ne_u64_e64 s[30:31], 0, v[28:29]
	v_add_u32_e32 v47, v26, v22
	v_cmp_gt_u64_e64 s[26:27], s[4:5], v[24:25]
	v_lshlrev_b16_e32 v5, 1, v5
	v_cndmask_b32_e64 v7, 0, 1, s[30:31]
	v_cndmask_b32_e64 v26, 0, v47, s[26:27]
	v_or_b32_e32 v5, v7, v5
	v_add_u32_e32 v48, v26, v24
	v_cmp_gt_u64_e64 s[28:29], s[4:5], v[40:41]
	v_and_b32_e32 v5, 3, v5
	v_cndmask_b32_e64 v26, 0, v48, s[28:29]
	v_or_b32_e32 v3, v5, v3
	v_add_u32_e32 v49, v26, v40
	v_and_b32_e32 v26, 1, v41
	v_and_b32_e32 v3, 15, v3
	v_cmp_eq_u32_e64 s[4:5], 1, v26
	v_cmp_ne_u16_e64 s[30:31], 0, v3
	s_or_b64 s[4:5], s[4:5], s[30:31]
	v_cndmask_b32_e64 v5, v39, 1, s[4:5]
	v_mbcnt_hi_u32_b32 v3, -1, v52
	v_mov_b32_dpp v9, v49 row_shr:1 row_mask:0xf bank_mask:0xf
	v_mov_b32_dpp v11, v5 row_shr:1 row_mask:0xf bank_mask:0xf
	v_cmp_eq_u32_e64 s[4:5], 0, v5
	v_and_b32_e32 v13, 1, v5
	v_and_b32_e32 v7, 15, v3
	v_cndmask_b32_e64 v9, 0, v9, s[4:5]
	v_and_b32_e32 v11, 1, v11
	v_cmp_eq_u32_e64 s[4:5], 1, v13
	v_cndmask_b32_e64 v11, v11, 1, s[4:5]
	v_cmp_eq_u32_e64 s[4:5], 0, v7
	v_cndmask_b32_e64 v5, v11, v5, s[4:5]
	v_and_b32_e32 v15, 1, v5
	v_cmp_eq_u32_e64 s[30:31], 1, v15
	v_mov_b32_dpp v13, v5 row_shr:2 row_mask:0xf bank_mask:0xf
	v_and_b32_e32 v13, 1, v13
	v_cndmask_b32_e64 v13, v13, 1, s[30:31]
	v_cmp_lt_u32_e64 s[30:31], 1, v7
	v_cndmask_b32_e64 v9, v9, 0, s[4:5]
	v_cmp_eq_u32_e64 s[4:5], 0, v5
	v_cndmask_b32_e64 v5, v5, v13, s[30:31]
	v_add_u32_e32 v9, v49, v9
	v_and_b32_e32 v15, 1, v5
	v_mov_b32_dpp v13, v5 row_shr:4 row_mask:0xf bank_mask:0xf
	v_mov_b32_dpp v11, v9 row_shr:2 row_mask:0xf bank_mask:0xf
	s_and_b64 s[4:5], s[30:31], s[4:5]
	v_and_b32_e32 v13, 1, v13
	v_cmp_eq_u32_e64 s[30:31], 1, v15
	v_cndmask_b32_e64 v11, 0, v11, s[4:5]
	v_cndmask_b32_e64 v13, v13, 1, s[30:31]
	v_cmp_lt_u32_e64 s[30:31], 3, v7
	v_add_u32_e32 v9, v9, v11
	v_cmp_eq_u32_e64 s[4:5], 0, v5
	v_cndmask_b32_e64 v5, v5, v13, s[30:31]
	v_mov_b32_dpp v11, v9 row_shr:4 row_mask:0xf bank_mask:0xf
	s_and_b64 s[4:5], s[30:31], s[4:5]
	v_mov_b32_dpp v13, v5 row_shr:8 row_mask:0xf bank_mask:0xf
	v_and_b32_e32 v15, 1, v5
	v_cndmask_b32_e64 v11, 0, v11, s[4:5]
	v_and_b32_e32 v13, 1, v13
	v_cmp_eq_u32_e64 s[30:31], 1, v15
	v_add_u32_e32 v9, v9, v11
	v_cmp_eq_u32_e64 s[4:5], 0, v5
	v_cndmask_b32_e64 v13, v13, 1, s[30:31]
	v_cmp_lt_u32_e64 s[30:31], 7, v7
	v_mov_b32_dpp v11, v9 row_shr:8 row_mask:0xf bank_mask:0xf
	s_and_b64 s[4:5], s[30:31], s[4:5]
	v_cndmask_b32_e64 v7, 0, v11, s[4:5]
	v_cndmask_b32_e64 v5, v5, v13, s[30:31]
	v_add_u32_e32 v7, v9, v7
	v_cmp_eq_u32_e64 s[4:5], 0, v5
	v_mov_b32_dpp v11, v5 row_bcast:15 row_mask:0xf bank_mask:0xf
	v_mov_b32_dpp v9, v7 row_bcast:15 row_mask:0xf bank_mask:0xf
	v_and_b32_e32 v17, 1, v5
	v_and_b32_e32 v15, 16, v3
	v_cndmask_b32_e64 v9, 0, v9, s[4:5]
	v_and_b32_e32 v11, 1, v11
	v_cmp_eq_u32_e64 s[4:5], 1, v17
	v_bfe_i32 v13, v3, 4, 1
	v_cndmask_b32_e64 v11, v11, 1, s[4:5]
	v_cmp_eq_u32_e64 s[4:5], 0, v15
	v_and_b32_e32 v9, v13, v9
	v_cndmask_b32_e64 v5, v11, v5, s[4:5]
	v_add_u32_e32 v9, v7, v9
	v_and_b32_e32 v13, 1, v5
	v_mov_b32_dpp v7, v5 row_bcast:31 row_mask:0xf bank_mask:0xf
	v_and_b32_e32 v7, 1, v7
	v_cmp_eq_u32_e64 s[30:31], 1, v13
	v_cmp_eq_u32_e64 s[4:5], 0, v5
	v_cndmask_b32_e64 v7, v7, 1, s[30:31]
	v_cmp_lt_u32_e64 s[30:31], 31, v3
	v_mov_b32_dpp v11, v9 row_bcast:31 row_mask:0xf bank_mask:0xf
	s_and_b64 s[4:5], s[30:31], s[4:5]
	v_cndmask_b32_e64 v7, v5, v7, s[30:31]
	v_cndmask_b32_e64 v5, 0, v11, s[4:5]
	v_add_u32_e32 v5, v9, v5
	v_cmp_eq_u32_e64 s[4:5], v51, v0
	s_and_saveexec_b64 s[30:31], s[4:5]
	s_cbranch_execz .LBB39_126
; %bb.125:
	v_lshlrev_b32_e32 v9, 3, v1
	ds_write_b32 v9, v5
	ds_write_b8 v9, v7 offset:4
.LBB39_126:
	s_or_b64 exec, exec, s[30:31]
	v_cmp_gt_u32_e64 s[4:5], 4, v0
	s_waitcnt lgkmcnt(0)
	s_barrier
	s_and_saveexec_b64 s[30:31], s[4:5]
	s_cbranch_execz .LBB39_130
; %bb.127:
	v_lshlrev_b32_e32 v9, 3, v0
	ds_read_b64 v[28:29], v9
	v_and_b32_e32 v11, 3, v3
	v_cmp_ne_u32_e64 s[4:5], 0, v11
	s_waitcnt lgkmcnt(0)
	v_mov_b32_dpp v13, v28 row_shr:1 row_mask:0xf bank_mask:0xf
	v_mov_b32_dpp v17, v29 row_shr:1 row_mask:0xf bank_mask:0xf
	v_mov_b32_e32 v15, v29
	s_and_saveexec_b64 s[34:35], s[4:5]
	s_cbranch_execz .LBB39_129
; %bb.128:
	v_and_b32_e32 v15, 1, v29
	v_and_b32_e32 v17, 1, v17
	v_cmp_eq_u32_e64 s[4:5], 1, v15
	v_mov_b32_e32 v15, 0
	v_cndmask_b32_e64 v17, v17, 1, s[4:5]
	v_cmp_eq_u16_sdwa s[4:5], v29, v15 src0_sel:BYTE_0 src1_sel:DWORD
	v_cndmask_b32_e64 v13, 0, v13, s[4:5]
	v_add_u32_e32 v28, v13, v28
	v_and_b32_e32 v13, 0xffff, v17
	s_movk_i32 s4, 0xff00
	v_and_or_b32 v15, v29, s4, v13
	v_mov_b32_e32 v29, v17
.LBB39_129:
	s_or_b64 exec, exec, s[34:35]
	v_mov_b32_dpp v15, v15 row_shr:2 row_mask:0xf bank_mask:0xf
	v_and_b32_e32 v17, 1, v29
	v_and_b32_e32 v15, 1, v15
	v_cmp_eq_u32_e64 s[4:5], 1, v17
	v_mov_b32_e32 v17, 0
	v_cndmask_b32_e64 v15, v15, 1, s[4:5]
	v_cmp_eq_u16_sdwa s[34:35], v29, v17 src0_sel:BYTE_0 src1_sel:DWORD
	v_cmp_lt_u32_e64 s[4:5], 1, v11
	v_mov_b32_dpp v13, v28 row_shr:2 row_mask:0xf bank_mask:0xf
	v_cndmask_b32_e64 v11, v29, v15, s[4:5]
	s_and_b64 s[4:5], s[4:5], s[34:35]
	v_cndmask_b32_e64 v13, 0, v13, s[4:5]
	v_add_u32_e32 v13, v13, v28
	ds_write_b32 v9, v13
	ds_write_b8 v9, v11 offset:4
.LBB39_130:
	s_or_b64 exec, exec, s[30:31]
	v_cmp_lt_u32_e64 s[4:5], 63, v0
	v_mov_b32_e32 v9, 0
	s_waitcnt lgkmcnt(0)
	s_barrier
	s_and_saveexec_b64 s[30:31], s[4:5]
	s_cbranch_execz .LBB39_132
; %bb.131:
	v_lshl_add_u32 v1, v1, 3, -8
	ds_read_b32 v9, v1
	v_cmp_eq_u32_e64 s[4:5], 0, v7
	s_waitcnt lgkmcnt(0)
	v_cndmask_b32_e64 v1, 0, v9, s[4:5]
	v_add_u32_e32 v5, v1, v5
.LBB39_132:
	s_or_b64 exec, exec, s[30:31]
	v_add_u32_e32 v1, -1, v3
	v_and_b32_e32 v7, 64, v3
	v_cmp_lt_i32_e64 s[4:5], v1, v7
	v_cndmask_b32_e64 v1, v1, v3, s[4:5]
	v_lshlrev_b32_e32 v1, 2, v1
	ds_bpermute_b32 v1, v1, v5
	s_and_saveexec_b64 s[30:31], s[36:37]
	s_cbranch_execz .LBB39_134
; %bb.133:
	v_and_b32_e32 v27, 0xff, v39
	v_mov_b32_e32 v26, 0
	v_cmp_eq_u32_e64 s[4:5], 0, v3
	s_waitcnt lgkmcnt(0)
	v_cndmask_b32_e64 v1, v1, v9, s[4:5]
	v_cmp_eq_u64_e64 s[4:5], 0, v[26:27]
	v_cndmask_b32_e64 v1, 0, v1, s[4:5]
	v_add_u32_e32 v38, v1, v38
	v_cndmask_b32_e32 v1, 0, v38, vcc
	v_add_u32_e32 v27, v1, v2
	v_cndmask_b32_e64 v1, 0, v27, s[6:7]
	v_add_u32_e32 v42, v1, v4
	v_cndmask_b32_e64 v1, 0, v42, s[8:9]
	;; [unrolled: 2-line block ×12, first 2 shown]
	v_add_u32_e32 v49, v1, v40
	;;#ASMSTART
	;;#ASMEND
.LBB39_134:
	s_or_b64 exec, exec, s[30:31]
	s_and_saveexec_b64 s[4:5], s[0:1]
	s_cbranch_execz .LBB39_136
; %bb.135:
	v_mov_b32_e32 v5, 0
	ds_read_b32 v2, v5 offset:24
	ds_read_u8 v3, v5 offset:28
	s_add_u32 s0, s56, 0x400
	s_addc_u32 s1, s57, 0
	v_mov_b32_e32 v4, 2
	v_pk_mov_b32 v[6:7], s[0:1], s[0:1] op_sel:[0,1]
	s_waitcnt lgkmcnt(0)
	;;#ASMSTART
	global_store_dwordx4 v[6:7], v[2:5] off	
s_waitcnt vmcnt(0)
	;;#ASMEND
.LBB39_136:
	s_or_b64 exec, exec, s[4:5]
	v_mov_b32_e32 v26, v38
.LBB39_137:
	s_add_u32 s0, s46, s38
	s_addc_u32 s1, s47, s39
	s_add_u32 s4, s0, s40
	s_waitcnt lgkmcnt(0)
	v_mul_u32_u24_e32 v1, 14, v0
	s_addc_u32 s5, s1, s41
	s_and_b64 vcc, exec, s[2:3]
	v_lshlrev_b32_e32 v2, 2, v1
	s_cbranch_vccz .LBB39_165
; %bb.138:
	s_movk_i32 s0, 0xffcc
	v_mad_i32_i24 v3, v0, s0, v2
	s_barrier
	ds_write2_b64 v2, v[26:27], v[42:43] offset1:1
	ds_write2_b64 v2, v[30:31], v[44:45] offset0:2 offset1:3
	ds_write2_b64 v2, v[34:35], v[46:47] offset0:4 offset1:5
	ds_write_b64 v2, v[48:49] offset:48
	s_waitcnt lgkmcnt(0)
	s_barrier
	ds_read2st64_b32 v[16:17], v3 offset0:4 offset1:8
	ds_read2st64_b32 v[14:15], v3 offset0:12 offset1:16
	;; [unrolled: 1-line block ×6, first 2 shown]
	ds_read_b32 v3, v3 offset:13312
	v_mov_b32_e32 v7, s5
	v_add_co_u32_e32 v6, vcc, s4, v50
	s_add_i32 s33, s33, s58
	v_addc_co_u32_e32 v7, vcc, 0, v7, vcc
	v_mov_b32_e32 v1, 0
	v_cmp_gt_u32_e32 vcc, s33, v0
	s_and_saveexec_b64 s[0:1], vcc
	s_cbranch_execz .LBB39_140
; %bb.139:
	v_mul_i32_i24_e32 v18, 0xffffffcc, v0
	v_add_u32_e32 v18, v2, v18
	ds_read_b32 v18, v18
	s_waitcnt lgkmcnt(0)
	flat_store_dword v[6:7], v18
.LBB39_140:
	s_or_b64 exec, exec, s[0:1]
	v_or_b32_e32 v18, 0x100, v0
	v_cmp_gt_u32_e32 vcc, s33, v18
	s_and_saveexec_b64 s[0:1], vcc
	s_cbranch_execz .LBB39_142
; %bb.141:
	s_waitcnt lgkmcnt(0)
	flat_store_dword v[6:7], v16 offset:1024
.LBB39_142:
	s_or_b64 exec, exec, s[0:1]
	s_waitcnt lgkmcnt(0)
	v_or_b32_e32 v16, 0x200, v0
	v_cmp_gt_u32_e32 vcc, s33, v16
	s_and_saveexec_b64 s[0:1], vcc
	s_cbranch_execz .LBB39_144
; %bb.143:
	flat_store_dword v[6:7], v17 offset:2048
.LBB39_144:
	s_or_b64 exec, exec, s[0:1]
	v_or_b32_e32 v16, 0x300, v0
	v_cmp_gt_u32_e32 vcc, s33, v16
	s_and_saveexec_b64 s[0:1], vcc
	s_cbranch_execz .LBB39_146
; %bb.145:
	flat_store_dword v[6:7], v14 offset:3072
.LBB39_146:
	s_or_b64 exec, exec, s[0:1]
	v_or_b32_e32 v14, 0x400, v0
	v_cmp_gt_u32_e32 vcc, s33, v14
	s_and_saveexec_b64 s[0:1], vcc
	s_cbranch_execz .LBB39_148
; %bb.147:
	v_add_co_u32_e32 v16, vcc, 0x1000, v6
	v_addc_co_u32_e32 v17, vcc, 0, v7, vcc
	flat_store_dword v[16:17], v15
.LBB39_148:
	s_or_b64 exec, exec, s[0:1]
	v_or_b32_e32 v14, 0x500, v0
	v_cmp_gt_u32_e32 vcc, s33, v14
	s_and_saveexec_b64 s[0:1], vcc
	s_cbranch_execz .LBB39_150
; %bb.149:
	v_add_co_u32_e32 v14, vcc, 0x1000, v6
	v_addc_co_u32_e32 v15, vcc, 0, v7, vcc
	flat_store_dword v[14:15], v12 offset:1024
.LBB39_150:
	s_or_b64 exec, exec, s[0:1]
	v_or_b32_e32 v12, 0x600, v0
	v_cmp_gt_u32_e32 vcc, s33, v12
	s_and_saveexec_b64 s[0:1], vcc
	s_cbranch_execz .LBB39_152
; %bb.151:
	v_add_co_u32_e32 v14, vcc, 0x1000, v6
	v_addc_co_u32_e32 v15, vcc, 0, v7, vcc
	flat_store_dword v[14:15], v13 offset:2048
.LBB39_152:
	;; [unrolled: 10-line block ×3, first 2 shown]
	s_or_b64 exec, exec, s[0:1]
	v_or_b32_e32 v10, 0x800, v0
	v_cmp_gt_u32_e32 vcc, s33, v10
	s_and_saveexec_b64 s[0:1], vcc
	s_cbranch_execz .LBB39_156
; %bb.155:
	v_add_co_u32_e32 v12, vcc, 0x2000, v6
	v_addc_co_u32_e32 v13, vcc, 0, v7, vcc
	flat_store_dword v[12:13], v11
.LBB39_156:
	s_or_b64 exec, exec, s[0:1]
	v_or_b32_e32 v10, 0x900, v0
	v_cmp_gt_u32_e32 vcc, s33, v10
	s_and_saveexec_b64 s[0:1], vcc
	s_cbranch_execz .LBB39_158
; %bb.157:
	v_add_co_u32_e32 v10, vcc, 0x2000, v6
	v_addc_co_u32_e32 v11, vcc, 0, v7, vcc
	flat_store_dword v[10:11], v8 offset:1024
.LBB39_158:
	s_or_b64 exec, exec, s[0:1]
	v_or_b32_e32 v8, 0xa00, v0
	v_cmp_gt_u32_e32 vcc, s33, v8
	s_and_saveexec_b64 s[0:1], vcc
	s_cbranch_execz .LBB39_160
; %bb.159:
	v_add_co_u32_e32 v10, vcc, 0x2000, v6
	v_addc_co_u32_e32 v11, vcc, 0, v7, vcc
	flat_store_dword v[10:11], v9 offset:2048
.LBB39_160:
	;; [unrolled: 10-line block ×3, first 2 shown]
	s_or_b64 exec, exec, s[0:1]
	v_or_b32_e32 v4, 0xc00, v0
	v_cmp_gt_u32_e32 vcc, s33, v4
	s_and_saveexec_b64 s[0:1], vcc
	s_cbranch_execz .LBB39_164
; %bb.163:
	v_add_co_u32_e32 v6, vcc, 0x3000, v6
	v_addc_co_u32_e32 v7, vcc, 0, v7, vcc
	flat_store_dword v[6:7], v5
.LBB39_164:
	s_or_b64 exec, exec, s[0:1]
	v_or_b32_e32 v4, 0xd00, v0
	v_cmp_gt_u32_e64 s[0:1], s33, v4
	s_branch .LBB39_167
.LBB39_165:
	s_mov_b64 s[0:1], 0
                                        ; implicit-def: $vgpr3
	s_cbranch_execz .LBB39_167
; %bb.166:
	s_movk_i32 s2, 0xffcc
	s_waitcnt lgkmcnt(0)
	s_barrier
	ds_write2_b64 v2, v[26:27], v[42:43] offset1:1
	ds_write2_b64 v2, v[30:31], v[44:45] offset0:2 offset1:3
	ds_write2_b64 v2, v[34:35], v[46:47] offset0:4 offset1:5
	ds_write_b64 v2, v[48:49] offset:48
	v_mad_i32_i24 v2, v0, s2, v2
	v_mov_b32_e32 v17, s5
	v_add_co_u32_e32 v16, vcc, s4, v50
	s_waitcnt lgkmcnt(0)
	s_barrier
	ds_read2st64_b32 v[4:5], v2 offset1:4
	ds_read2st64_b32 v[6:7], v2 offset0:8 offset1:12
	ds_read2st64_b32 v[8:9], v2 offset0:16 offset1:20
	ds_read2st64_b32 v[10:11], v2 offset0:24 offset1:28
	ds_read2st64_b32 v[12:13], v2 offset0:32 offset1:36
	ds_read2st64_b32 v[14:15], v2 offset0:40 offset1:44
	ds_read2st64_b32 v[2:3], v2 offset0:48 offset1:52
	v_addc_co_u32_e32 v17, vcc, 0, v17, vcc
	s_movk_i32 s2, 0x1000
	s_waitcnt lgkmcnt(0)
	flat_store_dword v[16:17], v4
	flat_store_dword v[16:17], v5 offset:1024
	flat_store_dword v[16:17], v6 offset:2048
	;; [unrolled: 1-line block ×3, first 2 shown]
	v_add_co_u32_e32 v4, vcc, s2, v16
	v_addc_co_u32_e32 v5, vcc, 0, v17, vcc
	flat_store_dword v[4:5], v8
	flat_store_dword v[4:5], v9 offset:1024
	flat_store_dword v[4:5], v10 offset:2048
	;; [unrolled: 1-line block ×3, first 2 shown]
	v_add_co_u32_e32 v4, vcc, 0x2000, v16
	v_addc_co_u32_e32 v5, vcc, 0, v17, vcc
	flat_store_dword v[4:5], v12
	flat_store_dword v[4:5], v13 offset:1024
	flat_store_dword v[4:5], v14 offset:2048
	;; [unrolled: 1-line block ×3, first 2 shown]
	v_add_co_u32_e32 v4, vcc, 0x3000, v16
	v_mov_b32_e32 v1, 0
	v_addc_co_u32_e32 v5, vcc, 0, v17, vcc
	s_or_b64 s[0:1], s[0:1], exec
	flat_store_dword v[4:5], v2
.LBB39_167:
	s_and_saveexec_b64 s[2:3], s[0:1]
	s_cbranch_execnz .LBB39_169
; %bb.168:
	s_endpgm
.LBB39_169:
	v_lshlrev_b64 v[0:1], 2, v[0:1]
	v_mov_b32_e32 v2, s5
	v_add_co_u32_e32 v0, vcc, s4, v0
	v_addc_co_u32_e32 v1, vcc, v2, v1, vcc
	v_add_co_u32_e32 v0, vcc, 0x3000, v0
	v_addc_co_u32_e32 v1, vcc, 0, v1, vcc
	flat_store_dword v[0:1], v3 offset:1024
	s_endpgm
.LBB39_170:
	v_mov_b32_e32 v13, s63
	v_add_co_u32_e32 v14, vcc, s62, v12
	v_addc_co_u32_e32 v15, vcc, 0, v13, vcc
	flat_load_dword v13, v[14:15]
	s_or_b64 exec, exec, s[4:5]
                                        ; implicit-def: $vgpr14
	s_and_saveexec_b64 s[4:5], s[8:9]
	s_cbranch_execz .LBB39_41
.LBB39_171:
	v_mov_b32_e32 v15, s63
	v_add_co_u32_e32 v14, vcc, s62, v12
	v_addc_co_u32_e32 v15, vcc, 0, v15, vcc
	flat_load_dword v14, v[14:15] offset:1024
	s_or_b64 exec, exec, s[4:5]
                                        ; implicit-def: $vgpr15
	s_and_saveexec_b64 s[4:5], s[10:11]
	s_cbranch_execz .LBB39_42
.LBB39_172:
	v_mov_b32_e32 v15, s63
	v_add_co_u32_e32 v16, vcc, s62, v12
	v_addc_co_u32_e32 v17, vcc, 0, v15, vcc
	flat_load_dword v15, v[16:17] offset:2048
	s_or_b64 exec, exec, s[4:5]
                                        ; implicit-def: $vgpr16
	s_and_saveexec_b64 s[4:5], s[12:13]
	s_cbranch_execz .LBB39_43
.LBB39_173:
	v_mov_b32_e32 v17, s63
	v_add_co_u32_e32 v16, vcc, s62, v12
	v_addc_co_u32_e32 v17, vcc, 0, v17, vcc
	flat_load_dword v16, v[16:17] offset:3072
	s_or_b64 exec, exec, s[4:5]
                                        ; implicit-def: $vgpr17
	s_and_saveexec_b64 s[4:5], s[14:15]
	s_cbranch_execz .LBB39_44
.LBB39_174:
	v_mov_b32_e32 v17, s63
	v_add_co_u32_e32 v18, vcc, s62, v2
	v_addc_co_u32_e32 v19, vcc, 0, v17, vcc
	flat_load_dword v17, v[18:19]
	s_or_b64 exec, exec, s[4:5]
                                        ; implicit-def: $vgpr2
	s_and_saveexec_b64 s[4:5], s[16:17]
	s_cbranch_execz .LBB39_45
.LBB39_175:
	v_mov_b32_e32 v18, s63
	v_add_co_u32_e32 v2, vcc, s62, v3
	v_addc_co_u32_e32 v3, vcc, 0, v18, vcc
	flat_load_dword v2, v[2:3]
	s_or_b64 exec, exec, s[4:5]
                                        ; implicit-def: $vgpr3
	s_and_saveexec_b64 s[4:5], s[18:19]
	s_cbranch_execz .LBB39_46
.LBB39_176:
	v_mov_b32_e32 v3, s63
	v_add_co_u32_e32 v18, vcc, s62, v4
	v_addc_co_u32_e32 v19, vcc, 0, v3, vcc
	flat_load_dword v3, v[18:19]
	s_or_b64 exec, exec, s[4:5]
                                        ; implicit-def: $vgpr4
	s_and_saveexec_b64 s[4:5], s[20:21]
	s_cbranch_execz .LBB39_47
.LBB39_177:
	v_mov_b32_e32 v18, s63
	v_add_co_u32_e32 v4, vcc, s62, v5
	v_addc_co_u32_e32 v5, vcc, 0, v18, vcc
	flat_load_dword v4, v[4:5]
	s_or_b64 exec, exec, s[4:5]
                                        ; implicit-def: $vgpr5
	s_and_saveexec_b64 s[4:5], s[22:23]
	s_cbranch_execz .LBB39_48
.LBB39_178:
	v_mov_b32_e32 v5, s63
	v_add_co_u32_e32 v18, vcc, s62, v6
	v_addc_co_u32_e32 v19, vcc, 0, v5, vcc
	flat_load_dword v5, v[18:19]
	s_or_b64 exec, exec, s[4:5]
                                        ; implicit-def: $vgpr6
	s_and_saveexec_b64 s[4:5], s[24:25]
	s_cbranch_execz .LBB39_49
.LBB39_179:
	v_mov_b32_e32 v18, s63
	v_add_co_u32_e32 v6, vcc, s62, v7
	v_addc_co_u32_e32 v7, vcc, 0, v18, vcc
	flat_load_dword v6, v[6:7]
	s_or_b64 exec, exec, s[4:5]
                                        ; implicit-def: $vgpr7
	s_and_saveexec_b64 s[4:5], s[26:27]
	s_cbranch_execz .LBB39_50
.LBB39_180:
	v_mov_b32_e32 v7, s63
	v_add_co_u32_e32 v18, vcc, s62, v8
	v_addc_co_u32_e32 v19, vcc, 0, v7, vcc
	flat_load_dword v7, v[18:19]
	s_or_b64 exec, exec, s[4:5]
                                        ; implicit-def: $vgpr8
	s_and_saveexec_b64 s[4:5], s[28:29]
	s_cbranch_execz .LBB39_51
.LBB39_181:
	v_mov_b32_e32 v18, s63
	v_add_co_u32_e32 v8, vcc, s62, v9
	v_addc_co_u32_e32 v9, vcc, 0, v18, vcc
	flat_load_dword v8, v[8:9]
	s_or_b64 exec, exec, s[4:5]
                                        ; implicit-def: $vgpr9
	s_and_saveexec_b64 s[4:5], s[30:31]
	s_cbranch_execz .LBB39_52
.LBB39_182:
	v_mov_b32_e32 v9, s63
	v_add_co_u32_e32 v18, vcc, s62, v10
	v_addc_co_u32_e32 v19, vcc, 0, v9, vcc
	flat_load_dword v9, v[18:19]
	s_or_b64 exec, exec, s[4:5]
                                        ; implicit-def: $vgpr10
	s_and_saveexec_b64 s[4:5], s[34:35]
	s_cbranch_execnz .LBB39_53
	s_branch .LBB39_54
.LBB39_183:
                                        ; implicit-def: $sgpr4_sgpr5
	s_branch .LBB39_36
.LBB39_184:
                                        ; implicit-def: $sgpr4_sgpr5
	s_branch .LBB39_85
	.section	.rodata,"a",@progbits
	.p2align	6, 0x0
	.amdhsa_kernel _ZN7rocprim17ROCPRIM_400000_NS6detail17trampoline_kernelINS0_14default_configENS1_27scan_by_key_config_selectorIiiEEZZNS1_16scan_by_key_implILNS1_25lookback_scan_determinismE0ELb0ES3_N6thrust23THRUST_200600_302600_NS6detail15normal_iteratorINS9_10device_ptrIiEEEESE_SE_iNS9_4plusIvEENS9_8equal_toIvEEiEE10hipError_tPvRmT2_T3_T4_T5_mT6_T7_P12ihipStream_tbENKUlT_T0_E_clISt17integral_constantIbLb0EESY_IbLb1EEEEDaSU_SV_EUlSU_E_NS1_11comp_targetILNS1_3genE4ELNS1_11target_archE910ELNS1_3gpuE8ELNS1_3repE0EEENS1_30default_config_static_selectorELNS0_4arch9wavefront6targetE1EEEvT1_
		.amdhsa_group_segment_fixed_size 16384
		.amdhsa_private_segment_fixed_size 0
		.amdhsa_kernarg_size 112
		.amdhsa_user_sgpr_count 6
		.amdhsa_user_sgpr_private_segment_buffer 1
		.amdhsa_user_sgpr_dispatch_ptr 0
		.amdhsa_user_sgpr_queue_ptr 0
		.amdhsa_user_sgpr_kernarg_segment_ptr 1
		.amdhsa_user_sgpr_dispatch_id 0
		.amdhsa_user_sgpr_flat_scratch_init 0
		.amdhsa_user_sgpr_kernarg_preload_length 0
		.amdhsa_user_sgpr_kernarg_preload_offset 0
		.amdhsa_user_sgpr_private_segment_size 0
		.amdhsa_uses_dynamic_stack 0
		.amdhsa_system_sgpr_private_segment_wavefront_offset 0
		.amdhsa_system_sgpr_workgroup_id_x 1
		.amdhsa_system_sgpr_workgroup_id_y 0
		.amdhsa_system_sgpr_workgroup_id_z 0
		.amdhsa_system_sgpr_workgroup_info 0
		.amdhsa_system_vgpr_workitem_id 0
		.amdhsa_next_free_vgpr 65
		.amdhsa_next_free_sgpr 65
		.amdhsa_accum_offset 68
		.amdhsa_reserve_vcc 1
		.amdhsa_reserve_flat_scratch 0
		.amdhsa_float_round_mode_32 0
		.amdhsa_float_round_mode_16_64 0
		.amdhsa_float_denorm_mode_32 3
		.amdhsa_float_denorm_mode_16_64 3
		.amdhsa_dx10_clamp 1
		.amdhsa_ieee_mode 1
		.amdhsa_fp16_overflow 0
		.amdhsa_tg_split 0
		.amdhsa_exception_fp_ieee_invalid_op 0
		.amdhsa_exception_fp_denorm_src 0
		.amdhsa_exception_fp_ieee_div_zero 0
		.amdhsa_exception_fp_ieee_overflow 0
		.amdhsa_exception_fp_ieee_underflow 0
		.amdhsa_exception_fp_ieee_inexact 0
		.amdhsa_exception_int_div_zero 0
	.end_amdhsa_kernel
	.section	.text._ZN7rocprim17ROCPRIM_400000_NS6detail17trampoline_kernelINS0_14default_configENS1_27scan_by_key_config_selectorIiiEEZZNS1_16scan_by_key_implILNS1_25lookback_scan_determinismE0ELb0ES3_N6thrust23THRUST_200600_302600_NS6detail15normal_iteratorINS9_10device_ptrIiEEEESE_SE_iNS9_4plusIvEENS9_8equal_toIvEEiEE10hipError_tPvRmT2_T3_T4_T5_mT6_T7_P12ihipStream_tbENKUlT_T0_E_clISt17integral_constantIbLb0EESY_IbLb1EEEEDaSU_SV_EUlSU_E_NS1_11comp_targetILNS1_3genE4ELNS1_11target_archE910ELNS1_3gpuE8ELNS1_3repE0EEENS1_30default_config_static_selectorELNS0_4arch9wavefront6targetE1EEEvT1_,"axG",@progbits,_ZN7rocprim17ROCPRIM_400000_NS6detail17trampoline_kernelINS0_14default_configENS1_27scan_by_key_config_selectorIiiEEZZNS1_16scan_by_key_implILNS1_25lookback_scan_determinismE0ELb0ES3_N6thrust23THRUST_200600_302600_NS6detail15normal_iteratorINS9_10device_ptrIiEEEESE_SE_iNS9_4plusIvEENS9_8equal_toIvEEiEE10hipError_tPvRmT2_T3_T4_T5_mT6_T7_P12ihipStream_tbENKUlT_T0_E_clISt17integral_constantIbLb0EESY_IbLb1EEEEDaSU_SV_EUlSU_E_NS1_11comp_targetILNS1_3genE4ELNS1_11target_archE910ELNS1_3gpuE8ELNS1_3repE0EEENS1_30default_config_static_selectorELNS0_4arch9wavefront6targetE1EEEvT1_,comdat
.Lfunc_end39:
	.size	_ZN7rocprim17ROCPRIM_400000_NS6detail17trampoline_kernelINS0_14default_configENS1_27scan_by_key_config_selectorIiiEEZZNS1_16scan_by_key_implILNS1_25lookback_scan_determinismE0ELb0ES3_N6thrust23THRUST_200600_302600_NS6detail15normal_iteratorINS9_10device_ptrIiEEEESE_SE_iNS9_4plusIvEENS9_8equal_toIvEEiEE10hipError_tPvRmT2_T3_T4_T5_mT6_T7_P12ihipStream_tbENKUlT_T0_E_clISt17integral_constantIbLb0EESY_IbLb1EEEEDaSU_SV_EUlSU_E_NS1_11comp_targetILNS1_3genE4ELNS1_11target_archE910ELNS1_3gpuE8ELNS1_3repE0EEENS1_30default_config_static_selectorELNS0_4arch9wavefront6targetE1EEEvT1_, .Lfunc_end39-_ZN7rocprim17ROCPRIM_400000_NS6detail17trampoline_kernelINS0_14default_configENS1_27scan_by_key_config_selectorIiiEEZZNS1_16scan_by_key_implILNS1_25lookback_scan_determinismE0ELb0ES3_N6thrust23THRUST_200600_302600_NS6detail15normal_iteratorINS9_10device_ptrIiEEEESE_SE_iNS9_4plusIvEENS9_8equal_toIvEEiEE10hipError_tPvRmT2_T3_T4_T5_mT6_T7_P12ihipStream_tbENKUlT_T0_E_clISt17integral_constantIbLb0EESY_IbLb1EEEEDaSU_SV_EUlSU_E_NS1_11comp_targetILNS1_3genE4ELNS1_11target_archE910ELNS1_3gpuE8ELNS1_3repE0EEENS1_30default_config_static_selectorELNS0_4arch9wavefront6targetE1EEEvT1_
                                        ; -- End function
	.section	.AMDGPU.csdata,"",@progbits
; Kernel info:
; codeLenInByte = 11024
; NumSgprs: 69
; NumVgprs: 65
; NumAgprs: 0
; TotalNumVgprs: 65
; ScratchSize: 0
; MemoryBound: 0
; FloatMode: 240
; IeeeMode: 1
; LDSByteSize: 16384 bytes/workgroup (compile time only)
; SGPRBlocks: 8
; VGPRBlocks: 8
; NumSGPRsForWavesPerEU: 69
; NumVGPRsForWavesPerEU: 65
; AccumOffset: 68
; Occupancy: 4
; WaveLimiterHint : 1
; COMPUTE_PGM_RSRC2:SCRATCH_EN: 0
; COMPUTE_PGM_RSRC2:USER_SGPR: 6
; COMPUTE_PGM_RSRC2:TRAP_HANDLER: 0
; COMPUTE_PGM_RSRC2:TGID_X_EN: 1
; COMPUTE_PGM_RSRC2:TGID_Y_EN: 0
; COMPUTE_PGM_RSRC2:TGID_Z_EN: 0
; COMPUTE_PGM_RSRC2:TIDIG_COMP_CNT: 0
; COMPUTE_PGM_RSRC3_GFX90A:ACCUM_OFFSET: 16
; COMPUTE_PGM_RSRC3_GFX90A:TG_SPLIT: 0
	.section	.text._ZN7rocprim17ROCPRIM_400000_NS6detail17trampoline_kernelINS0_14default_configENS1_27scan_by_key_config_selectorIiiEEZZNS1_16scan_by_key_implILNS1_25lookback_scan_determinismE0ELb0ES3_N6thrust23THRUST_200600_302600_NS6detail15normal_iteratorINS9_10device_ptrIiEEEESE_SE_iNS9_4plusIvEENS9_8equal_toIvEEiEE10hipError_tPvRmT2_T3_T4_T5_mT6_T7_P12ihipStream_tbENKUlT_T0_E_clISt17integral_constantIbLb0EESY_IbLb1EEEEDaSU_SV_EUlSU_E_NS1_11comp_targetILNS1_3genE3ELNS1_11target_archE908ELNS1_3gpuE7ELNS1_3repE0EEENS1_30default_config_static_selectorELNS0_4arch9wavefront6targetE1EEEvT1_,"axG",@progbits,_ZN7rocprim17ROCPRIM_400000_NS6detail17trampoline_kernelINS0_14default_configENS1_27scan_by_key_config_selectorIiiEEZZNS1_16scan_by_key_implILNS1_25lookback_scan_determinismE0ELb0ES3_N6thrust23THRUST_200600_302600_NS6detail15normal_iteratorINS9_10device_ptrIiEEEESE_SE_iNS9_4plusIvEENS9_8equal_toIvEEiEE10hipError_tPvRmT2_T3_T4_T5_mT6_T7_P12ihipStream_tbENKUlT_T0_E_clISt17integral_constantIbLb0EESY_IbLb1EEEEDaSU_SV_EUlSU_E_NS1_11comp_targetILNS1_3genE3ELNS1_11target_archE908ELNS1_3gpuE7ELNS1_3repE0EEENS1_30default_config_static_selectorELNS0_4arch9wavefront6targetE1EEEvT1_,comdat
	.protected	_ZN7rocprim17ROCPRIM_400000_NS6detail17trampoline_kernelINS0_14default_configENS1_27scan_by_key_config_selectorIiiEEZZNS1_16scan_by_key_implILNS1_25lookback_scan_determinismE0ELb0ES3_N6thrust23THRUST_200600_302600_NS6detail15normal_iteratorINS9_10device_ptrIiEEEESE_SE_iNS9_4plusIvEENS9_8equal_toIvEEiEE10hipError_tPvRmT2_T3_T4_T5_mT6_T7_P12ihipStream_tbENKUlT_T0_E_clISt17integral_constantIbLb0EESY_IbLb1EEEEDaSU_SV_EUlSU_E_NS1_11comp_targetILNS1_3genE3ELNS1_11target_archE908ELNS1_3gpuE7ELNS1_3repE0EEENS1_30default_config_static_selectorELNS0_4arch9wavefront6targetE1EEEvT1_ ; -- Begin function _ZN7rocprim17ROCPRIM_400000_NS6detail17trampoline_kernelINS0_14default_configENS1_27scan_by_key_config_selectorIiiEEZZNS1_16scan_by_key_implILNS1_25lookback_scan_determinismE0ELb0ES3_N6thrust23THRUST_200600_302600_NS6detail15normal_iteratorINS9_10device_ptrIiEEEESE_SE_iNS9_4plusIvEENS9_8equal_toIvEEiEE10hipError_tPvRmT2_T3_T4_T5_mT6_T7_P12ihipStream_tbENKUlT_T0_E_clISt17integral_constantIbLb0EESY_IbLb1EEEEDaSU_SV_EUlSU_E_NS1_11comp_targetILNS1_3genE3ELNS1_11target_archE908ELNS1_3gpuE7ELNS1_3repE0EEENS1_30default_config_static_selectorELNS0_4arch9wavefront6targetE1EEEvT1_
	.globl	_ZN7rocprim17ROCPRIM_400000_NS6detail17trampoline_kernelINS0_14default_configENS1_27scan_by_key_config_selectorIiiEEZZNS1_16scan_by_key_implILNS1_25lookback_scan_determinismE0ELb0ES3_N6thrust23THRUST_200600_302600_NS6detail15normal_iteratorINS9_10device_ptrIiEEEESE_SE_iNS9_4plusIvEENS9_8equal_toIvEEiEE10hipError_tPvRmT2_T3_T4_T5_mT6_T7_P12ihipStream_tbENKUlT_T0_E_clISt17integral_constantIbLb0EESY_IbLb1EEEEDaSU_SV_EUlSU_E_NS1_11comp_targetILNS1_3genE3ELNS1_11target_archE908ELNS1_3gpuE7ELNS1_3repE0EEENS1_30default_config_static_selectorELNS0_4arch9wavefront6targetE1EEEvT1_
	.p2align	8
	.type	_ZN7rocprim17ROCPRIM_400000_NS6detail17trampoline_kernelINS0_14default_configENS1_27scan_by_key_config_selectorIiiEEZZNS1_16scan_by_key_implILNS1_25lookback_scan_determinismE0ELb0ES3_N6thrust23THRUST_200600_302600_NS6detail15normal_iteratorINS9_10device_ptrIiEEEESE_SE_iNS9_4plusIvEENS9_8equal_toIvEEiEE10hipError_tPvRmT2_T3_T4_T5_mT6_T7_P12ihipStream_tbENKUlT_T0_E_clISt17integral_constantIbLb0EESY_IbLb1EEEEDaSU_SV_EUlSU_E_NS1_11comp_targetILNS1_3genE3ELNS1_11target_archE908ELNS1_3gpuE7ELNS1_3repE0EEENS1_30default_config_static_selectorELNS0_4arch9wavefront6targetE1EEEvT1_,@function
_ZN7rocprim17ROCPRIM_400000_NS6detail17trampoline_kernelINS0_14default_configENS1_27scan_by_key_config_selectorIiiEEZZNS1_16scan_by_key_implILNS1_25lookback_scan_determinismE0ELb0ES3_N6thrust23THRUST_200600_302600_NS6detail15normal_iteratorINS9_10device_ptrIiEEEESE_SE_iNS9_4plusIvEENS9_8equal_toIvEEiEE10hipError_tPvRmT2_T3_T4_T5_mT6_T7_P12ihipStream_tbENKUlT_T0_E_clISt17integral_constantIbLb0EESY_IbLb1EEEEDaSU_SV_EUlSU_E_NS1_11comp_targetILNS1_3genE3ELNS1_11target_archE908ELNS1_3gpuE7ELNS1_3repE0EEENS1_30default_config_static_selectorELNS0_4arch9wavefront6targetE1EEEvT1_: ; @_ZN7rocprim17ROCPRIM_400000_NS6detail17trampoline_kernelINS0_14default_configENS1_27scan_by_key_config_selectorIiiEEZZNS1_16scan_by_key_implILNS1_25lookback_scan_determinismE0ELb0ES3_N6thrust23THRUST_200600_302600_NS6detail15normal_iteratorINS9_10device_ptrIiEEEESE_SE_iNS9_4plusIvEENS9_8equal_toIvEEiEE10hipError_tPvRmT2_T3_T4_T5_mT6_T7_P12ihipStream_tbENKUlT_T0_E_clISt17integral_constantIbLb0EESY_IbLb1EEEEDaSU_SV_EUlSU_E_NS1_11comp_targetILNS1_3genE3ELNS1_11target_archE908ELNS1_3gpuE7ELNS1_3repE0EEENS1_30default_config_static_selectorELNS0_4arch9wavefront6targetE1EEEvT1_
; %bb.0:
	.section	.rodata,"a",@progbits
	.p2align	6, 0x0
	.amdhsa_kernel _ZN7rocprim17ROCPRIM_400000_NS6detail17trampoline_kernelINS0_14default_configENS1_27scan_by_key_config_selectorIiiEEZZNS1_16scan_by_key_implILNS1_25lookback_scan_determinismE0ELb0ES3_N6thrust23THRUST_200600_302600_NS6detail15normal_iteratorINS9_10device_ptrIiEEEESE_SE_iNS9_4plusIvEENS9_8equal_toIvEEiEE10hipError_tPvRmT2_T3_T4_T5_mT6_T7_P12ihipStream_tbENKUlT_T0_E_clISt17integral_constantIbLb0EESY_IbLb1EEEEDaSU_SV_EUlSU_E_NS1_11comp_targetILNS1_3genE3ELNS1_11target_archE908ELNS1_3gpuE7ELNS1_3repE0EEENS1_30default_config_static_selectorELNS0_4arch9wavefront6targetE1EEEvT1_
		.amdhsa_group_segment_fixed_size 0
		.amdhsa_private_segment_fixed_size 0
		.amdhsa_kernarg_size 112
		.amdhsa_user_sgpr_count 6
		.amdhsa_user_sgpr_private_segment_buffer 1
		.amdhsa_user_sgpr_dispatch_ptr 0
		.amdhsa_user_sgpr_queue_ptr 0
		.amdhsa_user_sgpr_kernarg_segment_ptr 1
		.amdhsa_user_sgpr_dispatch_id 0
		.amdhsa_user_sgpr_flat_scratch_init 0
		.amdhsa_user_sgpr_kernarg_preload_length 0
		.amdhsa_user_sgpr_kernarg_preload_offset 0
		.amdhsa_user_sgpr_private_segment_size 0
		.amdhsa_uses_dynamic_stack 0
		.amdhsa_system_sgpr_private_segment_wavefront_offset 0
		.amdhsa_system_sgpr_workgroup_id_x 1
		.amdhsa_system_sgpr_workgroup_id_y 0
		.amdhsa_system_sgpr_workgroup_id_z 0
		.amdhsa_system_sgpr_workgroup_info 0
		.amdhsa_system_vgpr_workitem_id 0
		.amdhsa_next_free_vgpr 1
		.amdhsa_next_free_sgpr 0
		.amdhsa_accum_offset 4
		.amdhsa_reserve_vcc 0
		.amdhsa_reserve_flat_scratch 0
		.amdhsa_float_round_mode_32 0
		.amdhsa_float_round_mode_16_64 0
		.amdhsa_float_denorm_mode_32 3
		.amdhsa_float_denorm_mode_16_64 3
		.amdhsa_dx10_clamp 1
		.amdhsa_ieee_mode 1
		.amdhsa_fp16_overflow 0
		.amdhsa_tg_split 0
		.amdhsa_exception_fp_ieee_invalid_op 0
		.amdhsa_exception_fp_denorm_src 0
		.amdhsa_exception_fp_ieee_div_zero 0
		.amdhsa_exception_fp_ieee_overflow 0
		.amdhsa_exception_fp_ieee_underflow 0
		.amdhsa_exception_fp_ieee_inexact 0
		.amdhsa_exception_int_div_zero 0
	.end_amdhsa_kernel
	.section	.text._ZN7rocprim17ROCPRIM_400000_NS6detail17trampoline_kernelINS0_14default_configENS1_27scan_by_key_config_selectorIiiEEZZNS1_16scan_by_key_implILNS1_25lookback_scan_determinismE0ELb0ES3_N6thrust23THRUST_200600_302600_NS6detail15normal_iteratorINS9_10device_ptrIiEEEESE_SE_iNS9_4plusIvEENS9_8equal_toIvEEiEE10hipError_tPvRmT2_T3_T4_T5_mT6_T7_P12ihipStream_tbENKUlT_T0_E_clISt17integral_constantIbLb0EESY_IbLb1EEEEDaSU_SV_EUlSU_E_NS1_11comp_targetILNS1_3genE3ELNS1_11target_archE908ELNS1_3gpuE7ELNS1_3repE0EEENS1_30default_config_static_selectorELNS0_4arch9wavefront6targetE1EEEvT1_,"axG",@progbits,_ZN7rocprim17ROCPRIM_400000_NS6detail17trampoline_kernelINS0_14default_configENS1_27scan_by_key_config_selectorIiiEEZZNS1_16scan_by_key_implILNS1_25lookback_scan_determinismE0ELb0ES3_N6thrust23THRUST_200600_302600_NS6detail15normal_iteratorINS9_10device_ptrIiEEEESE_SE_iNS9_4plusIvEENS9_8equal_toIvEEiEE10hipError_tPvRmT2_T3_T4_T5_mT6_T7_P12ihipStream_tbENKUlT_T0_E_clISt17integral_constantIbLb0EESY_IbLb1EEEEDaSU_SV_EUlSU_E_NS1_11comp_targetILNS1_3genE3ELNS1_11target_archE908ELNS1_3gpuE7ELNS1_3repE0EEENS1_30default_config_static_selectorELNS0_4arch9wavefront6targetE1EEEvT1_,comdat
.Lfunc_end40:
	.size	_ZN7rocprim17ROCPRIM_400000_NS6detail17trampoline_kernelINS0_14default_configENS1_27scan_by_key_config_selectorIiiEEZZNS1_16scan_by_key_implILNS1_25lookback_scan_determinismE0ELb0ES3_N6thrust23THRUST_200600_302600_NS6detail15normal_iteratorINS9_10device_ptrIiEEEESE_SE_iNS9_4plusIvEENS9_8equal_toIvEEiEE10hipError_tPvRmT2_T3_T4_T5_mT6_T7_P12ihipStream_tbENKUlT_T0_E_clISt17integral_constantIbLb0EESY_IbLb1EEEEDaSU_SV_EUlSU_E_NS1_11comp_targetILNS1_3genE3ELNS1_11target_archE908ELNS1_3gpuE7ELNS1_3repE0EEENS1_30default_config_static_selectorELNS0_4arch9wavefront6targetE1EEEvT1_, .Lfunc_end40-_ZN7rocprim17ROCPRIM_400000_NS6detail17trampoline_kernelINS0_14default_configENS1_27scan_by_key_config_selectorIiiEEZZNS1_16scan_by_key_implILNS1_25lookback_scan_determinismE0ELb0ES3_N6thrust23THRUST_200600_302600_NS6detail15normal_iteratorINS9_10device_ptrIiEEEESE_SE_iNS9_4plusIvEENS9_8equal_toIvEEiEE10hipError_tPvRmT2_T3_T4_T5_mT6_T7_P12ihipStream_tbENKUlT_T0_E_clISt17integral_constantIbLb0EESY_IbLb1EEEEDaSU_SV_EUlSU_E_NS1_11comp_targetILNS1_3genE3ELNS1_11target_archE908ELNS1_3gpuE7ELNS1_3repE0EEENS1_30default_config_static_selectorELNS0_4arch9wavefront6targetE1EEEvT1_
                                        ; -- End function
	.section	.AMDGPU.csdata,"",@progbits
; Kernel info:
; codeLenInByte = 0
; NumSgprs: 4
; NumVgprs: 0
; NumAgprs: 0
; TotalNumVgprs: 0
; ScratchSize: 0
; MemoryBound: 0
; FloatMode: 240
; IeeeMode: 1
; LDSByteSize: 0 bytes/workgroup (compile time only)
; SGPRBlocks: 0
; VGPRBlocks: 0
; NumSGPRsForWavesPerEU: 4
; NumVGPRsForWavesPerEU: 1
; AccumOffset: 4
; Occupancy: 8
; WaveLimiterHint : 0
; COMPUTE_PGM_RSRC2:SCRATCH_EN: 0
; COMPUTE_PGM_RSRC2:USER_SGPR: 6
; COMPUTE_PGM_RSRC2:TRAP_HANDLER: 0
; COMPUTE_PGM_RSRC2:TGID_X_EN: 1
; COMPUTE_PGM_RSRC2:TGID_Y_EN: 0
; COMPUTE_PGM_RSRC2:TGID_Z_EN: 0
; COMPUTE_PGM_RSRC2:TIDIG_COMP_CNT: 0
; COMPUTE_PGM_RSRC3_GFX90A:ACCUM_OFFSET: 0
; COMPUTE_PGM_RSRC3_GFX90A:TG_SPLIT: 0
	.section	.text._ZN7rocprim17ROCPRIM_400000_NS6detail17trampoline_kernelINS0_14default_configENS1_27scan_by_key_config_selectorIiiEEZZNS1_16scan_by_key_implILNS1_25lookback_scan_determinismE0ELb0ES3_N6thrust23THRUST_200600_302600_NS6detail15normal_iteratorINS9_10device_ptrIiEEEESE_SE_iNS9_4plusIvEENS9_8equal_toIvEEiEE10hipError_tPvRmT2_T3_T4_T5_mT6_T7_P12ihipStream_tbENKUlT_T0_E_clISt17integral_constantIbLb0EESY_IbLb1EEEEDaSU_SV_EUlSU_E_NS1_11comp_targetILNS1_3genE2ELNS1_11target_archE906ELNS1_3gpuE6ELNS1_3repE0EEENS1_30default_config_static_selectorELNS0_4arch9wavefront6targetE1EEEvT1_,"axG",@progbits,_ZN7rocprim17ROCPRIM_400000_NS6detail17trampoline_kernelINS0_14default_configENS1_27scan_by_key_config_selectorIiiEEZZNS1_16scan_by_key_implILNS1_25lookback_scan_determinismE0ELb0ES3_N6thrust23THRUST_200600_302600_NS6detail15normal_iteratorINS9_10device_ptrIiEEEESE_SE_iNS9_4plusIvEENS9_8equal_toIvEEiEE10hipError_tPvRmT2_T3_T4_T5_mT6_T7_P12ihipStream_tbENKUlT_T0_E_clISt17integral_constantIbLb0EESY_IbLb1EEEEDaSU_SV_EUlSU_E_NS1_11comp_targetILNS1_3genE2ELNS1_11target_archE906ELNS1_3gpuE6ELNS1_3repE0EEENS1_30default_config_static_selectorELNS0_4arch9wavefront6targetE1EEEvT1_,comdat
	.protected	_ZN7rocprim17ROCPRIM_400000_NS6detail17trampoline_kernelINS0_14default_configENS1_27scan_by_key_config_selectorIiiEEZZNS1_16scan_by_key_implILNS1_25lookback_scan_determinismE0ELb0ES3_N6thrust23THRUST_200600_302600_NS6detail15normal_iteratorINS9_10device_ptrIiEEEESE_SE_iNS9_4plusIvEENS9_8equal_toIvEEiEE10hipError_tPvRmT2_T3_T4_T5_mT6_T7_P12ihipStream_tbENKUlT_T0_E_clISt17integral_constantIbLb0EESY_IbLb1EEEEDaSU_SV_EUlSU_E_NS1_11comp_targetILNS1_3genE2ELNS1_11target_archE906ELNS1_3gpuE6ELNS1_3repE0EEENS1_30default_config_static_selectorELNS0_4arch9wavefront6targetE1EEEvT1_ ; -- Begin function _ZN7rocprim17ROCPRIM_400000_NS6detail17trampoline_kernelINS0_14default_configENS1_27scan_by_key_config_selectorIiiEEZZNS1_16scan_by_key_implILNS1_25lookback_scan_determinismE0ELb0ES3_N6thrust23THRUST_200600_302600_NS6detail15normal_iteratorINS9_10device_ptrIiEEEESE_SE_iNS9_4plusIvEENS9_8equal_toIvEEiEE10hipError_tPvRmT2_T3_T4_T5_mT6_T7_P12ihipStream_tbENKUlT_T0_E_clISt17integral_constantIbLb0EESY_IbLb1EEEEDaSU_SV_EUlSU_E_NS1_11comp_targetILNS1_3genE2ELNS1_11target_archE906ELNS1_3gpuE6ELNS1_3repE0EEENS1_30default_config_static_selectorELNS0_4arch9wavefront6targetE1EEEvT1_
	.globl	_ZN7rocprim17ROCPRIM_400000_NS6detail17trampoline_kernelINS0_14default_configENS1_27scan_by_key_config_selectorIiiEEZZNS1_16scan_by_key_implILNS1_25lookback_scan_determinismE0ELb0ES3_N6thrust23THRUST_200600_302600_NS6detail15normal_iteratorINS9_10device_ptrIiEEEESE_SE_iNS9_4plusIvEENS9_8equal_toIvEEiEE10hipError_tPvRmT2_T3_T4_T5_mT6_T7_P12ihipStream_tbENKUlT_T0_E_clISt17integral_constantIbLb0EESY_IbLb1EEEEDaSU_SV_EUlSU_E_NS1_11comp_targetILNS1_3genE2ELNS1_11target_archE906ELNS1_3gpuE6ELNS1_3repE0EEENS1_30default_config_static_selectorELNS0_4arch9wavefront6targetE1EEEvT1_
	.p2align	8
	.type	_ZN7rocprim17ROCPRIM_400000_NS6detail17trampoline_kernelINS0_14default_configENS1_27scan_by_key_config_selectorIiiEEZZNS1_16scan_by_key_implILNS1_25lookback_scan_determinismE0ELb0ES3_N6thrust23THRUST_200600_302600_NS6detail15normal_iteratorINS9_10device_ptrIiEEEESE_SE_iNS9_4plusIvEENS9_8equal_toIvEEiEE10hipError_tPvRmT2_T3_T4_T5_mT6_T7_P12ihipStream_tbENKUlT_T0_E_clISt17integral_constantIbLb0EESY_IbLb1EEEEDaSU_SV_EUlSU_E_NS1_11comp_targetILNS1_3genE2ELNS1_11target_archE906ELNS1_3gpuE6ELNS1_3repE0EEENS1_30default_config_static_selectorELNS0_4arch9wavefront6targetE1EEEvT1_,@function
_ZN7rocprim17ROCPRIM_400000_NS6detail17trampoline_kernelINS0_14default_configENS1_27scan_by_key_config_selectorIiiEEZZNS1_16scan_by_key_implILNS1_25lookback_scan_determinismE0ELb0ES3_N6thrust23THRUST_200600_302600_NS6detail15normal_iteratorINS9_10device_ptrIiEEEESE_SE_iNS9_4plusIvEENS9_8equal_toIvEEiEE10hipError_tPvRmT2_T3_T4_T5_mT6_T7_P12ihipStream_tbENKUlT_T0_E_clISt17integral_constantIbLb0EESY_IbLb1EEEEDaSU_SV_EUlSU_E_NS1_11comp_targetILNS1_3genE2ELNS1_11target_archE906ELNS1_3gpuE6ELNS1_3repE0EEENS1_30default_config_static_selectorELNS0_4arch9wavefront6targetE1EEEvT1_: ; @_ZN7rocprim17ROCPRIM_400000_NS6detail17trampoline_kernelINS0_14default_configENS1_27scan_by_key_config_selectorIiiEEZZNS1_16scan_by_key_implILNS1_25lookback_scan_determinismE0ELb0ES3_N6thrust23THRUST_200600_302600_NS6detail15normal_iteratorINS9_10device_ptrIiEEEESE_SE_iNS9_4plusIvEENS9_8equal_toIvEEiEE10hipError_tPvRmT2_T3_T4_T5_mT6_T7_P12ihipStream_tbENKUlT_T0_E_clISt17integral_constantIbLb0EESY_IbLb1EEEEDaSU_SV_EUlSU_E_NS1_11comp_targetILNS1_3genE2ELNS1_11target_archE906ELNS1_3gpuE6ELNS1_3repE0EEENS1_30default_config_static_selectorELNS0_4arch9wavefront6targetE1EEEvT1_
; %bb.0:
	.section	.rodata,"a",@progbits
	.p2align	6, 0x0
	.amdhsa_kernel _ZN7rocprim17ROCPRIM_400000_NS6detail17trampoline_kernelINS0_14default_configENS1_27scan_by_key_config_selectorIiiEEZZNS1_16scan_by_key_implILNS1_25lookback_scan_determinismE0ELb0ES3_N6thrust23THRUST_200600_302600_NS6detail15normal_iteratorINS9_10device_ptrIiEEEESE_SE_iNS9_4plusIvEENS9_8equal_toIvEEiEE10hipError_tPvRmT2_T3_T4_T5_mT6_T7_P12ihipStream_tbENKUlT_T0_E_clISt17integral_constantIbLb0EESY_IbLb1EEEEDaSU_SV_EUlSU_E_NS1_11comp_targetILNS1_3genE2ELNS1_11target_archE906ELNS1_3gpuE6ELNS1_3repE0EEENS1_30default_config_static_selectorELNS0_4arch9wavefront6targetE1EEEvT1_
		.amdhsa_group_segment_fixed_size 0
		.amdhsa_private_segment_fixed_size 0
		.amdhsa_kernarg_size 112
		.amdhsa_user_sgpr_count 6
		.amdhsa_user_sgpr_private_segment_buffer 1
		.amdhsa_user_sgpr_dispatch_ptr 0
		.amdhsa_user_sgpr_queue_ptr 0
		.amdhsa_user_sgpr_kernarg_segment_ptr 1
		.amdhsa_user_sgpr_dispatch_id 0
		.amdhsa_user_sgpr_flat_scratch_init 0
		.amdhsa_user_sgpr_kernarg_preload_length 0
		.amdhsa_user_sgpr_kernarg_preload_offset 0
		.amdhsa_user_sgpr_private_segment_size 0
		.amdhsa_uses_dynamic_stack 0
		.amdhsa_system_sgpr_private_segment_wavefront_offset 0
		.amdhsa_system_sgpr_workgroup_id_x 1
		.amdhsa_system_sgpr_workgroup_id_y 0
		.amdhsa_system_sgpr_workgroup_id_z 0
		.amdhsa_system_sgpr_workgroup_info 0
		.amdhsa_system_vgpr_workitem_id 0
		.amdhsa_next_free_vgpr 1
		.amdhsa_next_free_sgpr 0
		.amdhsa_accum_offset 4
		.amdhsa_reserve_vcc 0
		.amdhsa_reserve_flat_scratch 0
		.amdhsa_float_round_mode_32 0
		.amdhsa_float_round_mode_16_64 0
		.amdhsa_float_denorm_mode_32 3
		.amdhsa_float_denorm_mode_16_64 3
		.amdhsa_dx10_clamp 1
		.amdhsa_ieee_mode 1
		.amdhsa_fp16_overflow 0
		.amdhsa_tg_split 0
		.amdhsa_exception_fp_ieee_invalid_op 0
		.amdhsa_exception_fp_denorm_src 0
		.amdhsa_exception_fp_ieee_div_zero 0
		.amdhsa_exception_fp_ieee_overflow 0
		.amdhsa_exception_fp_ieee_underflow 0
		.amdhsa_exception_fp_ieee_inexact 0
		.amdhsa_exception_int_div_zero 0
	.end_amdhsa_kernel
	.section	.text._ZN7rocprim17ROCPRIM_400000_NS6detail17trampoline_kernelINS0_14default_configENS1_27scan_by_key_config_selectorIiiEEZZNS1_16scan_by_key_implILNS1_25lookback_scan_determinismE0ELb0ES3_N6thrust23THRUST_200600_302600_NS6detail15normal_iteratorINS9_10device_ptrIiEEEESE_SE_iNS9_4plusIvEENS9_8equal_toIvEEiEE10hipError_tPvRmT2_T3_T4_T5_mT6_T7_P12ihipStream_tbENKUlT_T0_E_clISt17integral_constantIbLb0EESY_IbLb1EEEEDaSU_SV_EUlSU_E_NS1_11comp_targetILNS1_3genE2ELNS1_11target_archE906ELNS1_3gpuE6ELNS1_3repE0EEENS1_30default_config_static_selectorELNS0_4arch9wavefront6targetE1EEEvT1_,"axG",@progbits,_ZN7rocprim17ROCPRIM_400000_NS6detail17trampoline_kernelINS0_14default_configENS1_27scan_by_key_config_selectorIiiEEZZNS1_16scan_by_key_implILNS1_25lookback_scan_determinismE0ELb0ES3_N6thrust23THRUST_200600_302600_NS6detail15normal_iteratorINS9_10device_ptrIiEEEESE_SE_iNS9_4plusIvEENS9_8equal_toIvEEiEE10hipError_tPvRmT2_T3_T4_T5_mT6_T7_P12ihipStream_tbENKUlT_T0_E_clISt17integral_constantIbLb0EESY_IbLb1EEEEDaSU_SV_EUlSU_E_NS1_11comp_targetILNS1_3genE2ELNS1_11target_archE906ELNS1_3gpuE6ELNS1_3repE0EEENS1_30default_config_static_selectorELNS0_4arch9wavefront6targetE1EEEvT1_,comdat
.Lfunc_end41:
	.size	_ZN7rocprim17ROCPRIM_400000_NS6detail17trampoline_kernelINS0_14default_configENS1_27scan_by_key_config_selectorIiiEEZZNS1_16scan_by_key_implILNS1_25lookback_scan_determinismE0ELb0ES3_N6thrust23THRUST_200600_302600_NS6detail15normal_iteratorINS9_10device_ptrIiEEEESE_SE_iNS9_4plusIvEENS9_8equal_toIvEEiEE10hipError_tPvRmT2_T3_T4_T5_mT6_T7_P12ihipStream_tbENKUlT_T0_E_clISt17integral_constantIbLb0EESY_IbLb1EEEEDaSU_SV_EUlSU_E_NS1_11comp_targetILNS1_3genE2ELNS1_11target_archE906ELNS1_3gpuE6ELNS1_3repE0EEENS1_30default_config_static_selectorELNS0_4arch9wavefront6targetE1EEEvT1_, .Lfunc_end41-_ZN7rocprim17ROCPRIM_400000_NS6detail17trampoline_kernelINS0_14default_configENS1_27scan_by_key_config_selectorIiiEEZZNS1_16scan_by_key_implILNS1_25lookback_scan_determinismE0ELb0ES3_N6thrust23THRUST_200600_302600_NS6detail15normal_iteratorINS9_10device_ptrIiEEEESE_SE_iNS9_4plusIvEENS9_8equal_toIvEEiEE10hipError_tPvRmT2_T3_T4_T5_mT6_T7_P12ihipStream_tbENKUlT_T0_E_clISt17integral_constantIbLb0EESY_IbLb1EEEEDaSU_SV_EUlSU_E_NS1_11comp_targetILNS1_3genE2ELNS1_11target_archE906ELNS1_3gpuE6ELNS1_3repE0EEENS1_30default_config_static_selectorELNS0_4arch9wavefront6targetE1EEEvT1_
                                        ; -- End function
	.section	.AMDGPU.csdata,"",@progbits
; Kernel info:
; codeLenInByte = 0
; NumSgprs: 4
; NumVgprs: 0
; NumAgprs: 0
; TotalNumVgprs: 0
; ScratchSize: 0
; MemoryBound: 0
; FloatMode: 240
; IeeeMode: 1
; LDSByteSize: 0 bytes/workgroup (compile time only)
; SGPRBlocks: 0
; VGPRBlocks: 0
; NumSGPRsForWavesPerEU: 4
; NumVGPRsForWavesPerEU: 1
; AccumOffset: 4
; Occupancy: 8
; WaveLimiterHint : 0
; COMPUTE_PGM_RSRC2:SCRATCH_EN: 0
; COMPUTE_PGM_RSRC2:USER_SGPR: 6
; COMPUTE_PGM_RSRC2:TRAP_HANDLER: 0
; COMPUTE_PGM_RSRC2:TGID_X_EN: 1
; COMPUTE_PGM_RSRC2:TGID_Y_EN: 0
; COMPUTE_PGM_RSRC2:TGID_Z_EN: 0
; COMPUTE_PGM_RSRC2:TIDIG_COMP_CNT: 0
; COMPUTE_PGM_RSRC3_GFX90A:ACCUM_OFFSET: 0
; COMPUTE_PGM_RSRC3_GFX90A:TG_SPLIT: 0
	.section	.text._ZN7rocprim17ROCPRIM_400000_NS6detail17trampoline_kernelINS0_14default_configENS1_27scan_by_key_config_selectorIiiEEZZNS1_16scan_by_key_implILNS1_25lookback_scan_determinismE0ELb0ES3_N6thrust23THRUST_200600_302600_NS6detail15normal_iteratorINS9_10device_ptrIiEEEESE_SE_iNS9_4plusIvEENS9_8equal_toIvEEiEE10hipError_tPvRmT2_T3_T4_T5_mT6_T7_P12ihipStream_tbENKUlT_T0_E_clISt17integral_constantIbLb0EESY_IbLb1EEEEDaSU_SV_EUlSU_E_NS1_11comp_targetILNS1_3genE10ELNS1_11target_archE1200ELNS1_3gpuE4ELNS1_3repE0EEENS1_30default_config_static_selectorELNS0_4arch9wavefront6targetE1EEEvT1_,"axG",@progbits,_ZN7rocprim17ROCPRIM_400000_NS6detail17trampoline_kernelINS0_14default_configENS1_27scan_by_key_config_selectorIiiEEZZNS1_16scan_by_key_implILNS1_25lookback_scan_determinismE0ELb0ES3_N6thrust23THRUST_200600_302600_NS6detail15normal_iteratorINS9_10device_ptrIiEEEESE_SE_iNS9_4plusIvEENS9_8equal_toIvEEiEE10hipError_tPvRmT2_T3_T4_T5_mT6_T7_P12ihipStream_tbENKUlT_T0_E_clISt17integral_constantIbLb0EESY_IbLb1EEEEDaSU_SV_EUlSU_E_NS1_11comp_targetILNS1_3genE10ELNS1_11target_archE1200ELNS1_3gpuE4ELNS1_3repE0EEENS1_30default_config_static_selectorELNS0_4arch9wavefront6targetE1EEEvT1_,comdat
	.protected	_ZN7rocprim17ROCPRIM_400000_NS6detail17trampoline_kernelINS0_14default_configENS1_27scan_by_key_config_selectorIiiEEZZNS1_16scan_by_key_implILNS1_25lookback_scan_determinismE0ELb0ES3_N6thrust23THRUST_200600_302600_NS6detail15normal_iteratorINS9_10device_ptrIiEEEESE_SE_iNS9_4plusIvEENS9_8equal_toIvEEiEE10hipError_tPvRmT2_T3_T4_T5_mT6_T7_P12ihipStream_tbENKUlT_T0_E_clISt17integral_constantIbLb0EESY_IbLb1EEEEDaSU_SV_EUlSU_E_NS1_11comp_targetILNS1_3genE10ELNS1_11target_archE1200ELNS1_3gpuE4ELNS1_3repE0EEENS1_30default_config_static_selectorELNS0_4arch9wavefront6targetE1EEEvT1_ ; -- Begin function _ZN7rocprim17ROCPRIM_400000_NS6detail17trampoline_kernelINS0_14default_configENS1_27scan_by_key_config_selectorIiiEEZZNS1_16scan_by_key_implILNS1_25lookback_scan_determinismE0ELb0ES3_N6thrust23THRUST_200600_302600_NS6detail15normal_iteratorINS9_10device_ptrIiEEEESE_SE_iNS9_4plusIvEENS9_8equal_toIvEEiEE10hipError_tPvRmT2_T3_T4_T5_mT6_T7_P12ihipStream_tbENKUlT_T0_E_clISt17integral_constantIbLb0EESY_IbLb1EEEEDaSU_SV_EUlSU_E_NS1_11comp_targetILNS1_3genE10ELNS1_11target_archE1200ELNS1_3gpuE4ELNS1_3repE0EEENS1_30default_config_static_selectorELNS0_4arch9wavefront6targetE1EEEvT1_
	.globl	_ZN7rocprim17ROCPRIM_400000_NS6detail17trampoline_kernelINS0_14default_configENS1_27scan_by_key_config_selectorIiiEEZZNS1_16scan_by_key_implILNS1_25lookback_scan_determinismE0ELb0ES3_N6thrust23THRUST_200600_302600_NS6detail15normal_iteratorINS9_10device_ptrIiEEEESE_SE_iNS9_4plusIvEENS9_8equal_toIvEEiEE10hipError_tPvRmT2_T3_T4_T5_mT6_T7_P12ihipStream_tbENKUlT_T0_E_clISt17integral_constantIbLb0EESY_IbLb1EEEEDaSU_SV_EUlSU_E_NS1_11comp_targetILNS1_3genE10ELNS1_11target_archE1200ELNS1_3gpuE4ELNS1_3repE0EEENS1_30default_config_static_selectorELNS0_4arch9wavefront6targetE1EEEvT1_
	.p2align	8
	.type	_ZN7rocprim17ROCPRIM_400000_NS6detail17trampoline_kernelINS0_14default_configENS1_27scan_by_key_config_selectorIiiEEZZNS1_16scan_by_key_implILNS1_25lookback_scan_determinismE0ELb0ES3_N6thrust23THRUST_200600_302600_NS6detail15normal_iteratorINS9_10device_ptrIiEEEESE_SE_iNS9_4plusIvEENS9_8equal_toIvEEiEE10hipError_tPvRmT2_T3_T4_T5_mT6_T7_P12ihipStream_tbENKUlT_T0_E_clISt17integral_constantIbLb0EESY_IbLb1EEEEDaSU_SV_EUlSU_E_NS1_11comp_targetILNS1_3genE10ELNS1_11target_archE1200ELNS1_3gpuE4ELNS1_3repE0EEENS1_30default_config_static_selectorELNS0_4arch9wavefront6targetE1EEEvT1_,@function
_ZN7rocprim17ROCPRIM_400000_NS6detail17trampoline_kernelINS0_14default_configENS1_27scan_by_key_config_selectorIiiEEZZNS1_16scan_by_key_implILNS1_25lookback_scan_determinismE0ELb0ES3_N6thrust23THRUST_200600_302600_NS6detail15normal_iteratorINS9_10device_ptrIiEEEESE_SE_iNS9_4plusIvEENS9_8equal_toIvEEiEE10hipError_tPvRmT2_T3_T4_T5_mT6_T7_P12ihipStream_tbENKUlT_T0_E_clISt17integral_constantIbLb0EESY_IbLb1EEEEDaSU_SV_EUlSU_E_NS1_11comp_targetILNS1_3genE10ELNS1_11target_archE1200ELNS1_3gpuE4ELNS1_3repE0EEENS1_30default_config_static_selectorELNS0_4arch9wavefront6targetE1EEEvT1_: ; @_ZN7rocprim17ROCPRIM_400000_NS6detail17trampoline_kernelINS0_14default_configENS1_27scan_by_key_config_selectorIiiEEZZNS1_16scan_by_key_implILNS1_25lookback_scan_determinismE0ELb0ES3_N6thrust23THRUST_200600_302600_NS6detail15normal_iteratorINS9_10device_ptrIiEEEESE_SE_iNS9_4plusIvEENS9_8equal_toIvEEiEE10hipError_tPvRmT2_T3_T4_T5_mT6_T7_P12ihipStream_tbENKUlT_T0_E_clISt17integral_constantIbLb0EESY_IbLb1EEEEDaSU_SV_EUlSU_E_NS1_11comp_targetILNS1_3genE10ELNS1_11target_archE1200ELNS1_3gpuE4ELNS1_3repE0EEENS1_30default_config_static_selectorELNS0_4arch9wavefront6targetE1EEEvT1_
; %bb.0:
	.section	.rodata,"a",@progbits
	.p2align	6, 0x0
	.amdhsa_kernel _ZN7rocprim17ROCPRIM_400000_NS6detail17trampoline_kernelINS0_14default_configENS1_27scan_by_key_config_selectorIiiEEZZNS1_16scan_by_key_implILNS1_25lookback_scan_determinismE0ELb0ES3_N6thrust23THRUST_200600_302600_NS6detail15normal_iteratorINS9_10device_ptrIiEEEESE_SE_iNS9_4plusIvEENS9_8equal_toIvEEiEE10hipError_tPvRmT2_T3_T4_T5_mT6_T7_P12ihipStream_tbENKUlT_T0_E_clISt17integral_constantIbLb0EESY_IbLb1EEEEDaSU_SV_EUlSU_E_NS1_11comp_targetILNS1_3genE10ELNS1_11target_archE1200ELNS1_3gpuE4ELNS1_3repE0EEENS1_30default_config_static_selectorELNS0_4arch9wavefront6targetE1EEEvT1_
		.amdhsa_group_segment_fixed_size 0
		.amdhsa_private_segment_fixed_size 0
		.amdhsa_kernarg_size 112
		.amdhsa_user_sgpr_count 6
		.amdhsa_user_sgpr_private_segment_buffer 1
		.amdhsa_user_sgpr_dispatch_ptr 0
		.amdhsa_user_sgpr_queue_ptr 0
		.amdhsa_user_sgpr_kernarg_segment_ptr 1
		.amdhsa_user_sgpr_dispatch_id 0
		.amdhsa_user_sgpr_flat_scratch_init 0
		.amdhsa_user_sgpr_kernarg_preload_length 0
		.amdhsa_user_sgpr_kernarg_preload_offset 0
		.amdhsa_user_sgpr_private_segment_size 0
		.amdhsa_uses_dynamic_stack 0
		.amdhsa_system_sgpr_private_segment_wavefront_offset 0
		.amdhsa_system_sgpr_workgroup_id_x 1
		.amdhsa_system_sgpr_workgroup_id_y 0
		.amdhsa_system_sgpr_workgroup_id_z 0
		.amdhsa_system_sgpr_workgroup_info 0
		.amdhsa_system_vgpr_workitem_id 0
		.amdhsa_next_free_vgpr 1
		.amdhsa_next_free_sgpr 0
		.amdhsa_accum_offset 4
		.amdhsa_reserve_vcc 0
		.amdhsa_reserve_flat_scratch 0
		.amdhsa_float_round_mode_32 0
		.amdhsa_float_round_mode_16_64 0
		.amdhsa_float_denorm_mode_32 3
		.amdhsa_float_denorm_mode_16_64 3
		.amdhsa_dx10_clamp 1
		.amdhsa_ieee_mode 1
		.amdhsa_fp16_overflow 0
		.amdhsa_tg_split 0
		.amdhsa_exception_fp_ieee_invalid_op 0
		.amdhsa_exception_fp_denorm_src 0
		.amdhsa_exception_fp_ieee_div_zero 0
		.amdhsa_exception_fp_ieee_overflow 0
		.amdhsa_exception_fp_ieee_underflow 0
		.amdhsa_exception_fp_ieee_inexact 0
		.amdhsa_exception_int_div_zero 0
	.end_amdhsa_kernel
	.section	.text._ZN7rocprim17ROCPRIM_400000_NS6detail17trampoline_kernelINS0_14default_configENS1_27scan_by_key_config_selectorIiiEEZZNS1_16scan_by_key_implILNS1_25lookback_scan_determinismE0ELb0ES3_N6thrust23THRUST_200600_302600_NS6detail15normal_iteratorINS9_10device_ptrIiEEEESE_SE_iNS9_4plusIvEENS9_8equal_toIvEEiEE10hipError_tPvRmT2_T3_T4_T5_mT6_T7_P12ihipStream_tbENKUlT_T0_E_clISt17integral_constantIbLb0EESY_IbLb1EEEEDaSU_SV_EUlSU_E_NS1_11comp_targetILNS1_3genE10ELNS1_11target_archE1200ELNS1_3gpuE4ELNS1_3repE0EEENS1_30default_config_static_selectorELNS0_4arch9wavefront6targetE1EEEvT1_,"axG",@progbits,_ZN7rocprim17ROCPRIM_400000_NS6detail17trampoline_kernelINS0_14default_configENS1_27scan_by_key_config_selectorIiiEEZZNS1_16scan_by_key_implILNS1_25lookback_scan_determinismE0ELb0ES3_N6thrust23THRUST_200600_302600_NS6detail15normal_iteratorINS9_10device_ptrIiEEEESE_SE_iNS9_4plusIvEENS9_8equal_toIvEEiEE10hipError_tPvRmT2_T3_T4_T5_mT6_T7_P12ihipStream_tbENKUlT_T0_E_clISt17integral_constantIbLb0EESY_IbLb1EEEEDaSU_SV_EUlSU_E_NS1_11comp_targetILNS1_3genE10ELNS1_11target_archE1200ELNS1_3gpuE4ELNS1_3repE0EEENS1_30default_config_static_selectorELNS0_4arch9wavefront6targetE1EEEvT1_,comdat
.Lfunc_end42:
	.size	_ZN7rocprim17ROCPRIM_400000_NS6detail17trampoline_kernelINS0_14default_configENS1_27scan_by_key_config_selectorIiiEEZZNS1_16scan_by_key_implILNS1_25lookback_scan_determinismE0ELb0ES3_N6thrust23THRUST_200600_302600_NS6detail15normal_iteratorINS9_10device_ptrIiEEEESE_SE_iNS9_4plusIvEENS9_8equal_toIvEEiEE10hipError_tPvRmT2_T3_T4_T5_mT6_T7_P12ihipStream_tbENKUlT_T0_E_clISt17integral_constantIbLb0EESY_IbLb1EEEEDaSU_SV_EUlSU_E_NS1_11comp_targetILNS1_3genE10ELNS1_11target_archE1200ELNS1_3gpuE4ELNS1_3repE0EEENS1_30default_config_static_selectorELNS0_4arch9wavefront6targetE1EEEvT1_, .Lfunc_end42-_ZN7rocprim17ROCPRIM_400000_NS6detail17trampoline_kernelINS0_14default_configENS1_27scan_by_key_config_selectorIiiEEZZNS1_16scan_by_key_implILNS1_25lookback_scan_determinismE0ELb0ES3_N6thrust23THRUST_200600_302600_NS6detail15normal_iteratorINS9_10device_ptrIiEEEESE_SE_iNS9_4plusIvEENS9_8equal_toIvEEiEE10hipError_tPvRmT2_T3_T4_T5_mT6_T7_P12ihipStream_tbENKUlT_T0_E_clISt17integral_constantIbLb0EESY_IbLb1EEEEDaSU_SV_EUlSU_E_NS1_11comp_targetILNS1_3genE10ELNS1_11target_archE1200ELNS1_3gpuE4ELNS1_3repE0EEENS1_30default_config_static_selectorELNS0_4arch9wavefront6targetE1EEEvT1_
                                        ; -- End function
	.section	.AMDGPU.csdata,"",@progbits
; Kernel info:
; codeLenInByte = 0
; NumSgprs: 4
; NumVgprs: 0
; NumAgprs: 0
; TotalNumVgprs: 0
; ScratchSize: 0
; MemoryBound: 0
; FloatMode: 240
; IeeeMode: 1
; LDSByteSize: 0 bytes/workgroup (compile time only)
; SGPRBlocks: 0
; VGPRBlocks: 0
; NumSGPRsForWavesPerEU: 4
; NumVGPRsForWavesPerEU: 1
; AccumOffset: 4
; Occupancy: 8
; WaveLimiterHint : 0
; COMPUTE_PGM_RSRC2:SCRATCH_EN: 0
; COMPUTE_PGM_RSRC2:USER_SGPR: 6
; COMPUTE_PGM_RSRC2:TRAP_HANDLER: 0
; COMPUTE_PGM_RSRC2:TGID_X_EN: 1
; COMPUTE_PGM_RSRC2:TGID_Y_EN: 0
; COMPUTE_PGM_RSRC2:TGID_Z_EN: 0
; COMPUTE_PGM_RSRC2:TIDIG_COMP_CNT: 0
; COMPUTE_PGM_RSRC3_GFX90A:ACCUM_OFFSET: 0
; COMPUTE_PGM_RSRC3_GFX90A:TG_SPLIT: 0
	.section	.text._ZN7rocprim17ROCPRIM_400000_NS6detail17trampoline_kernelINS0_14default_configENS1_27scan_by_key_config_selectorIiiEEZZNS1_16scan_by_key_implILNS1_25lookback_scan_determinismE0ELb0ES3_N6thrust23THRUST_200600_302600_NS6detail15normal_iteratorINS9_10device_ptrIiEEEESE_SE_iNS9_4plusIvEENS9_8equal_toIvEEiEE10hipError_tPvRmT2_T3_T4_T5_mT6_T7_P12ihipStream_tbENKUlT_T0_E_clISt17integral_constantIbLb0EESY_IbLb1EEEEDaSU_SV_EUlSU_E_NS1_11comp_targetILNS1_3genE9ELNS1_11target_archE1100ELNS1_3gpuE3ELNS1_3repE0EEENS1_30default_config_static_selectorELNS0_4arch9wavefront6targetE1EEEvT1_,"axG",@progbits,_ZN7rocprim17ROCPRIM_400000_NS6detail17trampoline_kernelINS0_14default_configENS1_27scan_by_key_config_selectorIiiEEZZNS1_16scan_by_key_implILNS1_25lookback_scan_determinismE0ELb0ES3_N6thrust23THRUST_200600_302600_NS6detail15normal_iteratorINS9_10device_ptrIiEEEESE_SE_iNS9_4plusIvEENS9_8equal_toIvEEiEE10hipError_tPvRmT2_T3_T4_T5_mT6_T7_P12ihipStream_tbENKUlT_T0_E_clISt17integral_constantIbLb0EESY_IbLb1EEEEDaSU_SV_EUlSU_E_NS1_11comp_targetILNS1_3genE9ELNS1_11target_archE1100ELNS1_3gpuE3ELNS1_3repE0EEENS1_30default_config_static_selectorELNS0_4arch9wavefront6targetE1EEEvT1_,comdat
	.protected	_ZN7rocprim17ROCPRIM_400000_NS6detail17trampoline_kernelINS0_14default_configENS1_27scan_by_key_config_selectorIiiEEZZNS1_16scan_by_key_implILNS1_25lookback_scan_determinismE0ELb0ES3_N6thrust23THRUST_200600_302600_NS6detail15normal_iteratorINS9_10device_ptrIiEEEESE_SE_iNS9_4plusIvEENS9_8equal_toIvEEiEE10hipError_tPvRmT2_T3_T4_T5_mT6_T7_P12ihipStream_tbENKUlT_T0_E_clISt17integral_constantIbLb0EESY_IbLb1EEEEDaSU_SV_EUlSU_E_NS1_11comp_targetILNS1_3genE9ELNS1_11target_archE1100ELNS1_3gpuE3ELNS1_3repE0EEENS1_30default_config_static_selectorELNS0_4arch9wavefront6targetE1EEEvT1_ ; -- Begin function _ZN7rocprim17ROCPRIM_400000_NS6detail17trampoline_kernelINS0_14default_configENS1_27scan_by_key_config_selectorIiiEEZZNS1_16scan_by_key_implILNS1_25lookback_scan_determinismE0ELb0ES3_N6thrust23THRUST_200600_302600_NS6detail15normal_iteratorINS9_10device_ptrIiEEEESE_SE_iNS9_4plusIvEENS9_8equal_toIvEEiEE10hipError_tPvRmT2_T3_T4_T5_mT6_T7_P12ihipStream_tbENKUlT_T0_E_clISt17integral_constantIbLb0EESY_IbLb1EEEEDaSU_SV_EUlSU_E_NS1_11comp_targetILNS1_3genE9ELNS1_11target_archE1100ELNS1_3gpuE3ELNS1_3repE0EEENS1_30default_config_static_selectorELNS0_4arch9wavefront6targetE1EEEvT1_
	.globl	_ZN7rocprim17ROCPRIM_400000_NS6detail17trampoline_kernelINS0_14default_configENS1_27scan_by_key_config_selectorIiiEEZZNS1_16scan_by_key_implILNS1_25lookback_scan_determinismE0ELb0ES3_N6thrust23THRUST_200600_302600_NS6detail15normal_iteratorINS9_10device_ptrIiEEEESE_SE_iNS9_4plusIvEENS9_8equal_toIvEEiEE10hipError_tPvRmT2_T3_T4_T5_mT6_T7_P12ihipStream_tbENKUlT_T0_E_clISt17integral_constantIbLb0EESY_IbLb1EEEEDaSU_SV_EUlSU_E_NS1_11comp_targetILNS1_3genE9ELNS1_11target_archE1100ELNS1_3gpuE3ELNS1_3repE0EEENS1_30default_config_static_selectorELNS0_4arch9wavefront6targetE1EEEvT1_
	.p2align	8
	.type	_ZN7rocprim17ROCPRIM_400000_NS6detail17trampoline_kernelINS0_14default_configENS1_27scan_by_key_config_selectorIiiEEZZNS1_16scan_by_key_implILNS1_25lookback_scan_determinismE0ELb0ES3_N6thrust23THRUST_200600_302600_NS6detail15normal_iteratorINS9_10device_ptrIiEEEESE_SE_iNS9_4plusIvEENS9_8equal_toIvEEiEE10hipError_tPvRmT2_T3_T4_T5_mT6_T7_P12ihipStream_tbENKUlT_T0_E_clISt17integral_constantIbLb0EESY_IbLb1EEEEDaSU_SV_EUlSU_E_NS1_11comp_targetILNS1_3genE9ELNS1_11target_archE1100ELNS1_3gpuE3ELNS1_3repE0EEENS1_30default_config_static_selectorELNS0_4arch9wavefront6targetE1EEEvT1_,@function
_ZN7rocprim17ROCPRIM_400000_NS6detail17trampoline_kernelINS0_14default_configENS1_27scan_by_key_config_selectorIiiEEZZNS1_16scan_by_key_implILNS1_25lookback_scan_determinismE0ELb0ES3_N6thrust23THRUST_200600_302600_NS6detail15normal_iteratorINS9_10device_ptrIiEEEESE_SE_iNS9_4plusIvEENS9_8equal_toIvEEiEE10hipError_tPvRmT2_T3_T4_T5_mT6_T7_P12ihipStream_tbENKUlT_T0_E_clISt17integral_constantIbLb0EESY_IbLb1EEEEDaSU_SV_EUlSU_E_NS1_11comp_targetILNS1_3genE9ELNS1_11target_archE1100ELNS1_3gpuE3ELNS1_3repE0EEENS1_30default_config_static_selectorELNS0_4arch9wavefront6targetE1EEEvT1_: ; @_ZN7rocprim17ROCPRIM_400000_NS6detail17trampoline_kernelINS0_14default_configENS1_27scan_by_key_config_selectorIiiEEZZNS1_16scan_by_key_implILNS1_25lookback_scan_determinismE0ELb0ES3_N6thrust23THRUST_200600_302600_NS6detail15normal_iteratorINS9_10device_ptrIiEEEESE_SE_iNS9_4plusIvEENS9_8equal_toIvEEiEE10hipError_tPvRmT2_T3_T4_T5_mT6_T7_P12ihipStream_tbENKUlT_T0_E_clISt17integral_constantIbLb0EESY_IbLb1EEEEDaSU_SV_EUlSU_E_NS1_11comp_targetILNS1_3genE9ELNS1_11target_archE1100ELNS1_3gpuE3ELNS1_3repE0EEENS1_30default_config_static_selectorELNS0_4arch9wavefront6targetE1EEEvT1_
; %bb.0:
	.section	.rodata,"a",@progbits
	.p2align	6, 0x0
	.amdhsa_kernel _ZN7rocprim17ROCPRIM_400000_NS6detail17trampoline_kernelINS0_14default_configENS1_27scan_by_key_config_selectorIiiEEZZNS1_16scan_by_key_implILNS1_25lookback_scan_determinismE0ELb0ES3_N6thrust23THRUST_200600_302600_NS6detail15normal_iteratorINS9_10device_ptrIiEEEESE_SE_iNS9_4plusIvEENS9_8equal_toIvEEiEE10hipError_tPvRmT2_T3_T4_T5_mT6_T7_P12ihipStream_tbENKUlT_T0_E_clISt17integral_constantIbLb0EESY_IbLb1EEEEDaSU_SV_EUlSU_E_NS1_11comp_targetILNS1_3genE9ELNS1_11target_archE1100ELNS1_3gpuE3ELNS1_3repE0EEENS1_30default_config_static_selectorELNS0_4arch9wavefront6targetE1EEEvT1_
		.amdhsa_group_segment_fixed_size 0
		.amdhsa_private_segment_fixed_size 0
		.amdhsa_kernarg_size 112
		.amdhsa_user_sgpr_count 6
		.amdhsa_user_sgpr_private_segment_buffer 1
		.amdhsa_user_sgpr_dispatch_ptr 0
		.amdhsa_user_sgpr_queue_ptr 0
		.amdhsa_user_sgpr_kernarg_segment_ptr 1
		.amdhsa_user_sgpr_dispatch_id 0
		.amdhsa_user_sgpr_flat_scratch_init 0
		.amdhsa_user_sgpr_kernarg_preload_length 0
		.amdhsa_user_sgpr_kernarg_preload_offset 0
		.amdhsa_user_sgpr_private_segment_size 0
		.amdhsa_uses_dynamic_stack 0
		.amdhsa_system_sgpr_private_segment_wavefront_offset 0
		.amdhsa_system_sgpr_workgroup_id_x 1
		.amdhsa_system_sgpr_workgroup_id_y 0
		.amdhsa_system_sgpr_workgroup_id_z 0
		.amdhsa_system_sgpr_workgroup_info 0
		.amdhsa_system_vgpr_workitem_id 0
		.amdhsa_next_free_vgpr 1
		.amdhsa_next_free_sgpr 0
		.amdhsa_accum_offset 4
		.amdhsa_reserve_vcc 0
		.amdhsa_reserve_flat_scratch 0
		.amdhsa_float_round_mode_32 0
		.amdhsa_float_round_mode_16_64 0
		.amdhsa_float_denorm_mode_32 3
		.amdhsa_float_denorm_mode_16_64 3
		.amdhsa_dx10_clamp 1
		.amdhsa_ieee_mode 1
		.amdhsa_fp16_overflow 0
		.amdhsa_tg_split 0
		.amdhsa_exception_fp_ieee_invalid_op 0
		.amdhsa_exception_fp_denorm_src 0
		.amdhsa_exception_fp_ieee_div_zero 0
		.amdhsa_exception_fp_ieee_overflow 0
		.amdhsa_exception_fp_ieee_underflow 0
		.amdhsa_exception_fp_ieee_inexact 0
		.amdhsa_exception_int_div_zero 0
	.end_amdhsa_kernel
	.section	.text._ZN7rocprim17ROCPRIM_400000_NS6detail17trampoline_kernelINS0_14default_configENS1_27scan_by_key_config_selectorIiiEEZZNS1_16scan_by_key_implILNS1_25lookback_scan_determinismE0ELb0ES3_N6thrust23THRUST_200600_302600_NS6detail15normal_iteratorINS9_10device_ptrIiEEEESE_SE_iNS9_4plusIvEENS9_8equal_toIvEEiEE10hipError_tPvRmT2_T3_T4_T5_mT6_T7_P12ihipStream_tbENKUlT_T0_E_clISt17integral_constantIbLb0EESY_IbLb1EEEEDaSU_SV_EUlSU_E_NS1_11comp_targetILNS1_3genE9ELNS1_11target_archE1100ELNS1_3gpuE3ELNS1_3repE0EEENS1_30default_config_static_selectorELNS0_4arch9wavefront6targetE1EEEvT1_,"axG",@progbits,_ZN7rocprim17ROCPRIM_400000_NS6detail17trampoline_kernelINS0_14default_configENS1_27scan_by_key_config_selectorIiiEEZZNS1_16scan_by_key_implILNS1_25lookback_scan_determinismE0ELb0ES3_N6thrust23THRUST_200600_302600_NS6detail15normal_iteratorINS9_10device_ptrIiEEEESE_SE_iNS9_4plusIvEENS9_8equal_toIvEEiEE10hipError_tPvRmT2_T3_T4_T5_mT6_T7_P12ihipStream_tbENKUlT_T0_E_clISt17integral_constantIbLb0EESY_IbLb1EEEEDaSU_SV_EUlSU_E_NS1_11comp_targetILNS1_3genE9ELNS1_11target_archE1100ELNS1_3gpuE3ELNS1_3repE0EEENS1_30default_config_static_selectorELNS0_4arch9wavefront6targetE1EEEvT1_,comdat
.Lfunc_end43:
	.size	_ZN7rocprim17ROCPRIM_400000_NS6detail17trampoline_kernelINS0_14default_configENS1_27scan_by_key_config_selectorIiiEEZZNS1_16scan_by_key_implILNS1_25lookback_scan_determinismE0ELb0ES3_N6thrust23THRUST_200600_302600_NS6detail15normal_iteratorINS9_10device_ptrIiEEEESE_SE_iNS9_4plusIvEENS9_8equal_toIvEEiEE10hipError_tPvRmT2_T3_T4_T5_mT6_T7_P12ihipStream_tbENKUlT_T0_E_clISt17integral_constantIbLb0EESY_IbLb1EEEEDaSU_SV_EUlSU_E_NS1_11comp_targetILNS1_3genE9ELNS1_11target_archE1100ELNS1_3gpuE3ELNS1_3repE0EEENS1_30default_config_static_selectorELNS0_4arch9wavefront6targetE1EEEvT1_, .Lfunc_end43-_ZN7rocprim17ROCPRIM_400000_NS6detail17trampoline_kernelINS0_14default_configENS1_27scan_by_key_config_selectorIiiEEZZNS1_16scan_by_key_implILNS1_25lookback_scan_determinismE0ELb0ES3_N6thrust23THRUST_200600_302600_NS6detail15normal_iteratorINS9_10device_ptrIiEEEESE_SE_iNS9_4plusIvEENS9_8equal_toIvEEiEE10hipError_tPvRmT2_T3_T4_T5_mT6_T7_P12ihipStream_tbENKUlT_T0_E_clISt17integral_constantIbLb0EESY_IbLb1EEEEDaSU_SV_EUlSU_E_NS1_11comp_targetILNS1_3genE9ELNS1_11target_archE1100ELNS1_3gpuE3ELNS1_3repE0EEENS1_30default_config_static_selectorELNS0_4arch9wavefront6targetE1EEEvT1_
                                        ; -- End function
	.section	.AMDGPU.csdata,"",@progbits
; Kernel info:
; codeLenInByte = 0
; NumSgprs: 4
; NumVgprs: 0
; NumAgprs: 0
; TotalNumVgprs: 0
; ScratchSize: 0
; MemoryBound: 0
; FloatMode: 240
; IeeeMode: 1
; LDSByteSize: 0 bytes/workgroup (compile time only)
; SGPRBlocks: 0
; VGPRBlocks: 0
; NumSGPRsForWavesPerEU: 4
; NumVGPRsForWavesPerEU: 1
; AccumOffset: 4
; Occupancy: 8
; WaveLimiterHint : 0
; COMPUTE_PGM_RSRC2:SCRATCH_EN: 0
; COMPUTE_PGM_RSRC2:USER_SGPR: 6
; COMPUTE_PGM_RSRC2:TRAP_HANDLER: 0
; COMPUTE_PGM_RSRC2:TGID_X_EN: 1
; COMPUTE_PGM_RSRC2:TGID_Y_EN: 0
; COMPUTE_PGM_RSRC2:TGID_Z_EN: 0
; COMPUTE_PGM_RSRC2:TIDIG_COMP_CNT: 0
; COMPUTE_PGM_RSRC3_GFX90A:ACCUM_OFFSET: 0
; COMPUTE_PGM_RSRC3_GFX90A:TG_SPLIT: 0
	.section	.text._ZN7rocprim17ROCPRIM_400000_NS6detail17trampoline_kernelINS0_14default_configENS1_27scan_by_key_config_selectorIiiEEZZNS1_16scan_by_key_implILNS1_25lookback_scan_determinismE0ELb0ES3_N6thrust23THRUST_200600_302600_NS6detail15normal_iteratorINS9_10device_ptrIiEEEESE_SE_iNS9_4plusIvEENS9_8equal_toIvEEiEE10hipError_tPvRmT2_T3_T4_T5_mT6_T7_P12ihipStream_tbENKUlT_T0_E_clISt17integral_constantIbLb0EESY_IbLb1EEEEDaSU_SV_EUlSU_E_NS1_11comp_targetILNS1_3genE8ELNS1_11target_archE1030ELNS1_3gpuE2ELNS1_3repE0EEENS1_30default_config_static_selectorELNS0_4arch9wavefront6targetE1EEEvT1_,"axG",@progbits,_ZN7rocprim17ROCPRIM_400000_NS6detail17trampoline_kernelINS0_14default_configENS1_27scan_by_key_config_selectorIiiEEZZNS1_16scan_by_key_implILNS1_25lookback_scan_determinismE0ELb0ES3_N6thrust23THRUST_200600_302600_NS6detail15normal_iteratorINS9_10device_ptrIiEEEESE_SE_iNS9_4plusIvEENS9_8equal_toIvEEiEE10hipError_tPvRmT2_T3_T4_T5_mT6_T7_P12ihipStream_tbENKUlT_T0_E_clISt17integral_constantIbLb0EESY_IbLb1EEEEDaSU_SV_EUlSU_E_NS1_11comp_targetILNS1_3genE8ELNS1_11target_archE1030ELNS1_3gpuE2ELNS1_3repE0EEENS1_30default_config_static_selectorELNS0_4arch9wavefront6targetE1EEEvT1_,comdat
	.protected	_ZN7rocprim17ROCPRIM_400000_NS6detail17trampoline_kernelINS0_14default_configENS1_27scan_by_key_config_selectorIiiEEZZNS1_16scan_by_key_implILNS1_25lookback_scan_determinismE0ELb0ES3_N6thrust23THRUST_200600_302600_NS6detail15normal_iteratorINS9_10device_ptrIiEEEESE_SE_iNS9_4plusIvEENS9_8equal_toIvEEiEE10hipError_tPvRmT2_T3_T4_T5_mT6_T7_P12ihipStream_tbENKUlT_T0_E_clISt17integral_constantIbLb0EESY_IbLb1EEEEDaSU_SV_EUlSU_E_NS1_11comp_targetILNS1_3genE8ELNS1_11target_archE1030ELNS1_3gpuE2ELNS1_3repE0EEENS1_30default_config_static_selectorELNS0_4arch9wavefront6targetE1EEEvT1_ ; -- Begin function _ZN7rocprim17ROCPRIM_400000_NS6detail17trampoline_kernelINS0_14default_configENS1_27scan_by_key_config_selectorIiiEEZZNS1_16scan_by_key_implILNS1_25lookback_scan_determinismE0ELb0ES3_N6thrust23THRUST_200600_302600_NS6detail15normal_iteratorINS9_10device_ptrIiEEEESE_SE_iNS9_4plusIvEENS9_8equal_toIvEEiEE10hipError_tPvRmT2_T3_T4_T5_mT6_T7_P12ihipStream_tbENKUlT_T0_E_clISt17integral_constantIbLb0EESY_IbLb1EEEEDaSU_SV_EUlSU_E_NS1_11comp_targetILNS1_3genE8ELNS1_11target_archE1030ELNS1_3gpuE2ELNS1_3repE0EEENS1_30default_config_static_selectorELNS0_4arch9wavefront6targetE1EEEvT1_
	.globl	_ZN7rocprim17ROCPRIM_400000_NS6detail17trampoline_kernelINS0_14default_configENS1_27scan_by_key_config_selectorIiiEEZZNS1_16scan_by_key_implILNS1_25lookback_scan_determinismE0ELb0ES3_N6thrust23THRUST_200600_302600_NS6detail15normal_iteratorINS9_10device_ptrIiEEEESE_SE_iNS9_4plusIvEENS9_8equal_toIvEEiEE10hipError_tPvRmT2_T3_T4_T5_mT6_T7_P12ihipStream_tbENKUlT_T0_E_clISt17integral_constantIbLb0EESY_IbLb1EEEEDaSU_SV_EUlSU_E_NS1_11comp_targetILNS1_3genE8ELNS1_11target_archE1030ELNS1_3gpuE2ELNS1_3repE0EEENS1_30default_config_static_selectorELNS0_4arch9wavefront6targetE1EEEvT1_
	.p2align	8
	.type	_ZN7rocprim17ROCPRIM_400000_NS6detail17trampoline_kernelINS0_14default_configENS1_27scan_by_key_config_selectorIiiEEZZNS1_16scan_by_key_implILNS1_25lookback_scan_determinismE0ELb0ES3_N6thrust23THRUST_200600_302600_NS6detail15normal_iteratorINS9_10device_ptrIiEEEESE_SE_iNS9_4plusIvEENS9_8equal_toIvEEiEE10hipError_tPvRmT2_T3_T4_T5_mT6_T7_P12ihipStream_tbENKUlT_T0_E_clISt17integral_constantIbLb0EESY_IbLb1EEEEDaSU_SV_EUlSU_E_NS1_11comp_targetILNS1_3genE8ELNS1_11target_archE1030ELNS1_3gpuE2ELNS1_3repE0EEENS1_30default_config_static_selectorELNS0_4arch9wavefront6targetE1EEEvT1_,@function
_ZN7rocprim17ROCPRIM_400000_NS6detail17trampoline_kernelINS0_14default_configENS1_27scan_by_key_config_selectorIiiEEZZNS1_16scan_by_key_implILNS1_25lookback_scan_determinismE0ELb0ES3_N6thrust23THRUST_200600_302600_NS6detail15normal_iteratorINS9_10device_ptrIiEEEESE_SE_iNS9_4plusIvEENS9_8equal_toIvEEiEE10hipError_tPvRmT2_T3_T4_T5_mT6_T7_P12ihipStream_tbENKUlT_T0_E_clISt17integral_constantIbLb0EESY_IbLb1EEEEDaSU_SV_EUlSU_E_NS1_11comp_targetILNS1_3genE8ELNS1_11target_archE1030ELNS1_3gpuE2ELNS1_3repE0EEENS1_30default_config_static_selectorELNS0_4arch9wavefront6targetE1EEEvT1_: ; @_ZN7rocprim17ROCPRIM_400000_NS6detail17trampoline_kernelINS0_14default_configENS1_27scan_by_key_config_selectorIiiEEZZNS1_16scan_by_key_implILNS1_25lookback_scan_determinismE0ELb0ES3_N6thrust23THRUST_200600_302600_NS6detail15normal_iteratorINS9_10device_ptrIiEEEESE_SE_iNS9_4plusIvEENS9_8equal_toIvEEiEE10hipError_tPvRmT2_T3_T4_T5_mT6_T7_P12ihipStream_tbENKUlT_T0_E_clISt17integral_constantIbLb0EESY_IbLb1EEEEDaSU_SV_EUlSU_E_NS1_11comp_targetILNS1_3genE8ELNS1_11target_archE1030ELNS1_3gpuE2ELNS1_3repE0EEENS1_30default_config_static_selectorELNS0_4arch9wavefront6targetE1EEEvT1_
; %bb.0:
	.section	.rodata,"a",@progbits
	.p2align	6, 0x0
	.amdhsa_kernel _ZN7rocprim17ROCPRIM_400000_NS6detail17trampoline_kernelINS0_14default_configENS1_27scan_by_key_config_selectorIiiEEZZNS1_16scan_by_key_implILNS1_25lookback_scan_determinismE0ELb0ES3_N6thrust23THRUST_200600_302600_NS6detail15normal_iteratorINS9_10device_ptrIiEEEESE_SE_iNS9_4plusIvEENS9_8equal_toIvEEiEE10hipError_tPvRmT2_T3_T4_T5_mT6_T7_P12ihipStream_tbENKUlT_T0_E_clISt17integral_constantIbLb0EESY_IbLb1EEEEDaSU_SV_EUlSU_E_NS1_11comp_targetILNS1_3genE8ELNS1_11target_archE1030ELNS1_3gpuE2ELNS1_3repE0EEENS1_30default_config_static_selectorELNS0_4arch9wavefront6targetE1EEEvT1_
		.amdhsa_group_segment_fixed_size 0
		.amdhsa_private_segment_fixed_size 0
		.amdhsa_kernarg_size 112
		.amdhsa_user_sgpr_count 6
		.amdhsa_user_sgpr_private_segment_buffer 1
		.amdhsa_user_sgpr_dispatch_ptr 0
		.amdhsa_user_sgpr_queue_ptr 0
		.amdhsa_user_sgpr_kernarg_segment_ptr 1
		.amdhsa_user_sgpr_dispatch_id 0
		.amdhsa_user_sgpr_flat_scratch_init 0
		.amdhsa_user_sgpr_kernarg_preload_length 0
		.amdhsa_user_sgpr_kernarg_preload_offset 0
		.amdhsa_user_sgpr_private_segment_size 0
		.amdhsa_uses_dynamic_stack 0
		.amdhsa_system_sgpr_private_segment_wavefront_offset 0
		.amdhsa_system_sgpr_workgroup_id_x 1
		.amdhsa_system_sgpr_workgroup_id_y 0
		.amdhsa_system_sgpr_workgroup_id_z 0
		.amdhsa_system_sgpr_workgroup_info 0
		.amdhsa_system_vgpr_workitem_id 0
		.amdhsa_next_free_vgpr 1
		.amdhsa_next_free_sgpr 0
		.amdhsa_accum_offset 4
		.amdhsa_reserve_vcc 0
		.amdhsa_reserve_flat_scratch 0
		.amdhsa_float_round_mode_32 0
		.amdhsa_float_round_mode_16_64 0
		.amdhsa_float_denorm_mode_32 3
		.amdhsa_float_denorm_mode_16_64 3
		.amdhsa_dx10_clamp 1
		.amdhsa_ieee_mode 1
		.amdhsa_fp16_overflow 0
		.amdhsa_tg_split 0
		.amdhsa_exception_fp_ieee_invalid_op 0
		.amdhsa_exception_fp_denorm_src 0
		.amdhsa_exception_fp_ieee_div_zero 0
		.amdhsa_exception_fp_ieee_overflow 0
		.amdhsa_exception_fp_ieee_underflow 0
		.amdhsa_exception_fp_ieee_inexact 0
		.amdhsa_exception_int_div_zero 0
	.end_amdhsa_kernel
	.section	.text._ZN7rocprim17ROCPRIM_400000_NS6detail17trampoline_kernelINS0_14default_configENS1_27scan_by_key_config_selectorIiiEEZZNS1_16scan_by_key_implILNS1_25lookback_scan_determinismE0ELb0ES3_N6thrust23THRUST_200600_302600_NS6detail15normal_iteratorINS9_10device_ptrIiEEEESE_SE_iNS9_4plusIvEENS9_8equal_toIvEEiEE10hipError_tPvRmT2_T3_T4_T5_mT6_T7_P12ihipStream_tbENKUlT_T0_E_clISt17integral_constantIbLb0EESY_IbLb1EEEEDaSU_SV_EUlSU_E_NS1_11comp_targetILNS1_3genE8ELNS1_11target_archE1030ELNS1_3gpuE2ELNS1_3repE0EEENS1_30default_config_static_selectorELNS0_4arch9wavefront6targetE1EEEvT1_,"axG",@progbits,_ZN7rocprim17ROCPRIM_400000_NS6detail17trampoline_kernelINS0_14default_configENS1_27scan_by_key_config_selectorIiiEEZZNS1_16scan_by_key_implILNS1_25lookback_scan_determinismE0ELb0ES3_N6thrust23THRUST_200600_302600_NS6detail15normal_iteratorINS9_10device_ptrIiEEEESE_SE_iNS9_4plusIvEENS9_8equal_toIvEEiEE10hipError_tPvRmT2_T3_T4_T5_mT6_T7_P12ihipStream_tbENKUlT_T0_E_clISt17integral_constantIbLb0EESY_IbLb1EEEEDaSU_SV_EUlSU_E_NS1_11comp_targetILNS1_3genE8ELNS1_11target_archE1030ELNS1_3gpuE2ELNS1_3repE0EEENS1_30default_config_static_selectorELNS0_4arch9wavefront6targetE1EEEvT1_,comdat
.Lfunc_end44:
	.size	_ZN7rocprim17ROCPRIM_400000_NS6detail17trampoline_kernelINS0_14default_configENS1_27scan_by_key_config_selectorIiiEEZZNS1_16scan_by_key_implILNS1_25lookback_scan_determinismE0ELb0ES3_N6thrust23THRUST_200600_302600_NS6detail15normal_iteratorINS9_10device_ptrIiEEEESE_SE_iNS9_4plusIvEENS9_8equal_toIvEEiEE10hipError_tPvRmT2_T3_T4_T5_mT6_T7_P12ihipStream_tbENKUlT_T0_E_clISt17integral_constantIbLb0EESY_IbLb1EEEEDaSU_SV_EUlSU_E_NS1_11comp_targetILNS1_3genE8ELNS1_11target_archE1030ELNS1_3gpuE2ELNS1_3repE0EEENS1_30default_config_static_selectorELNS0_4arch9wavefront6targetE1EEEvT1_, .Lfunc_end44-_ZN7rocprim17ROCPRIM_400000_NS6detail17trampoline_kernelINS0_14default_configENS1_27scan_by_key_config_selectorIiiEEZZNS1_16scan_by_key_implILNS1_25lookback_scan_determinismE0ELb0ES3_N6thrust23THRUST_200600_302600_NS6detail15normal_iteratorINS9_10device_ptrIiEEEESE_SE_iNS9_4plusIvEENS9_8equal_toIvEEiEE10hipError_tPvRmT2_T3_T4_T5_mT6_T7_P12ihipStream_tbENKUlT_T0_E_clISt17integral_constantIbLb0EESY_IbLb1EEEEDaSU_SV_EUlSU_E_NS1_11comp_targetILNS1_3genE8ELNS1_11target_archE1030ELNS1_3gpuE2ELNS1_3repE0EEENS1_30default_config_static_selectorELNS0_4arch9wavefront6targetE1EEEvT1_
                                        ; -- End function
	.section	.AMDGPU.csdata,"",@progbits
; Kernel info:
; codeLenInByte = 0
; NumSgprs: 4
; NumVgprs: 0
; NumAgprs: 0
; TotalNumVgprs: 0
; ScratchSize: 0
; MemoryBound: 0
; FloatMode: 240
; IeeeMode: 1
; LDSByteSize: 0 bytes/workgroup (compile time only)
; SGPRBlocks: 0
; VGPRBlocks: 0
; NumSGPRsForWavesPerEU: 4
; NumVGPRsForWavesPerEU: 1
; AccumOffset: 4
; Occupancy: 8
; WaveLimiterHint : 0
; COMPUTE_PGM_RSRC2:SCRATCH_EN: 0
; COMPUTE_PGM_RSRC2:USER_SGPR: 6
; COMPUTE_PGM_RSRC2:TRAP_HANDLER: 0
; COMPUTE_PGM_RSRC2:TGID_X_EN: 1
; COMPUTE_PGM_RSRC2:TGID_Y_EN: 0
; COMPUTE_PGM_RSRC2:TGID_Z_EN: 0
; COMPUTE_PGM_RSRC2:TIDIG_COMP_CNT: 0
; COMPUTE_PGM_RSRC3_GFX90A:ACCUM_OFFSET: 0
; COMPUTE_PGM_RSRC3_GFX90A:TG_SPLIT: 0
	.section	.text._ZN7rocprim17ROCPRIM_400000_NS6detail17trampoline_kernelINS0_14default_configENS1_27scan_by_key_config_selectorIiiEEZZNS1_16scan_by_key_implILNS1_25lookback_scan_determinismE0ELb0ES3_N6thrust23THRUST_200600_302600_NS6detail15normal_iteratorINS9_10device_ptrIiEEEESE_SE_iNS9_4plusIvEE19head_flag_predicateIiEiEE10hipError_tPvRmT2_T3_T4_T5_mT6_T7_P12ihipStream_tbENKUlT_T0_E_clISt17integral_constantIbLb0EESZ_EEDaSU_SV_EUlSU_E_NS1_11comp_targetILNS1_3genE0ELNS1_11target_archE4294967295ELNS1_3gpuE0ELNS1_3repE0EEENS1_30default_config_static_selectorELNS0_4arch9wavefront6targetE1EEEvT1_,"axG",@progbits,_ZN7rocprim17ROCPRIM_400000_NS6detail17trampoline_kernelINS0_14default_configENS1_27scan_by_key_config_selectorIiiEEZZNS1_16scan_by_key_implILNS1_25lookback_scan_determinismE0ELb0ES3_N6thrust23THRUST_200600_302600_NS6detail15normal_iteratorINS9_10device_ptrIiEEEESE_SE_iNS9_4plusIvEE19head_flag_predicateIiEiEE10hipError_tPvRmT2_T3_T4_T5_mT6_T7_P12ihipStream_tbENKUlT_T0_E_clISt17integral_constantIbLb0EESZ_EEDaSU_SV_EUlSU_E_NS1_11comp_targetILNS1_3genE0ELNS1_11target_archE4294967295ELNS1_3gpuE0ELNS1_3repE0EEENS1_30default_config_static_selectorELNS0_4arch9wavefront6targetE1EEEvT1_,comdat
	.protected	_ZN7rocprim17ROCPRIM_400000_NS6detail17trampoline_kernelINS0_14default_configENS1_27scan_by_key_config_selectorIiiEEZZNS1_16scan_by_key_implILNS1_25lookback_scan_determinismE0ELb0ES3_N6thrust23THRUST_200600_302600_NS6detail15normal_iteratorINS9_10device_ptrIiEEEESE_SE_iNS9_4plusIvEE19head_flag_predicateIiEiEE10hipError_tPvRmT2_T3_T4_T5_mT6_T7_P12ihipStream_tbENKUlT_T0_E_clISt17integral_constantIbLb0EESZ_EEDaSU_SV_EUlSU_E_NS1_11comp_targetILNS1_3genE0ELNS1_11target_archE4294967295ELNS1_3gpuE0ELNS1_3repE0EEENS1_30default_config_static_selectorELNS0_4arch9wavefront6targetE1EEEvT1_ ; -- Begin function _ZN7rocprim17ROCPRIM_400000_NS6detail17trampoline_kernelINS0_14default_configENS1_27scan_by_key_config_selectorIiiEEZZNS1_16scan_by_key_implILNS1_25lookback_scan_determinismE0ELb0ES3_N6thrust23THRUST_200600_302600_NS6detail15normal_iteratorINS9_10device_ptrIiEEEESE_SE_iNS9_4plusIvEE19head_flag_predicateIiEiEE10hipError_tPvRmT2_T3_T4_T5_mT6_T7_P12ihipStream_tbENKUlT_T0_E_clISt17integral_constantIbLb0EESZ_EEDaSU_SV_EUlSU_E_NS1_11comp_targetILNS1_3genE0ELNS1_11target_archE4294967295ELNS1_3gpuE0ELNS1_3repE0EEENS1_30default_config_static_selectorELNS0_4arch9wavefront6targetE1EEEvT1_
	.globl	_ZN7rocprim17ROCPRIM_400000_NS6detail17trampoline_kernelINS0_14default_configENS1_27scan_by_key_config_selectorIiiEEZZNS1_16scan_by_key_implILNS1_25lookback_scan_determinismE0ELb0ES3_N6thrust23THRUST_200600_302600_NS6detail15normal_iteratorINS9_10device_ptrIiEEEESE_SE_iNS9_4plusIvEE19head_flag_predicateIiEiEE10hipError_tPvRmT2_T3_T4_T5_mT6_T7_P12ihipStream_tbENKUlT_T0_E_clISt17integral_constantIbLb0EESZ_EEDaSU_SV_EUlSU_E_NS1_11comp_targetILNS1_3genE0ELNS1_11target_archE4294967295ELNS1_3gpuE0ELNS1_3repE0EEENS1_30default_config_static_selectorELNS0_4arch9wavefront6targetE1EEEvT1_
	.p2align	8
	.type	_ZN7rocprim17ROCPRIM_400000_NS6detail17trampoline_kernelINS0_14default_configENS1_27scan_by_key_config_selectorIiiEEZZNS1_16scan_by_key_implILNS1_25lookback_scan_determinismE0ELb0ES3_N6thrust23THRUST_200600_302600_NS6detail15normal_iteratorINS9_10device_ptrIiEEEESE_SE_iNS9_4plusIvEE19head_flag_predicateIiEiEE10hipError_tPvRmT2_T3_T4_T5_mT6_T7_P12ihipStream_tbENKUlT_T0_E_clISt17integral_constantIbLb0EESZ_EEDaSU_SV_EUlSU_E_NS1_11comp_targetILNS1_3genE0ELNS1_11target_archE4294967295ELNS1_3gpuE0ELNS1_3repE0EEENS1_30default_config_static_selectorELNS0_4arch9wavefront6targetE1EEEvT1_,@function
_ZN7rocprim17ROCPRIM_400000_NS6detail17trampoline_kernelINS0_14default_configENS1_27scan_by_key_config_selectorIiiEEZZNS1_16scan_by_key_implILNS1_25lookback_scan_determinismE0ELb0ES3_N6thrust23THRUST_200600_302600_NS6detail15normal_iteratorINS9_10device_ptrIiEEEESE_SE_iNS9_4plusIvEE19head_flag_predicateIiEiEE10hipError_tPvRmT2_T3_T4_T5_mT6_T7_P12ihipStream_tbENKUlT_T0_E_clISt17integral_constantIbLb0EESZ_EEDaSU_SV_EUlSU_E_NS1_11comp_targetILNS1_3genE0ELNS1_11target_archE4294967295ELNS1_3gpuE0ELNS1_3repE0EEENS1_30default_config_static_selectorELNS0_4arch9wavefront6targetE1EEEvT1_: ; @_ZN7rocprim17ROCPRIM_400000_NS6detail17trampoline_kernelINS0_14default_configENS1_27scan_by_key_config_selectorIiiEEZZNS1_16scan_by_key_implILNS1_25lookback_scan_determinismE0ELb0ES3_N6thrust23THRUST_200600_302600_NS6detail15normal_iteratorINS9_10device_ptrIiEEEESE_SE_iNS9_4plusIvEE19head_flag_predicateIiEiEE10hipError_tPvRmT2_T3_T4_T5_mT6_T7_P12ihipStream_tbENKUlT_T0_E_clISt17integral_constantIbLb0EESZ_EEDaSU_SV_EUlSU_E_NS1_11comp_targetILNS1_3genE0ELNS1_11target_archE4294967295ELNS1_3gpuE0ELNS1_3repE0EEENS1_30default_config_static_selectorELNS0_4arch9wavefront6targetE1EEEvT1_
; %bb.0:
	.section	.rodata,"a",@progbits
	.p2align	6, 0x0
	.amdhsa_kernel _ZN7rocprim17ROCPRIM_400000_NS6detail17trampoline_kernelINS0_14default_configENS1_27scan_by_key_config_selectorIiiEEZZNS1_16scan_by_key_implILNS1_25lookback_scan_determinismE0ELb0ES3_N6thrust23THRUST_200600_302600_NS6detail15normal_iteratorINS9_10device_ptrIiEEEESE_SE_iNS9_4plusIvEE19head_flag_predicateIiEiEE10hipError_tPvRmT2_T3_T4_T5_mT6_T7_P12ihipStream_tbENKUlT_T0_E_clISt17integral_constantIbLb0EESZ_EEDaSU_SV_EUlSU_E_NS1_11comp_targetILNS1_3genE0ELNS1_11target_archE4294967295ELNS1_3gpuE0ELNS1_3repE0EEENS1_30default_config_static_selectorELNS0_4arch9wavefront6targetE1EEEvT1_
		.amdhsa_group_segment_fixed_size 0
		.amdhsa_private_segment_fixed_size 0
		.amdhsa_kernarg_size 112
		.amdhsa_user_sgpr_count 6
		.amdhsa_user_sgpr_private_segment_buffer 1
		.amdhsa_user_sgpr_dispatch_ptr 0
		.amdhsa_user_sgpr_queue_ptr 0
		.amdhsa_user_sgpr_kernarg_segment_ptr 1
		.amdhsa_user_sgpr_dispatch_id 0
		.amdhsa_user_sgpr_flat_scratch_init 0
		.amdhsa_user_sgpr_kernarg_preload_length 0
		.amdhsa_user_sgpr_kernarg_preload_offset 0
		.amdhsa_user_sgpr_private_segment_size 0
		.amdhsa_uses_dynamic_stack 0
		.amdhsa_system_sgpr_private_segment_wavefront_offset 0
		.amdhsa_system_sgpr_workgroup_id_x 1
		.amdhsa_system_sgpr_workgroup_id_y 0
		.amdhsa_system_sgpr_workgroup_id_z 0
		.amdhsa_system_sgpr_workgroup_info 0
		.amdhsa_system_vgpr_workitem_id 0
		.amdhsa_next_free_vgpr 1
		.amdhsa_next_free_sgpr 0
		.amdhsa_accum_offset 4
		.amdhsa_reserve_vcc 0
		.amdhsa_reserve_flat_scratch 0
		.amdhsa_float_round_mode_32 0
		.amdhsa_float_round_mode_16_64 0
		.amdhsa_float_denorm_mode_32 3
		.amdhsa_float_denorm_mode_16_64 3
		.amdhsa_dx10_clamp 1
		.amdhsa_ieee_mode 1
		.amdhsa_fp16_overflow 0
		.amdhsa_tg_split 0
		.amdhsa_exception_fp_ieee_invalid_op 0
		.amdhsa_exception_fp_denorm_src 0
		.amdhsa_exception_fp_ieee_div_zero 0
		.amdhsa_exception_fp_ieee_overflow 0
		.amdhsa_exception_fp_ieee_underflow 0
		.amdhsa_exception_fp_ieee_inexact 0
		.amdhsa_exception_int_div_zero 0
	.end_amdhsa_kernel
	.section	.text._ZN7rocprim17ROCPRIM_400000_NS6detail17trampoline_kernelINS0_14default_configENS1_27scan_by_key_config_selectorIiiEEZZNS1_16scan_by_key_implILNS1_25lookback_scan_determinismE0ELb0ES3_N6thrust23THRUST_200600_302600_NS6detail15normal_iteratorINS9_10device_ptrIiEEEESE_SE_iNS9_4plusIvEE19head_flag_predicateIiEiEE10hipError_tPvRmT2_T3_T4_T5_mT6_T7_P12ihipStream_tbENKUlT_T0_E_clISt17integral_constantIbLb0EESZ_EEDaSU_SV_EUlSU_E_NS1_11comp_targetILNS1_3genE0ELNS1_11target_archE4294967295ELNS1_3gpuE0ELNS1_3repE0EEENS1_30default_config_static_selectorELNS0_4arch9wavefront6targetE1EEEvT1_,"axG",@progbits,_ZN7rocprim17ROCPRIM_400000_NS6detail17trampoline_kernelINS0_14default_configENS1_27scan_by_key_config_selectorIiiEEZZNS1_16scan_by_key_implILNS1_25lookback_scan_determinismE0ELb0ES3_N6thrust23THRUST_200600_302600_NS6detail15normal_iteratorINS9_10device_ptrIiEEEESE_SE_iNS9_4plusIvEE19head_flag_predicateIiEiEE10hipError_tPvRmT2_T3_T4_T5_mT6_T7_P12ihipStream_tbENKUlT_T0_E_clISt17integral_constantIbLb0EESZ_EEDaSU_SV_EUlSU_E_NS1_11comp_targetILNS1_3genE0ELNS1_11target_archE4294967295ELNS1_3gpuE0ELNS1_3repE0EEENS1_30default_config_static_selectorELNS0_4arch9wavefront6targetE1EEEvT1_,comdat
.Lfunc_end45:
	.size	_ZN7rocprim17ROCPRIM_400000_NS6detail17trampoline_kernelINS0_14default_configENS1_27scan_by_key_config_selectorIiiEEZZNS1_16scan_by_key_implILNS1_25lookback_scan_determinismE0ELb0ES3_N6thrust23THRUST_200600_302600_NS6detail15normal_iteratorINS9_10device_ptrIiEEEESE_SE_iNS9_4plusIvEE19head_flag_predicateIiEiEE10hipError_tPvRmT2_T3_T4_T5_mT6_T7_P12ihipStream_tbENKUlT_T0_E_clISt17integral_constantIbLb0EESZ_EEDaSU_SV_EUlSU_E_NS1_11comp_targetILNS1_3genE0ELNS1_11target_archE4294967295ELNS1_3gpuE0ELNS1_3repE0EEENS1_30default_config_static_selectorELNS0_4arch9wavefront6targetE1EEEvT1_, .Lfunc_end45-_ZN7rocprim17ROCPRIM_400000_NS6detail17trampoline_kernelINS0_14default_configENS1_27scan_by_key_config_selectorIiiEEZZNS1_16scan_by_key_implILNS1_25lookback_scan_determinismE0ELb0ES3_N6thrust23THRUST_200600_302600_NS6detail15normal_iteratorINS9_10device_ptrIiEEEESE_SE_iNS9_4plusIvEE19head_flag_predicateIiEiEE10hipError_tPvRmT2_T3_T4_T5_mT6_T7_P12ihipStream_tbENKUlT_T0_E_clISt17integral_constantIbLb0EESZ_EEDaSU_SV_EUlSU_E_NS1_11comp_targetILNS1_3genE0ELNS1_11target_archE4294967295ELNS1_3gpuE0ELNS1_3repE0EEENS1_30default_config_static_selectorELNS0_4arch9wavefront6targetE1EEEvT1_
                                        ; -- End function
	.section	.AMDGPU.csdata,"",@progbits
; Kernel info:
; codeLenInByte = 0
; NumSgprs: 4
; NumVgprs: 0
; NumAgprs: 0
; TotalNumVgprs: 0
; ScratchSize: 0
; MemoryBound: 0
; FloatMode: 240
; IeeeMode: 1
; LDSByteSize: 0 bytes/workgroup (compile time only)
; SGPRBlocks: 0
; VGPRBlocks: 0
; NumSGPRsForWavesPerEU: 4
; NumVGPRsForWavesPerEU: 1
; AccumOffset: 4
; Occupancy: 8
; WaveLimiterHint : 0
; COMPUTE_PGM_RSRC2:SCRATCH_EN: 0
; COMPUTE_PGM_RSRC2:USER_SGPR: 6
; COMPUTE_PGM_RSRC2:TRAP_HANDLER: 0
; COMPUTE_PGM_RSRC2:TGID_X_EN: 1
; COMPUTE_PGM_RSRC2:TGID_Y_EN: 0
; COMPUTE_PGM_RSRC2:TGID_Z_EN: 0
; COMPUTE_PGM_RSRC2:TIDIG_COMP_CNT: 0
; COMPUTE_PGM_RSRC3_GFX90A:ACCUM_OFFSET: 0
; COMPUTE_PGM_RSRC3_GFX90A:TG_SPLIT: 0
	.section	.text._ZN7rocprim17ROCPRIM_400000_NS6detail17trampoline_kernelINS0_14default_configENS1_27scan_by_key_config_selectorIiiEEZZNS1_16scan_by_key_implILNS1_25lookback_scan_determinismE0ELb0ES3_N6thrust23THRUST_200600_302600_NS6detail15normal_iteratorINS9_10device_ptrIiEEEESE_SE_iNS9_4plusIvEE19head_flag_predicateIiEiEE10hipError_tPvRmT2_T3_T4_T5_mT6_T7_P12ihipStream_tbENKUlT_T0_E_clISt17integral_constantIbLb0EESZ_EEDaSU_SV_EUlSU_E_NS1_11comp_targetILNS1_3genE10ELNS1_11target_archE1201ELNS1_3gpuE5ELNS1_3repE0EEENS1_30default_config_static_selectorELNS0_4arch9wavefront6targetE1EEEvT1_,"axG",@progbits,_ZN7rocprim17ROCPRIM_400000_NS6detail17trampoline_kernelINS0_14default_configENS1_27scan_by_key_config_selectorIiiEEZZNS1_16scan_by_key_implILNS1_25lookback_scan_determinismE0ELb0ES3_N6thrust23THRUST_200600_302600_NS6detail15normal_iteratorINS9_10device_ptrIiEEEESE_SE_iNS9_4plusIvEE19head_flag_predicateIiEiEE10hipError_tPvRmT2_T3_T4_T5_mT6_T7_P12ihipStream_tbENKUlT_T0_E_clISt17integral_constantIbLb0EESZ_EEDaSU_SV_EUlSU_E_NS1_11comp_targetILNS1_3genE10ELNS1_11target_archE1201ELNS1_3gpuE5ELNS1_3repE0EEENS1_30default_config_static_selectorELNS0_4arch9wavefront6targetE1EEEvT1_,comdat
	.protected	_ZN7rocprim17ROCPRIM_400000_NS6detail17trampoline_kernelINS0_14default_configENS1_27scan_by_key_config_selectorIiiEEZZNS1_16scan_by_key_implILNS1_25lookback_scan_determinismE0ELb0ES3_N6thrust23THRUST_200600_302600_NS6detail15normal_iteratorINS9_10device_ptrIiEEEESE_SE_iNS9_4plusIvEE19head_flag_predicateIiEiEE10hipError_tPvRmT2_T3_T4_T5_mT6_T7_P12ihipStream_tbENKUlT_T0_E_clISt17integral_constantIbLb0EESZ_EEDaSU_SV_EUlSU_E_NS1_11comp_targetILNS1_3genE10ELNS1_11target_archE1201ELNS1_3gpuE5ELNS1_3repE0EEENS1_30default_config_static_selectorELNS0_4arch9wavefront6targetE1EEEvT1_ ; -- Begin function _ZN7rocprim17ROCPRIM_400000_NS6detail17trampoline_kernelINS0_14default_configENS1_27scan_by_key_config_selectorIiiEEZZNS1_16scan_by_key_implILNS1_25lookback_scan_determinismE0ELb0ES3_N6thrust23THRUST_200600_302600_NS6detail15normal_iteratorINS9_10device_ptrIiEEEESE_SE_iNS9_4plusIvEE19head_flag_predicateIiEiEE10hipError_tPvRmT2_T3_T4_T5_mT6_T7_P12ihipStream_tbENKUlT_T0_E_clISt17integral_constantIbLb0EESZ_EEDaSU_SV_EUlSU_E_NS1_11comp_targetILNS1_3genE10ELNS1_11target_archE1201ELNS1_3gpuE5ELNS1_3repE0EEENS1_30default_config_static_selectorELNS0_4arch9wavefront6targetE1EEEvT1_
	.globl	_ZN7rocprim17ROCPRIM_400000_NS6detail17trampoline_kernelINS0_14default_configENS1_27scan_by_key_config_selectorIiiEEZZNS1_16scan_by_key_implILNS1_25lookback_scan_determinismE0ELb0ES3_N6thrust23THRUST_200600_302600_NS6detail15normal_iteratorINS9_10device_ptrIiEEEESE_SE_iNS9_4plusIvEE19head_flag_predicateIiEiEE10hipError_tPvRmT2_T3_T4_T5_mT6_T7_P12ihipStream_tbENKUlT_T0_E_clISt17integral_constantIbLb0EESZ_EEDaSU_SV_EUlSU_E_NS1_11comp_targetILNS1_3genE10ELNS1_11target_archE1201ELNS1_3gpuE5ELNS1_3repE0EEENS1_30default_config_static_selectorELNS0_4arch9wavefront6targetE1EEEvT1_
	.p2align	8
	.type	_ZN7rocprim17ROCPRIM_400000_NS6detail17trampoline_kernelINS0_14default_configENS1_27scan_by_key_config_selectorIiiEEZZNS1_16scan_by_key_implILNS1_25lookback_scan_determinismE0ELb0ES3_N6thrust23THRUST_200600_302600_NS6detail15normal_iteratorINS9_10device_ptrIiEEEESE_SE_iNS9_4plusIvEE19head_flag_predicateIiEiEE10hipError_tPvRmT2_T3_T4_T5_mT6_T7_P12ihipStream_tbENKUlT_T0_E_clISt17integral_constantIbLb0EESZ_EEDaSU_SV_EUlSU_E_NS1_11comp_targetILNS1_3genE10ELNS1_11target_archE1201ELNS1_3gpuE5ELNS1_3repE0EEENS1_30default_config_static_selectorELNS0_4arch9wavefront6targetE1EEEvT1_,@function
_ZN7rocprim17ROCPRIM_400000_NS6detail17trampoline_kernelINS0_14default_configENS1_27scan_by_key_config_selectorIiiEEZZNS1_16scan_by_key_implILNS1_25lookback_scan_determinismE0ELb0ES3_N6thrust23THRUST_200600_302600_NS6detail15normal_iteratorINS9_10device_ptrIiEEEESE_SE_iNS9_4plusIvEE19head_flag_predicateIiEiEE10hipError_tPvRmT2_T3_T4_T5_mT6_T7_P12ihipStream_tbENKUlT_T0_E_clISt17integral_constantIbLb0EESZ_EEDaSU_SV_EUlSU_E_NS1_11comp_targetILNS1_3genE10ELNS1_11target_archE1201ELNS1_3gpuE5ELNS1_3repE0EEENS1_30default_config_static_selectorELNS0_4arch9wavefront6targetE1EEEvT1_: ; @_ZN7rocprim17ROCPRIM_400000_NS6detail17trampoline_kernelINS0_14default_configENS1_27scan_by_key_config_selectorIiiEEZZNS1_16scan_by_key_implILNS1_25lookback_scan_determinismE0ELb0ES3_N6thrust23THRUST_200600_302600_NS6detail15normal_iteratorINS9_10device_ptrIiEEEESE_SE_iNS9_4plusIvEE19head_flag_predicateIiEiEE10hipError_tPvRmT2_T3_T4_T5_mT6_T7_P12ihipStream_tbENKUlT_T0_E_clISt17integral_constantIbLb0EESZ_EEDaSU_SV_EUlSU_E_NS1_11comp_targetILNS1_3genE10ELNS1_11target_archE1201ELNS1_3gpuE5ELNS1_3repE0EEENS1_30default_config_static_selectorELNS0_4arch9wavefront6targetE1EEEvT1_
; %bb.0:
	.section	.rodata,"a",@progbits
	.p2align	6, 0x0
	.amdhsa_kernel _ZN7rocprim17ROCPRIM_400000_NS6detail17trampoline_kernelINS0_14default_configENS1_27scan_by_key_config_selectorIiiEEZZNS1_16scan_by_key_implILNS1_25lookback_scan_determinismE0ELb0ES3_N6thrust23THRUST_200600_302600_NS6detail15normal_iteratorINS9_10device_ptrIiEEEESE_SE_iNS9_4plusIvEE19head_flag_predicateIiEiEE10hipError_tPvRmT2_T3_T4_T5_mT6_T7_P12ihipStream_tbENKUlT_T0_E_clISt17integral_constantIbLb0EESZ_EEDaSU_SV_EUlSU_E_NS1_11comp_targetILNS1_3genE10ELNS1_11target_archE1201ELNS1_3gpuE5ELNS1_3repE0EEENS1_30default_config_static_selectorELNS0_4arch9wavefront6targetE1EEEvT1_
		.amdhsa_group_segment_fixed_size 0
		.amdhsa_private_segment_fixed_size 0
		.amdhsa_kernarg_size 112
		.amdhsa_user_sgpr_count 6
		.amdhsa_user_sgpr_private_segment_buffer 1
		.amdhsa_user_sgpr_dispatch_ptr 0
		.amdhsa_user_sgpr_queue_ptr 0
		.amdhsa_user_sgpr_kernarg_segment_ptr 1
		.amdhsa_user_sgpr_dispatch_id 0
		.amdhsa_user_sgpr_flat_scratch_init 0
		.amdhsa_user_sgpr_kernarg_preload_length 0
		.amdhsa_user_sgpr_kernarg_preload_offset 0
		.amdhsa_user_sgpr_private_segment_size 0
		.amdhsa_uses_dynamic_stack 0
		.amdhsa_system_sgpr_private_segment_wavefront_offset 0
		.amdhsa_system_sgpr_workgroup_id_x 1
		.amdhsa_system_sgpr_workgroup_id_y 0
		.amdhsa_system_sgpr_workgroup_id_z 0
		.amdhsa_system_sgpr_workgroup_info 0
		.amdhsa_system_vgpr_workitem_id 0
		.amdhsa_next_free_vgpr 1
		.amdhsa_next_free_sgpr 0
		.amdhsa_accum_offset 4
		.amdhsa_reserve_vcc 0
		.amdhsa_reserve_flat_scratch 0
		.amdhsa_float_round_mode_32 0
		.amdhsa_float_round_mode_16_64 0
		.amdhsa_float_denorm_mode_32 3
		.amdhsa_float_denorm_mode_16_64 3
		.amdhsa_dx10_clamp 1
		.amdhsa_ieee_mode 1
		.amdhsa_fp16_overflow 0
		.amdhsa_tg_split 0
		.amdhsa_exception_fp_ieee_invalid_op 0
		.amdhsa_exception_fp_denorm_src 0
		.amdhsa_exception_fp_ieee_div_zero 0
		.amdhsa_exception_fp_ieee_overflow 0
		.amdhsa_exception_fp_ieee_underflow 0
		.amdhsa_exception_fp_ieee_inexact 0
		.amdhsa_exception_int_div_zero 0
	.end_amdhsa_kernel
	.section	.text._ZN7rocprim17ROCPRIM_400000_NS6detail17trampoline_kernelINS0_14default_configENS1_27scan_by_key_config_selectorIiiEEZZNS1_16scan_by_key_implILNS1_25lookback_scan_determinismE0ELb0ES3_N6thrust23THRUST_200600_302600_NS6detail15normal_iteratorINS9_10device_ptrIiEEEESE_SE_iNS9_4plusIvEE19head_flag_predicateIiEiEE10hipError_tPvRmT2_T3_T4_T5_mT6_T7_P12ihipStream_tbENKUlT_T0_E_clISt17integral_constantIbLb0EESZ_EEDaSU_SV_EUlSU_E_NS1_11comp_targetILNS1_3genE10ELNS1_11target_archE1201ELNS1_3gpuE5ELNS1_3repE0EEENS1_30default_config_static_selectorELNS0_4arch9wavefront6targetE1EEEvT1_,"axG",@progbits,_ZN7rocprim17ROCPRIM_400000_NS6detail17trampoline_kernelINS0_14default_configENS1_27scan_by_key_config_selectorIiiEEZZNS1_16scan_by_key_implILNS1_25lookback_scan_determinismE0ELb0ES3_N6thrust23THRUST_200600_302600_NS6detail15normal_iteratorINS9_10device_ptrIiEEEESE_SE_iNS9_4plusIvEE19head_flag_predicateIiEiEE10hipError_tPvRmT2_T3_T4_T5_mT6_T7_P12ihipStream_tbENKUlT_T0_E_clISt17integral_constantIbLb0EESZ_EEDaSU_SV_EUlSU_E_NS1_11comp_targetILNS1_3genE10ELNS1_11target_archE1201ELNS1_3gpuE5ELNS1_3repE0EEENS1_30default_config_static_selectorELNS0_4arch9wavefront6targetE1EEEvT1_,comdat
.Lfunc_end46:
	.size	_ZN7rocprim17ROCPRIM_400000_NS6detail17trampoline_kernelINS0_14default_configENS1_27scan_by_key_config_selectorIiiEEZZNS1_16scan_by_key_implILNS1_25lookback_scan_determinismE0ELb0ES3_N6thrust23THRUST_200600_302600_NS6detail15normal_iteratorINS9_10device_ptrIiEEEESE_SE_iNS9_4plusIvEE19head_flag_predicateIiEiEE10hipError_tPvRmT2_T3_T4_T5_mT6_T7_P12ihipStream_tbENKUlT_T0_E_clISt17integral_constantIbLb0EESZ_EEDaSU_SV_EUlSU_E_NS1_11comp_targetILNS1_3genE10ELNS1_11target_archE1201ELNS1_3gpuE5ELNS1_3repE0EEENS1_30default_config_static_selectorELNS0_4arch9wavefront6targetE1EEEvT1_, .Lfunc_end46-_ZN7rocprim17ROCPRIM_400000_NS6detail17trampoline_kernelINS0_14default_configENS1_27scan_by_key_config_selectorIiiEEZZNS1_16scan_by_key_implILNS1_25lookback_scan_determinismE0ELb0ES3_N6thrust23THRUST_200600_302600_NS6detail15normal_iteratorINS9_10device_ptrIiEEEESE_SE_iNS9_4plusIvEE19head_flag_predicateIiEiEE10hipError_tPvRmT2_T3_T4_T5_mT6_T7_P12ihipStream_tbENKUlT_T0_E_clISt17integral_constantIbLb0EESZ_EEDaSU_SV_EUlSU_E_NS1_11comp_targetILNS1_3genE10ELNS1_11target_archE1201ELNS1_3gpuE5ELNS1_3repE0EEENS1_30default_config_static_selectorELNS0_4arch9wavefront6targetE1EEEvT1_
                                        ; -- End function
	.section	.AMDGPU.csdata,"",@progbits
; Kernel info:
; codeLenInByte = 0
; NumSgprs: 4
; NumVgprs: 0
; NumAgprs: 0
; TotalNumVgprs: 0
; ScratchSize: 0
; MemoryBound: 0
; FloatMode: 240
; IeeeMode: 1
; LDSByteSize: 0 bytes/workgroup (compile time only)
; SGPRBlocks: 0
; VGPRBlocks: 0
; NumSGPRsForWavesPerEU: 4
; NumVGPRsForWavesPerEU: 1
; AccumOffset: 4
; Occupancy: 8
; WaveLimiterHint : 0
; COMPUTE_PGM_RSRC2:SCRATCH_EN: 0
; COMPUTE_PGM_RSRC2:USER_SGPR: 6
; COMPUTE_PGM_RSRC2:TRAP_HANDLER: 0
; COMPUTE_PGM_RSRC2:TGID_X_EN: 1
; COMPUTE_PGM_RSRC2:TGID_Y_EN: 0
; COMPUTE_PGM_RSRC2:TGID_Z_EN: 0
; COMPUTE_PGM_RSRC2:TIDIG_COMP_CNT: 0
; COMPUTE_PGM_RSRC3_GFX90A:ACCUM_OFFSET: 0
; COMPUTE_PGM_RSRC3_GFX90A:TG_SPLIT: 0
	.section	.text._ZN7rocprim17ROCPRIM_400000_NS6detail17trampoline_kernelINS0_14default_configENS1_27scan_by_key_config_selectorIiiEEZZNS1_16scan_by_key_implILNS1_25lookback_scan_determinismE0ELb0ES3_N6thrust23THRUST_200600_302600_NS6detail15normal_iteratorINS9_10device_ptrIiEEEESE_SE_iNS9_4plusIvEE19head_flag_predicateIiEiEE10hipError_tPvRmT2_T3_T4_T5_mT6_T7_P12ihipStream_tbENKUlT_T0_E_clISt17integral_constantIbLb0EESZ_EEDaSU_SV_EUlSU_E_NS1_11comp_targetILNS1_3genE5ELNS1_11target_archE942ELNS1_3gpuE9ELNS1_3repE0EEENS1_30default_config_static_selectorELNS0_4arch9wavefront6targetE1EEEvT1_,"axG",@progbits,_ZN7rocprim17ROCPRIM_400000_NS6detail17trampoline_kernelINS0_14default_configENS1_27scan_by_key_config_selectorIiiEEZZNS1_16scan_by_key_implILNS1_25lookback_scan_determinismE0ELb0ES3_N6thrust23THRUST_200600_302600_NS6detail15normal_iteratorINS9_10device_ptrIiEEEESE_SE_iNS9_4plusIvEE19head_flag_predicateIiEiEE10hipError_tPvRmT2_T3_T4_T5_mT6_T7_P12ihipStream_tbENKUlT_T0_E_clISt17integral_constantIbLb0EESZ_EEDaSU_SV_EUlSU_E_NS1_11comp_targetILNS1_3genE5ELNS1_11target_archE942ELNS1_3gpuE9ELNS1_3repE0EEENS1_30default_config_static_selectorELNS0_4arch9wavefront6targetE1EEEvT1_,comdat
	.protected	_ZN7rocprim17ROCPRIM_400000_NS6detail17trampoline_kernelINS0_14default_configENS1_27scan_by_key_config_selectorIiiEEZZNS1_16scan_by_key_implILNS1_25lookback_scan_determinismE0ELb0ES3_N6thrust23THRUST_200600_302600_NS6detail15normal_iteratorINS9_10device_ptrIiEEEESE_SE_iNS9_4plusIvEE19head_flag_predicateIiEiEE10hipError_tPvRmT2_T3_T4_T5_mT6_T7_P12ihipStream_tbENKUlT_T0_E_clISt17integral_constantIbLb0EESZ_EEDaSU_SV_EUlSU_E_NS1_11comp_targetILNS1_3genE5ELNS1_11target_archE942ELNS1_3gpuE9ELNS1_3repE0EEENS1_30default_config_static_selectorELNS0_4arch9wavefront6targetE1EEEvT1_ ; -- Begin function _ZN7rocprim17ROCPRIM_400000_NS6detail17trampoline_kernelINS0_14default_configENS1_27scan_by_key_config_selectorIiiEEZZNS1_16scan_by_key_implILNS1_25lookback_scan_determinismE0ELb0ES3_N6thrust23THRUST_200600_302600_NS6detail15normal_iteratorINS9_10device_ptrIiEEEESE_SE_iNS9_4plusIvEE19head_flag_predicateIiEiEE10hipError_tPvRmT2_T3_T4_T5_mT6_T7_P12ihipStream_tbENKUlT_T0_E_clISt17integral_constantIbLb0EESZ_EEDaSU_SV_EUlSU_E_NS1_11comp_targetILNS1_3genE5ELNS1_11target_archE942ELNS1_3gpuE9ELNS1_3repE0EEENS1_30default_config_static_selectorELNS0_4arch9wavefront6targetE1EEEvT1_
	.globl	_ZN7rocprim17ROCPRIM_400000_NS6detail17trampoline_kernelINS0_14default_configENS1_27scan_by_key_config_selectorIiiEEZZNS1_16scan_by_key_implILNS1_25lookback_scan_determinismE0ELb0ES3_N6thrust23THRUST_200600_302600_NS6detail15normal_iteratorINS9_10device_ptrIiEEEESE_SE_iNS9_4plusIvEE19head_flag_predicateIiEiEE10hipError_tPvRmT2_T3_T4_T5_mT6_T7_P12ihipStream_tbENKUlT_T0_E_clISt17integral_constantIbLb0EESZ_EEDaSU_SV_EUlSU_E_NS1_11comp_targetILNS1_3genE5ELNS1_11target_archE942ELNS1_3gpuE9ELNS1_3repE0EEENS1_30default_config_static_selectorELNS0_4arch9wavefront6targetE1EEEvT1_
	.p2align	8
	.type	_ZN7rocprim17ROCPRIM_400000_NS6detail17trampoline_kernelINS0_14default_configENS1_27scan_by_key_config_selectorIiiEEZZNS1_16scan_by_key_implILNS1_25lookback_scan_determinismE0ELb0ES3_N6thrust23THRUST_200600_302600_NS6detail15normal_iteratorINS9_10device_ptrIiEEEESE_SE_iNS9_4plusIvEE19head_flag_predicateIiEiEE10hipError_tPvRmT2_T3_T4_T5_mT6_T7_P12ihipStream_tbENKUlT_T0_E_clISt17integral_constantIbLb0EESZ_EEDaSU_SV_EUlSU_E_NS1_11comp_targetILNS1_3genE5ELNS1_11target_archE942ELNS1_3gpuE9ELNS1_3repE0EEENS1_30default_config_static_selectorELNS0_4arch9wavefront6targetE1EEEvT1_,@function
_ZN7rocprim17ROCPRIM_400000_NS6detail17trampoline_kernelINS0_14default_configENS1_27scan_by_key_config_selectorIiiEEZZNS1_16scan_by_key_implILNS1_25lookback_scan_determinismE0ELb0ES3_N6thrust23THRUST_200600_302600_NS6detail15normal_iteratorINS9_10device_ptrIiEEEESE_SE_iNS9_4plusIvEE19head_flag_predicateIiEiEE10hipError_tPvRmT2_T3_T4_T5_mT6_T7_P12ihipStream_tbENKUlT_T0_E_clISt17integral_constantIbLb0EESZ_EEDaSU_SV_EUlSU_E_NS1_11comp_targetILNS1_3genE5ELNS1_11target_archE942ELNS1_3gpuE9ELNS1_3repE0EEENS1_30default_config_static_selectorELNS0_4arch9wavefront6targetE1EEEvT1_: ; @_ZN7rocprim17ROCPRIM_400000_NS6detail17trampoline_kernelINS0_14default_configENS1_27scan_by_key_config_selectorIiiEEZZNS1_16scan_by_key_implILNS1_25lookback_scan_determinismE0ELb0ES3_N6thrust23THRUST_200600_302600_NS6detail15normal_iteratorINS9_10device_ptrIiEEEESE_SE_iNS9_4plusIvEE19head_flag_predicateIiEiEE10hipError_tPvRmT2_T3_T4_T5_mT6_T7_P12ihipStream_tbENKUlT_T0_E_clISt17integral_constantIbLb0EESZ_EEDaSU_SV_EUlSU_E_NS1_11comp_targetILNS1_3genE5ELNS1_11target_archE942ELNS1_3gpuE9ELNS1_3repE0EEENS1_30default_config_static_selectorELNS0_4arch9wavefront6targetE1EEEvT1_
; %bb.0:
	.section	.rodata,"a",@progbits
	.p2align	6, 0x0
	.amdhsa_kernel _ZN7rocprim17ROCPRIM_400000_NS6detail17trampoline_kernelINS0_14default_configENS1_27scan_by_key_config_selectorIiiEEZZNS1_16scan_by_key_implILNS1_25lookback_scan_determinismE0ELb0ES3_N6thrust23THRUST_200600_302600_NS6detail15normal_iteratorINS9_10device_ptrIiEEEESE_SE_iNS9_4plusIvEE19head_flag_predicateIiEiEE10hipError_tPvRmT2_T3_T4_T5_mT6_T7_P12ihipStream_tbENKUlT_T0_E_clISt17integral_constantIbLb0EESZ_EEDaSU_SV_EUlSU_E_NS1_11comp_targetILNS1_3genE5ELNS1_11target_archE942ELNS1_3gpuE9ELNS1_3repE0EEENS1_30default_config_static_selectorELNS0_4arch9wavefront6targetE1EEEvT1_
		.amdhsa_group_segment_fixed_size 0
		.amdhsa_private_segment_fixed_size 0
		.amdhsa_kernarg_size 112
		.amdhsa_user_sgpr_count 6
		.amdhsa_user_sgpr_private_segment_buffer 1
		.amdhsa_user_sgpr_dispatch_ptr 0
		.amdhsa_user_sgpr_queue_ptr 0
		.amdhsa_user_sgpr_kernarg_segment_ptr 1
		.amdhsa_user_sgpr_dispatch_id 0
		.amdhsa_user_sgpr_flat_scratch_init 0
		.amdhsa_user_sgpr_kernarg_preload_length 0
		.amdhsa_user_sgpr_kernarg_preload_offset 0
		.amdhsa_user_sgpr_private_segment_size 0
		.amdhsa_uses_dynamic_stack 0
		.amdhsa_system_sgpr_private_segment_wavefront_offset 0
		.amdhsa_system_sgpr_workgroup_id_x 1
		.amdhsa_system_sgpr_workgroup_id_y 0
		.amdhsa_system_sgpr_workgroup_id_z 0
		.amdhsa_system_sgpr_workgroup_info 0
		.amdhsa_system_vgpr_workitem_id 0
		.amdhsa_next_free_vgpr 1
		.amdhsa_next_free_sgpr 0
		.amdhsa_accum_offset 4
		.amdhsa_reserve_vcc 0
		.amdhsa_reserve_flat_scratch 0
		.amdhsa_float_round_mode_32 0
		.amdhsa_float_round_mode_16_64 0
		.amdhsa_float_denorm_mode_32 3
		.amdhsa_float_denorm_mode_16_64 3
		.amdhsa_dx10_clamp 1
		.amdhsa_ieee_mode 1
		.amdhsa_fp16_overflow 0
		.amdhsa_tg_split 0
		.amdhsa_exception_fp_ieee_invalid_op 0
		.amdhsa_exception_fp_denorm_src 0
		.amdhsa_exception_fp_ieee_div_zero 0
		.amdhsa_exception_fp_ieee_overflow 0
		.amdhsa_exception_fp_ieee_underflow 0
		.amdhsa_exception_fp_ieee_inexact 0
		.amdhsa_exception_int_div_zero 0
	.end_amdhsa_kernel
	.section	.text._ZN7rocprim17ROCPRIM_400000_NS6detail17trampoline_kernelINS0_14default_configENS1_27scan_by_key_config_selectorIiiEEZZNS1_16scan_by_key_implILNS1_25lookback_scan_determinismE0ELb0ES3_N6thrust23THRUST_200600_302600_NS6detail15normal_iteratorINS9_10device_ptrIiEEEESE_SE_iNS9_4plusIvEE19head_flag_predicateIiEiEE10hipError_tPvRmT2_T3_T4_T5_mT6_T7_P12ihipStream_tbENKUlT_T0_E_clISt17integral_constantIbLb0EESZ_EEDaSU_SV_EUlSU_E_NS1_11comp_targetILNS1_3genE5ELNS1_11target_archE942ELNS1_3gpuE9ELNS1_3repE0EEENS1_30default_config_static_selectorELNS0_4arch9wavefront6targetE1EEEvT1_,"axG",@progbits,_ZN7rocprim17ROCPRIM_400000_NS6detail17trampoline_kernelINS0_14default_configENS1_27scan_by_key_config_selectorIiiEEZZNS1_16scan_by_key_implILNS1_25lookback_scan_determinismE0ELb0ES3_N6thrust23THRUST_200600_302600_NS6detail15normal_iteratorINS9_10device_ptrIiEEEESE_SE_iNS9_4plusIvEE19head_flag_predicateIiEiEE10hipError_tPvRmT2_T3_T4_T5_mT6_T7_P12ihipStream_tbENKUlT_T0_E_clISt17integral_constantIbLb0EESZ_EEDaSU_SV_EUlSU_E_NS1_11comp_targetILNS1_3genE5ELNS1_11target_archE942ELNS1_3gpuE9ELNS1_3repE0EEENS1_30default_config_static_selectorELNS0_4arch9wavefront6targetE1EEEvT1_,comdat
.Lfunc_end47:
	.size	_ZN7rocprim17ROCPRIM_400000_NS6detail17trampoline_kernelINS0_14default_configENS1_27scan_by_key_config_selectorIiiEEZZNS1_16scan_by_key_implILNS1_25lookback_scan_determinismE0ELb0ES3_N6thrust23THRUST_200600_302600_NS6detail15normal_iteratorINS9_10device_ptrIiEEEESE_SE_iNS9_4plusIvEE19head_flag_predicateIiEiEE10hipError_tPvRmT2_T3_T4_T5_mT6_T7_P12ihipStream_tbENKUlT_T0_E_clISt17integral_constantIbLb0EESZ_EEDaSU_SV_EUlSU_E_NS1_11comp_targetILNS1_3genE5ELNS1_11target_archE942ELNS1_3gpuE9ELNS1_3repE0EEENS1_30default_config_static_selectorELNS0_4arch9wavefront6targetE1EEEvT1_, .Lfunc_end47-_ZN7rocprim17ROCPRIM_400000_NS6detail17trampoline_kernelINS0_14default_configENS1_27scan_by_key_config_selectorIiiEEZZNS1_16scan_by_key_implILNS1_25lookback_scan_determinismE0ELb0ES3_N6thrust23THRUST_200600_302600_NS6detail15normal_iteratorINS9_10device_ptrIiEEEESE_SE_iNS9_4plusIvEE19head_flag_predicateIiEiEE10hipError_tPvRmT2_T3_T4_T5_mT6_T7_P12ihipStream_tbENKUlT_T0_E_clISt17integral_constantIbLb0EESZ_EEDaSU_SV_EUlSU_E_NS1_11comp_targetILNS1_3genE5ELNS1_11target_archE942ELNS1_3gpuE9ELNS1_3repE0EEENS1_30default_config_static_selectorELNS0_4arch9wavefront6targetE1EEEvT1_
                                        ; -- End function
	.section	.AMDGPU.csdata,"",@progbits
; Kernel info:
; codeLenInByte = 0
; NumSgprs: 4
; NumVgprs: 0
; NumAgprs: 0
; TotalNumVgprs: 0
; ScratchSize: 0
; MemoryBound: 0
; FloatMode: 240
; IeeeMode: 1
; LDSByteSize: 0 bytes/workgroup (compile time only)
; SGPRBlocks: 0
; VGPRBlocks: 0
; NumSGPRsForWavesPerEU: 4
; NumVGPRsForWavesPerEU: 1
; AccumOffset: 4
; Occupancy: 8
; WaveLimiterHint : 0
; COMPUTE_PGM_RSRC2:SCRATCH_EN: 0
; COMPUTE_PGM_RSRC2:USER_SGPR: 6
; COMPUTE_PGM_RSRC2:TRAP_HANDLER: 0
; COMPUTE_PGM_RSRC2:TGID_X_EN: 1
; COMPUTE_PGM_RSRC2:TGID_Y_EN: 0
; COMPUTE_PGM_RSRC2:TGID_Z_EN: 0
; COMPUTE_PGM_RSRC2:TIDIG_COMP_CNT: 0
; COMPUTE_PGM_RSRC3_GFX90A:ACCUM_OFFSET: 0
; COMPUTE_PGM_RSRC3_GFX90A:TG_SPLIT: 0
	.section	.text._ZN7rocprim17ROCPRIM_400000_NS6detail17trampoline_kernelINS0_14default_configENS1_27scan_by_key_config_selectorIiiEEZZNS1_16scan_by_key_implILNS1_25lookback_scan_determinismE0ELb0ES3_N6thrust23THRUST_200600_302600_NS6detail15normal_iteratorINS9_10device_ptrIiEEEESE_SE_iNS9_4plusIvEE19head_flag_predicateIiEiEE10hipError_tPvRmT2_T3_T4_T5_mT6_T7_P12ihipStream_tbENKUlT_T0_E_clISt17integral_constantIbLb0EESZ_EEDaSU_SV_EUlSU_E_NS1_11comp_targetILNS1_3genE4ELNS1_11target_archE910ELNS1_3gpuE8ELNS1_3repE0EEENS1_30default_config_static_selectorELNS0_4arch9wavefront6targetE1EEEvT1_,"axG",@progbits,_ZN7rocprim17ROCPRIM_400000_NS6detail17trampoline_kernelINS0_14default_configENS1_27scan_by_key_config_selectorIiiEEZZNS1_16scan_by_key_implILNS1_25lookback_scan_determinismE0ELb0ES3_N6thrust23THRUST_200600_302600_NS6detail15normal_iteratorINS9_10device_ptrIiEEEESE_SE_iNS9_4plusIvEE19head_flag_predicateIiEiEE10hipError_tPvRmT2_T3_T4_T5_mT6_T7_P12ihipStream_tbENKUlT_T0_E_clISt17integral_constantIbLb0EESZ_EEDaSU_SV_EUlSU_E_NS1_11comp_targetILNS1_3genE4ELNS1_11target_archE910ELNS1_3gpuE8ELNS1_3repE0EEENS1_30default_config_static_selectorELNS0_4arch9wavefront6targetE1EEEvT1_,comdat
	.protected	_ZN7rocprim17ROCPRIM_400000_NS6detail17trampoline_kernelINS0_14default_configENS1_27scan_by_key_config_selectorIiiEEZZNS1_16scan_by_key_implILNS1_25lookback_scan_determinismE0ELb0ES3_N6thrust23THRUST_200600_302600_NS6detail15normal_iteratorINS9_10device_ptrIiEEEESE_SE_iNS9_4plusIvEE19head_flag_predicateIiEiEE10hipError_tPvRmT2_T3_T4_T5_mT6_T7_P12ihipStream_tbENKUlT_T0_E_clISt17integral_constantIbLb0EESZ_EEDaSU_SV_EUlSU_E_NS1_11comp_targetILNS1_3genE4ELNS1_11target_archE910ELNS1_3gpuE8ELNS1_3repE0EEENS1_30default_config_static_selectorELNS0_4arch9wavefront6targetE1EEEvT1_ ; -- Begin function _ZN7rocprim17ROCPRIM_400000_NS6detail17trampoline_kernelINS0_14default_configENS1_27scan_by_key_config_selectorIiiEEZZNS1_16scan_by_key_implILNS1_25lookback_scan_determinismE0ELb0ES3_N6thrust23THRUST_200600_302600_NS6detail15normal_iteratorINS9_10device_ptrIiEEEESE_SE_iNS9_4plusIvEE19head_flag_predicateIiEiEE10hipError_tPvRmT2_T3_T4_T5_mT6_T7_P12ihipStream_tbENKUlT_T0_E_clISt17integral_constantIbLb0EESZ_EEDaSU_SV_EUlSU_E_NS1_11comp_targetILNS1_3genE4ELNS1_11target_archE910ELNS1_3gpuE8ELNS1_3repE0EEENS1_30default_config_static_selectorELNS0_4arch9wavefront6targetE1EEEvT1_
	.globl	_ZN7rocprim17ROCPRIM_400000_NS6detail17trampoline_kernelINS0_14default_configENS1_27scan_by_key_config_selectorIiiEEZZNS1_16scan_by_key_implILNS1_25lookback_scan_determinismE0ELb0ES3_N6thrust23THRUST_200600_302600_NS6detail15normal_iteratorINS9_10device_ptrIiEEEESE_SE_iNS9_4plusIvEE19head_flag_predicateIiEiEE10hipError_tPvRmT2_T3_T4_T5_mT6_T7_P12ihipStream_tbENKUlT_T0_E_clISt17integral_constantIbLb0EESZ_EEDaSU_SV_EUlSU_E_NS1_11comp_targetILNS1_3genE4ELNS1_11target_archE910ELNS1_3gpuE8ELNS1_3repE0EEENS1_30default_config_static_selectorELNS0_4arch9wavefront6targetE1EEEvT1_
	.p2align	8
	.type	_ZN7rocprim17ROCPRIM_400000_NS6detail17trampoline_kernelINS0_14default_configENS1_27scan_by_key_config_selectorIiiEEZZNS1_16scan_by_key_implILNS1_25lookback_scan_determinismE0ELb0ES3_N6thrust23THRUST_200600_302600_NS6detail15normal_iteratorINS9_10device_ptrIiEEEESE_SE_iNS9_4plusIvEE19head_flag_predicateIiEiEE10hipError_tPvRmT2_T3_T4_T5_mT6_T7_P12ihipStream_tbENKUlT_T0_E_clISt17integral_constantIbLb0EESZ_EEDaSU_SV_EUlSU_E_NS1_11comp_targetILNS1_3genE4ELNS1_11target_archE910ELNS1_3gpuE8ELNS1_3repE0EEENS1_30default_config_static_selectorELNS0_4arch9wavefront6targetE1EEEvT1_,@function
_ZN7rocprim17ROCPRIM_400000_NS6detail17trampoline_kernelINS0_14default_configENS1_27scan_by_key_config_selectorIiiEEZZNS1_16scan_by_key_implILNS1_25lookback_scan_determinismE0ELb0ES3_N6thrust23THRUST_200600_302600_NS6detail15normal_iteratorINS9_10device_ptrIiEEEESE_SE_iNS9_4plusIvEE19head_flag_predicateIiEiEE10hipError_tPvRmT2_T3_T4_T5_mT6_T7_P12ihipStream_tbENKUlT_T0_E_clISt17integral_constantIbLb0EESZ_EEDaSU_SV_EUlSU_E_NS1_11comp_targetILNS1_3genE4ELNS1_11target_archE910ELNS1_3gpuE8ELNS1_3repE0EEENS1_30default_config_static_selectorELNS0_4arch9wavefront6targetE1EEEvT1_: ; @_ZN7rocprim17ROCPRIM_400000_NS6detail17trampoline_kernelINS0_14default_configENS1_27scan_by_key_config_selectorIiiEEZZNS1_16scan_by_key_implILNS1_25lookback_scan_determinismE0ELb0ES3_N6thrust23THRUST_200600_302600_NS6detail15normal_iteratorINS9_10device_ptrIiEEEESE_SE_iNS9_4plusIvEE19head_flag_predicateIiEiEE10hipError_tPvRmT2_T3_T4_T5_mT6_T7_P12ihipStream_tbENKUlT_T0_E_clISt17integral_constantIbLb0EESZ_EEDaSU_SV_EUlSU_E_NS1_11comp_targetILNS1_3genE4ELNS1_11target_archE910ELNS1_3gpuE8ELNS1_3repE0EEENS1_30default_config_static_selectorELNS0_4arch9wavefront6targetE1EEEvT1_
; %bb.0:
	s_load_dwordx8 s[36:43], s[4:5], 0x0
	s_load_dwordx4 s[44:47], s[4:5], 0x28
	s_load_dwordx2 s[52:53], s[4:5], 0x38
	s_load_dword s0, s[4:5], 0x40
	s_load_dwordx4 s[48:51], s[4:5], 0x48
	s_waitcnt lgkmcnt(0)
	s_lshl_b64 s[38:39], s[38:39], 2
	s_add_u32 s2, s36, s38
	s_addc_u32 s3, s37, s39
	s_add_u32 s4, s40, s38
	s_mul_i32 s1, s53, s0
	s_mul_hi_u32 s7, s52, s0
	s_addc_u32 s5, s41, s39
	s_add_i32 s8, s7, s1
	s_mul_i32 s9, s52, s0
	s_mul_i32 s0, s6, 0xe00
	s_mov_b32 s1, 0
	s_lshl_b64 s[36:37], s[0:1], 2
	s_add_u32 s34, s2, s36
	s_addc_u32 s35, s3, s37
	s_add_u32 s7, s4, s36
	s_addc_u32 s47, s5, s37
	;; [unrolled: 2-line block ×3, first 2 shown]
	s_add_u32 s4, s48, -1
	s_addc_u32 s5, s49, -1
	v_pk_mov_b32 v[2:3], s[4:5], s[4:5] op_sel:[0,1]
	v_cmp_ge_u64_e64 s[0:1], s[0:1], v[2:3]
	s_mov_b64 s[2:3], -1
	s_and_b64 vcc, exec, s[0:1]
	s_mul_i32 s33, s4, 0xfffff200
	s_barrier
	s_cbranch_vccz .LBB48_72
; %bb.1:
	v_pk_mov_b32 v[2:3], s[34:35], s[34:35] op_sel:[0,1]
	flat_load_dword v1, v[2:3]
	s_add_i32 s48, s33, s46
	v_cmp_gt_u32_e32 vcc, s48, v0
	s_waitcnt vmcnt(0) lgkmcnt(0)
	v_mov_b32_e32 v13, v1
	s_and_saveexec_b64 s[4:5], vcc
	s_cbranch_execz .LBB48_3
; %bb.2:
	v_lshlrev_b32_e32 v2, 2, v0
	v_mov_b32_e32 v3, s35
	v_add_co_u32_e64 v2, s[2:3], s34, v2
	v_addc_co_u32_e64 v3, s[2:3], 0, v3, s[2:3]
	flat_load_dword v13, v[2:3]
.LBB48_3:
	s_or_b64 exec, exec, s[4:5]
	v_or_b32_e32 v2, 0x100, v0
	v_cmp_gt_u32_e64 s[2:3], s48, v2
	v_mov_b32_e32 v14, v1
	s_and_saveexec_b64 s[8:9], s[2:3]
	s_cbranch_execz .LBB48_5
; %bb.4:
	v_lshlrev_b32_e32 v2, 2, v0
	v_mov_b32_e32 v3, s35
	v_add_co_u32_e64 v2, s[4:5], s34, v2
	v_addc_co_u32_e64 v3, s[4:5], 0, v3, s[4:5]
	flat_load_dword v14, v[2:3] offset:1024
.LBB48_5:
	s_or_b64 exec, exec, s[8:9]
	v_or_b32_e32 v2, 0x200, v0
	v_cmp_gt_u32_e64 s[4:5], s48, v2
	v_mov_b32_e32 v15, v1
	s_and_saveexec_b64 s[10:11], s[4:5]
	s_cbranch_execz .LBB48_7
; %bb.6:
	v_lshlrev_b32_e32 v2, 2, v0
	v_mov_b32_e32 v3, s35
	v_add_co_u32_e64 v2, s[8:9], s34, v2
	v_addc_co_u32_e64 v3, s[8:9], 0, v3, s[8:9]
	flat_load_dword v15, v[2:3] offset:2048
.LBB48_7:
	;; [unrolled: 13-line block ×3, first 2 shown]
	s_or_b64 exec, exec, s[10:11]
	v_or_b32_e32 v2, 0x400, v0
	v_cmp_gt_u32_e64 s[8:9], s48, v2
	v_lshlrev_b32_e32 v2, 2, v2
	v_mov_b32_e32 v17, v1
	s_and_saveexec_b64 s[12:13], s[8:9]
	s_cbranch_execz .LBB48_11
; %bb.10:
	v_mov_b32_e32 v3, s35
	v_add_co_u32_e64 v4, s[10:11], s34, v2
	v_addc_co_u32_e64 v5, s[10:11], 0, v3, s[10:11]
	flat_load_dword v17, v[4:5]
.LBB48_11:
	s_or_b64 exec, exec, s[12:13]
	v_or_b32_e32 v3, 0x500, v0
	v_cmp_gt_u32_e64 s[10:11], s48, v3
	v_lshlrev_b32_e32 v3, 2, v3
	v_mov_b32_e32 v18, v1
	s_and_saveexec_b64 s[14:15], s[10:11]
	s_cbranch_execz .LBB48_13
; %bb.12:
	v_mov_b32_e32 v5, s35
	v_add_co_u32_e64 v4, s[12:13], s34, v3
	v_addc_co_u32_e64 v5, s[12:13], 0, v5, s[12:13]
	flat_load_dword v18, v[4:5]
.LBB48_13:
	;; [unrolled: 13-line block ×9, first 2 shown]
	s_or_b64 exec, exec, s[30:31]
	v_or_b32_e32 v11, 0xd00, v0
	v_cmp_gt_u32_e64 s[26:27], s48, v11
	v_lshlrev_b32_e32 v11, 2, v11
	s_and_saveexec_b64 s[40:41], s[26:27]
	s_cbranch_execz .LBB48_29
; %bb.28:
	v_mov_b32_e32 v1, s35
	v_add_co_u32_e64 v26, s[30:31], s34, v11
	v_addc_co_u32_e64 v27, s[30:31], 0, v1, s[30:31]
	flat_load_dword v1, v[26:27]
.LBB48_29:
	s_or_b64 exec, exec, s[40:41]
	v_lshlrev_b32_e32 v12, 2, v0
	s_waitcnt vmcnt(0) lgkmcnt(0)
	ds_write2st64_b32 v12, v13, v14 offset1:4
	ds_write2st64_b32 v12, v15, v16 offset0:8 offset1:12
	ds_write2st64_b32 v12, v17, v18 offset0:16 offset1:20
	ds_write2st64_b32 v12, v19, v20 offset0:24 offset1:28
	ds_write2st64_b32 v12, v21, v22 offset0:32 offset1:36
	ds_write2st64_b32 v12, v23, v24 offset0:40 offset1:44
	ds_write2st64_b32 v12, v25, v1 offset0:48 offset1:52
	v_mad_u32_u24 v1, v0, 52, v12
	s_waitcnt lgkmcnt(0)
	s_barrier
	ds_read2_b64 v[26:29], v1 offset0:4 offset1:5
	ds_read_b64 v[42:43], v1 offset:48
	ds_read2_b64 v[34:37], v1 offset1:1
	ds_read2_b64 v[30:33], v1 offset0:2 offset1:3
	s_movk_i32 s30, 0xffcc
	v_mad_i32_i24 v13, v0, s30, v1
	s_waitcnt lgkmcnt(2)
	ds_write_b32 v13, v43 offset:14336
	s_waitcnt lgkmcnt(0)
	s_barrier
	s_barrier
	s_waitcnt lgkmcnt(0)
                                        ; implicit-def: $vgpr13
	s_and_saveexec_b64 s[30:31], vcc
	s_cbranch_execz .LBB48_105
; %bb.30:
	v_mov_b32_e32 v13, s47
	v_add_co_u32_e32 v14, vcc, s7, v12
	v_addc_co_u32_e32 v15, vcc, 0, v13, vcc
	flat_load_dword v13, v[14:15]
	s_or_b64 exec, exec, s[30:31]
                                        ; implicit-def: $vgpr14
	s_and_saveexec_b64 s[30:31], s[2:3]
	s_cbranch_execnz .LBB48_106
.LBB48_31:
	s_or_b64 exec, exec, s[30:31]
                                        ; implicit-def: $vgpr15
	s_and_saveexec_b64 s[2:3], s[4:5]
	s_cbranch_execz .LBB48_107
.LBB48_32:
	v_mov_b32_e32 v15, s47
	v_add_co_u32_e32 v16, vcc, s7, v12
	v_addc_co_u32_e32 v17, vcc, 0, v15, vcc
	flat_load_dword v15, v[16:17] offset:2048
	s_or_b64 exec, exec, s[2:3]
                                        ; implicit-def: $vgpr16
	s_and_saveexec_b64 s[2:3], s[28:29]
	s_cbranch_execnz .LBB48_108
.LBB48_33:
	s_or_b64 exec, exec, s[2:3]
                                        ; implicit-def: $vgpr17
	s_and_saveexec_b64 s[2:3], s[8:9]
	s_cbranch_execz .LBB48_109
.LBB48_34:
	v_mov_b32_e32 v17, s47
	v_add_co_u32_e32 v18, vcc, s7, v2
	v_addc_co_u32_e32 v19, vcc, 0, v17, vcc
	flat_load_dword v17, v[18:19]
	s_or_b64 exec, exec, s[2:3]
                                        ; implicit-def: $vgpr2
	s_and_saveexec_b64 s[2:3], s[10:11]
	s_cbranch_execnz .LBB48_110
.LBB48_35:
	s_or_b64 exec, exec, s[2:3]
                                        ; implicit-def: $vgpr3
	s_and_saveexec_b64 s[2:3], s[12:13]
	s_cbranch_execz .LBB48_111
.LBB48_36:
	v_mov_b32_e32 v3, s47
	v_add_co_u32_e32 v18, vcc, s7, v4
	v_addc_co_u32_e32 v19, vcc, 0, v3, vcc
	flat_load_dword v3, v[18:19]
	s_or_b64 exec, exec, s[2:3]
                                        ; implicit-def: $vgpr4
	s_and_saveexec_b64 s[2:3], s[14:15]
	s_cbranch_execnz .LBB48_112
.LBB48_37:
	s_or_b64 exec, exec, s[2:3]
                                        ; implicit-def: $vgpr5
	s_and_saveexec_b64 s[2:3], s[16:17]
	s_cbranch_execz .LBB48_113
.LBB48_38:
	v_mov_b32_e32 v5, s47
	v_add_co_u32_e32 v18, vcc, s7, v6
	v_addc_co_u32_e32 v19, vcc, 0, v5, vcc
	flat_load_dword v5, v[18:19]
	s_or_b64 exec, exec, s[2:3]
                                        ; implicit-def: $vgpr6
	s_and_saveexec_b64 s[2:3], s[18:19]
	s_cbranch_execnz .LBB48_114
.LBB48_39:
	s_or_b64 exec, exec, s[2:3]
                                        ; implicit-def: $vgpr7
	s_and_saveexec_b64 s[2:3], s[20:21]
	s_cbranch_execz .LBB48_115
.LBB48_40:
	v_mov_b32_e32 v7, s47
	v_add_co_u32_e32 v18, vcc, s7, v8
	v_addc_co_u32_e32 v19, vcc, 0, v7, vcc
	flat_load_dword v7, v[18:19]
	s_or_b64 exec, exec, s[2:3]
                                        ; implicit-def: $vgpr8
	s_and_saveexec_b64 s[2:3], s[22:23]
	s_cbranch_execnz .LBB48_116
.LBB48_41:
	s_or_b64 exec, exec, s[2:3]
                                        ; implicit-def: $vgpr9
	s_and_saveexec_b64 s[2:3], s[24:25]
	s_cbranch_execz .LBB48_43
.LBB48_42:
	v_mov_b32_e32 v9, s47
	v_add_co_u32_e32 v18, vcc, s7, v10
	v_addc_co_u32_e32 v19, vcc, 0, v9, vcc
	flat_load_dword v9, v[18:19]
.LBB48_43:
	s_or_b64 exec, exec, s[2:3]
	v_mul_u32_u24_e32 v44, 14, v0
                                        ; implicit-def: $vgpr10
	s_and_saveexec_b64 s[2:3], s[26:27]
	s_cbranch_execz .LBB48_45
; %bb.44:
	v_mov_b32_e32 v18, s47
	v_add_co_u32_e32 v10, vcc, s7, v11
	v_addc_co_u32_e32 v11, vcc, 0, v18, vcc
	flat_load_dword v10, v[10:11]
.LBB48_45:
	s_or_b64 exec, exec, s[2:3]
	s_mov_b32 s8, 0
	s_mov_b32 s9, s8
	s_waitcnt vmcnt(0) lgkmcnt(0)
	ds_write2st64_b32 v12, v13, v14 offset1:4
	ds_write2st64_b32 v12, v15, v16 offset0:8 offset1:12
	ds_write2st64_b32 v12, v17, v2 offset0:16 offset1:20
	;; [unrolled: 1-line block ×6, first 2 shown]
	s_mov_b32 s10, s8
	s_mov_b32 s11, s8
	;; [unrolled: 1-line block ×6, first 2 shown]
	v_pk_mov_b32 v[2:3], s[8:9], s[8:9] op_sel:[0,1]
	v_pk_mov_b32 v[8:9], s[14:15], s[14:15] op_sel:[0,1]
	;; [unrolled: 1-line block ×6, first 2 shown]
	v_cmp_gt_u32_e32 vcc, s48, v44
	s_mov_b64 s[2:3], 0
	v_pk_mov_b32 v[38:39], 0, 0
	s_mov_b64 s[16:17], 0
	v_pk_mov_b32 v[14:15], v[6:7], v[6:7] op_sel:[0,1]
	v_pk_mov_b32 v[12:13], v[4:5], v[4:5] op_sel:[0,1]
	;; [unrolled: 1-line block ×6, first 2 shown]
	s_waitcnt lgkmcnt(0)
	s_barrier
	s_waitcnt lgkmcnt(0)
                                        ; implicit-def: $vgpr45
	s_and_saveexec_b64 s[4:5], vcc
	s_cbranch_execz .LBB48_71
; %bb.46:
	v_or_b32_e32 v2, 1, v44
	ds_read_b32 v38, v1
	v_cmp_ne_u32_e32 vcc, 0, v34
	v_cndmask_b32_e64 v39, 0, 1, vcc
	v_cmp_gt_u32_e32 vcc, s48, v2
	v_pk_mov_b32 v[2:3], s[8:9], s[8:9] op_sel:[0,1]
	v_pk_mov_b32 v[8:9], s[14:15], s[14:15] op_sel:[0,1]
	;; [unrolled: 1-line block ×6, first 2 shown]
	s_mov_b64 s[18:19], 0
	v_pk_mov_b32 v[14:15], v[6:7], v[6:7] op_sel:[0,1]
	v_pk_mov_b32 v[12:13], v[4:5], v[4:5] op_sel:[0,1]
	;; [unrolled: 1-line block ×6, first 2 shown]
                                        ; implicit-def: $vgpr45
	s_and_saveexec_b64 s[16:17], vcc
	s_cbranch_execz .LBB48_70
; %bb.47:
	ds_read2_b32 v[40:41], v1 offset0:1 offset1:2
	s_mov_b32 s14, s8
	s_mov_b32 s15, s8
	;; [unrolled: 1-line block ×7, first 2 shown]
	v_pk_mov_b32 v[16:17], s[14:15], s[14:15] op_sel:[0,1]
	v_add_u32_e32 v2, 2, v44
	v_cmp_ne_u32_e32 vcc, 0, v35
	v_mov_b32_e32 v6, 0
	v_pk_mov_b32 v[14:15], s[12:13], s[12:13] op_sel:[0,1]
	v_pk_mov_b32 v[12:13], s[10:11], s[10:11] op_sel:[0,1]
	;; [unrolled: 1-line block ×4, first 2 shown]
	v_cndmask_b32_e64 v3, 0, 1, vcc
	v_cmp_gt_u32_e32 vcc, s48, v2
	s_waitcnt lgkmcnt(0)
	v_mov_b32_e32 v2, v40
	v_mov_b32_e32 v4, v6
	;; [unrolled: 1-line block ×6, first 2 shown]
	s_mov_b64 s[20:21], 0
	v_pk_mov_b32 v[22:23], v[14:15], v[14:15] op_sel:[0,1]
	v_pk_mov_b32 v[20:21], v[12:13], v[12:13] op_sel:[0,1]
	;; [unrolled: 1-line block ×3, first 2 shown]
                                        ; implicit-def: $vgpr45
	s_and_saveexec_b64 s[18:19], vcc
	s_cbranch_execz .LBB48_69
; %bb.48:
	v_pk_mov_b32 v[16:17], s[14:15], s[14:15] op_sel:[0,1]
	v_add_u32_e32 v2, 3, v44
	v_cmp_ne_u32_e32 vcc, 0, v36
	v_pk_mov_b32 v[14:15], s[12:13], s[12:13] op_sel:[0,1]
	v_pk_mov_b32 v[12:13], s[10:11], s[10:11] op_sel:[0,1]
	;; [unrolled: 1-line block ×4, first 2 shown]
	v_cndmask_b32_e64 v5, 0, 1, vcc
	v_cmp_gt_u32_e32 vcc, s48, v2
	v_mov_b32_e32 v2, v40
	v_mov_b32_e32 v4, v41
	;; [unrolled: 1-line block ×5, first 2 shown]
	s_mov_b64 s[22:23], 0
	v_pk_mov_b32 v[22:23], v[14:15], v[14:15] op_sel:[0,1]
	v_pk_mov_b32 v[20:21], v[12:13], v[12:13] op_sel:[0,1]
	;; [unrolled: 1-line block ×3, first 2 shown]
                                        ; implicit-def: $vgpr45
	s_and_saveexec_b64 s[20:21], vcc
	s_cbranch_execz .LBB48_68
; %bb.49:
	ds_read2_b32 v[34:35], v1 offset0:3 offset1:4
	s_mov_b32 s14, s8
	s_mov_b32 s15, s8
	;; [unrolled: 1-line block ×7, first 2 shown]
	v_pk_mov_b32 v[16:17], s[14:15], s[14:15] op_sel:[0,1]
	v_add_u32_e32 v6, 4, v44
	v_cmp_ne_u32_e32 vcc, 0, v37
	v_pk_mov_b32 v[14:15], s[12:13], s[12:13] op_sel:[0,1]
	v_pk_mov_b32 v[12:13], s[10:11], s[10:11] op_sel:[0,1]
	;; [unrolled: 1-line block ×4, first 2 shown]
	v_cndmask_b32_e64 v7, 0, 1, vcc
	v_cmp_gt_u32_e32 vcc, s48, v6
	s_waitcnt lgkmcnt(0)
	v_mov_b32_e32 v6, v34
	v_mov_b32_e32 v8, s8
	;; [unrolled: 1-line block ×3, first 2 shown]
	s_mov_b64 s[24:25], 0
	v_pk_mov_b32 v[22:23], v[14:15], v[14:15] op_sel:[0,1]
	v_pk_mov_b32 v[20:21], v[12:13], v[12:13] op_sel:[0,1]
	;; [unrolled: 1-line block ×3, first 2 shown]
                                        ; implicit-def: $vgpr45
	s_and_saveexec_b64 s[22:23], vcc
	s_cbranch_execz .LBB48_67
; %bb.50:
	v_pk_mov_b32 v[16:17], s[14:15], s[14:15] op_sel:[0,1]
	v_add_u32_e32 v8, 5, v44
	v_cmp_ne_u32_e32 vcc, 0, v30
	v_pk_mov_b32 v[14:15], s[12:13], s[12:13] op_sel:[0,1]
	v_pk_mov_b32 v[12:13], s[10:11], s[10:11] op_sel:[0,1]
	;; [unrolled: 1-line block ×4, first 2 shown]
	v_cndmask_b32_e64 v9, 0, 1, vcc
	v_cmp_gt_u32_e32 vcc, s48, v8
	v_mov_b32_e32 v8, v35
	s_mov_b64 s[26:27], 0
	v_pk_mov_b32 v[22:23], v[14:15], v[14:15] op_sel:[0,1]
	v_pk_mov_b32 v[20:21], v[12:13], v[12:13] op_sel:[0,1]
	;; [unrolled: 1-line block ×3, first 2 shown]
                                        ; implicit-def: $vgpr45
	s_and_saveexec_b64 s[24:25], vcc
	s_cbranch_execz .LBB48_66
; %bb.51:
	ds_read2_b32 v[34:35], v1 offset0:5 offset1:6
	s_mov_b32 s14, s8
	s_mov_b32 s15, s8
	v_add_u32_e32 v10, 6, v44
	v_cmp_ne_u32_e32 vcc, 0, v31
	v_mov_b32_e32 v14, 0
	s_mov_b32 s9, s8
	s_mov_b32 s10, s8
	;; [unrolled: 1-line block ×5, first 2 shown]
	v_pk_mov_b32 v[24:25], s[14:15], s[14:15] op_sel:[0,1]
	v_cndmask_b32_e64 v11, 0, 1, vcc
	v_cmp_gt_u32_e32 vcc, s48, v10
	s_waitcnt lgkmcnt(0)
	v_mov_b32_e32 v10, v34
	v_mov_b32_e32 v12, v14
	;; [unrolled: 1-line block ×6, first 2 shown]
	s_mov_b64 s[28:29], 0
	v_pk_mov_b32 v[22:23], s[12:13], s[12:13] op_sel:[0,1]
	v_pk_mov_b32 v[20:21], s[10:11], s[10:11] op_sel:[0,1]
	;; [unrolled: 1-line block ×3, first 2 shown]
                                        ; implicit-def: $vgpr45
	s_and_saveexec_b64 s[26:27], vcc
	s_cbranch_execz .LBB48_65
; %bb.52:
	v_add_u32_e32 v10, 7, v44
	v_cmp_ne_u32_e32 vcc, 0, v32
	v_pk_mov_b32 v[24:25], s[14:15], s[14:15] op_sel:[0,1]
	v_cndmask_b32_e64 v13, 0, 1, vcc
	v_cmp_gt_u32_e32 vcc, s48, v10
	v_mov_b32_e32 v10, v34
	v_mov_b32_e32 v12, v35
	;; [unrolled: 1-line block ×5, first 2 shown]
	s_mov_b64 s[30:31], 0
	v_pk_mov_b32 v[22:23], s[12:13], s[12:13] op_sel:[0,1]
	v_pk_mov_b32 v[20:21], s[10:11], s[10:11] op_sel:[0,1]
	;; [unrolled: 1-line block ×3, first 2 shown]
                                        ; implicit-def: $vgpr45
	s_and_saveexec_b64 s[28:29], vcc
	s_cbranch_execz .LBB48_64
; %bb.53:
	ds_read2_b32 v[30:31], v1 offset0:7 offset1:8
	s_mov_b32 s14, s8
	s_mov_b32 s15, s8
	v_add_u32_e32 v14, 8, v44
	v_cmp_ne_u32_e32 vcc, 0, v33
	s_mov_b32 s9, s8
	s_mov_b32 s10, s8
	;; [unrolled: 1-line block ×5, first 2 shown]
	v_pk_mov_b32 v[24:25], s[14:15], s[14:15] op_sel:[0,1]
	v_cndmask_b32_e64 v15, 0, 1, vcc
	v_cmp_gt_u32_e32 vcc, s48, v14
	s_waitcnt lgkmcnt(0)
	v_mov_b32_e32 v14, v30
	v_mov_b32_e32 v16, s8
	;; [unrolled: 1-line block ×3, first 2 shown]
	s_mov_b64 s[40:41], 0
	v_pk_mov_b32 v[22:23], s[12:13], s[12:13] op_sel:[0,1]
	v_pk_mov_b32 v[20:21], s[10:11], s[10:11] op_sel:[0,1]
	v_pk_mov_b32 v[18:19], s[8:9], s[8:9] op_sel:[0,1]
                                        ; implicit-def: $vgpr45
	s_and_saveexec_b64 s[30:31], vcc
	s_cbranch_execz .LBB48_63
; %bb.54:
	v_add_u32_e32 v16, 9, v44
	v_cmp_ne_u32_e32 vcc, 0, v26
	v_pk_mov_b32 v[24:25], s[14:15], s[14:15] op_sel:[0,1]
	v_cndmask_b32_e64 v17, 0, 1, vcc
	v_cmp_gt_u32_e32 vcc, s48, v16
	v_mov_b32_e32 v16, v31
	v_pk_mov_b32 v[22:23], s[12:13], s[12:13] op_sel:[0,1]
	v_pk_mov_b32 v[20:21], s[10:11], s[10:11] op_sel:[0,1]
	;; [unrolled: 1-line block ×3, first 2 shown]
                                        ; implicit-def: $vgpr45
	s_and_saveexec_b64 s[8:9], vcc
	s_cbranch_execz .LBB48_62
; %bb.55:
	ds_read2_b32 v[30:31], v1 offset0:9 offset1:10
	v_add_u32_e32 v18, 10, v44
	v_cmp_ne_u32_e32 vcc, 0, v27
	v_mov_b32_e32 v22, 0
	v_cndmask_b32_e64 v19, 0, 1, vcc
	v_cmp_gt_u32_e32 vcc, s48, v18
	s_waitcnt lgkmcnt(0)
	v_mov_b32_e32 v18, v30
	v_mov_b32_e32 v20, v22
	;; [unrolled: 1-line block ×6, first 2 shown]
	s_mov_b64 s[12:13], 0
                                        ; implicit-def: $vgpr45
	s_and_saveexec_b64 s[10:11], vcc
	s_cbranch_execz .LBB48_61
; %bb.56:
	v_add_u32_e32 v18, 11, v44
	v_cmp_ne_u32_e32 vcc, 0, v28
	v_cndmask_b32_e64 v21, 0, 1, vcc
	v_cmp_gt_u32_e32 vcc, s48, v18
	v_mov_b32_e32 v18, v30
	v_mov_b32_e32 v20, v31
	;; [unrolled: 1-line block ×5, first 2 shown]
	s_mov_b64 s[14:15], 0
                                        ; implicit-def: $vgpr45
	s_and_saveexec_b64 s[12:13], vcc
	s_cbranch_execz .LBB48_60
; %bb.57:
	ds_read2_b32 v[26:27], v1 offset0:11 offset1:12
	s_mov_b32 s14, 0
	v_add_u32_e32 v22, 12, v44
	v_cmp_ne_u32_e32 vcc, 0, v29
	v_cndmask_b32_e64 v23, 0, 1, vcc
	v_cmp_gt_u32_e32 vcc, s48, v22
	s_waitcnt lgkmcnt(0)
	v_mov_b32_e32 v22, v26
	v_mov_b32_e32 v24, s14
	;; [unrolled: 1-line block ×3, first 2 shown]
	s_mov_b64 s[14:15], 0
                                        ; implicit-def: $vgpr45
	s_and_saveexec_b64 s[40:41], vcc
	s_xor_b64 s[40:41], exec, s[40:41]
	s_cbranch_execz .LBB48_59
; %bb.58:
	ds_read_b32 v45, v1 offset:52
	v_add_u32_e32 v1, 13, v44
	v_cmp_ne_u32_e32 vcc, 0, v42
	v_cndmask_b32_e64 v25, 0, 1, vcc
	v_cmp_gt_u32_e32 vcc, s48, v1
	v_mov_b32_e32 v24, v27
	s_and_b64 s[14:15], vcc, exec
.LBB48_59:
	s_or_b64 exec, exec, s[40:41]
	s_and_b64 s[14:15], s[14:15], exec
.LBB48_60:
	s_or_b64 exec, exec, s[12:13]
	s_and_b64 s[12:13], s[14:15], exec
.LBB48_61:
	s_or_b64 exec, exec, s[10:11]
	s_and_b64 s[40:41], s[12:13], exec
.LBB48_62:
	s_or_b64 exec, exec, s[8:9]
	s_and_b64 s[40:41], s[40:41], exec
.LBB48_63:
	s_or_b64 exec, exec, s[30:31]
	s_and_b64 s[30:31], s[40:41], exec
.LBB48_64:
	s_or_b64 exec, exec, s[28:29]
	s_and_b64 s[28:29], s[30:31], exec
.LBB48_65:
	s_or_b64 exec, exec, s[26:27]
	s_and_b64 s[26:27], s[28:29], exec
.LBB48_66:
	s_or_b64 exec, exec, s[24:25]
	s_and_b64 s[24:25], s[26:27], exec
.LBB48_67:
	s_or_b64 exec, exec, s[22:23]
	s_and_b64 s[22:23], s[24:25], exec
.LBB48_68:
	s_or_b64 exec, exec, s[20:21]
	s_and_b64 s[20:21], s[22:23], exec
.LBB48_69:
	s_or_b64 exec, exec, s[18:19]
	s_and_b64 s[18:19], s[20:21], exec
.LBB48_70:
	s_or_b64 exec, exec, s[16:17]
	s_and_b64 s[16:17], s[18:19], exec
.LBB48_71:
	s_or_b64 exec, exec, s[4:5]
	s_and_b64 vcc, exec, s[2:3]
	v_lshlrev_b32_e32 v50, 2, v0
	s_cbranch_vccnz .LBB48_73
	s_branch .LBB48_74
.LBB48_72:
	s_mov_b64 s[16:17], 0
                                        ; implicit-def: $vgpr2_vgpr3_vgpr4_vgpr5_vgpr6_vgpr7_vgpr8_vgpr9
                                        ; implicit-def: $vgpr10_vgpr11_vgpr12_vgpr13_vgpr14_vgpr15_vgpr16_vgpr17
                                        ; implicit-def: $vgpr18_vgpr19_vgpr20_vgpr21_vgpr22_vgpr23_vgpr24_vgpr25
                                        ; implicit-def: $vgpr43
                                        ; implicit-def: $vgpr45
                                        ; implicit-def: $vgpr38_vgpr39
	s_and_b64 vcc, exec, s[2:3]
	v_lshlrev_b32_e32 v50, 2, v0
	s_cbranch_vccz .LBB48_74
.LBB48_73:
	v_mov_b32_e32 v1, s35
	v_add_co_u32_e32 v2, vcc, s34, v50
	v_addc_co_u32_e32 v3, vcc, 0, v1, vcc
	v_add_co_u32_e32 v4, vcc, 0x1000, v2
	v_addc_co_u32_e32 v5, vcc, 0, v3, vcc
	flat_load_dword v1, v[2:3]
	flat_load_dword v10, v[2:3] offset:1024
	flat_load_dword v11, v[2:3] offset:2048
	;; [unrolled: 1-line block ×3, first 2 shown]
	flat_load_dword v13, v[4:5]
	flat_load_dword v14, v[4:5] offset:1024
	flat_load_dword v15, v[4:5] offset:2048
	;; [unrolled: 1-line block ×3, first 2 shown]
	v_add_co_u32_e32 v4, vcc, 0x2000, v2
	v_addc_co_u32_e32 v5, vcc, 0, v3, vcc
	v_add_co_u32_e32 v2, vcc, 0x3000, v2
	v_addc_co_u32_e32 v3, vcc, 0, v3, vcc
	flat_load_dword v17, v[4:5]
	flat_load_dword v18, v[4:5] offset:1024
	flat_load_dword v19, v[4:5] offset:2048
	;; [unrolled: 1-line block ×3, first 2 shown]
	flat_load_dword v21, v[2:3]
	flat_load_dword v22, v[2:3] offset:1024
	v_mov_b32_e32 v3, s47
	v_add_co_u32_e32 v2, vcc, s7, v50
	s_movk_i32 s2, 0x1000
	v_addc_co_u32_e32 v3, vcc, 0, v3, vcc
	v_add_co_u32_e32 v4, vcc, s2, v2
	s_movk_i32 s3, 0x2000
	v_addc_co_u32_e32 v5, vcc, 0, v3, vcc
	v_add_co_u32_e32 v6, vcc, s3, v2
	s_movk_i32 s4, 0x3000
	v_mad_u32_u24 v36, v0, 52, v50
	s_movk_i32 s5, 0xffcc
	v_addc_co_u32_e32 v7, vcc, 0, v3, vcc
	v_mad_i32_i24 v26, v0, s5, v36
	v_add_co_u32_e32 v8, vcc, s4, v2
	v_addc_co_u32_e32 v9, vcc, 0, v3, vcc
	s_or_b64 s[16:17], s[16:17], exec
                                        ; implicit-def: $sgpr2_sgpr3
	s_waitcnt vmcnt(0) lgkmcnt(0)
	ds_write2st64_b32 v50, v1, v10 offset1:4
	ds_write2st64_b32 v50, v11, v12 offset0:8 offset1:12
	ds_write2st64_b32 v50, v13, v14 offset0:16 offset1:20
	;; [unrolled: 1-line block ×6, first 2 shown]
	s_waitcnt lgkmcnt(0)
	s_barrier
	ds_read2_b32 v[42:43], v36 offset1:13
	ds_read2_b32 v[18:19], v36 offset0:9 offset1:10
	ds_read2_b32 v[20:21], v36 offset0:11 offset1:12
	;; [unrolled: 1-line block ×6, first 2 shown]
	s_waitcnt lgkmcnt(6)
	ds_write_b32 v26, v43 offset:14336
	s_waitcnt lgkmcnt(0)
	s_barrier
	s_barrier
	flat_load_dword v1, v[2:3]
	flat_load_dword v14, v[2:3] offset:1024
	flat_load_dword v16, v[2:3] offset:2048
	flat_load_dword v26, v[2:3] offset:3072
	flat_load_dword v27, v[4:5]
	flat_load_dword v28, v[4:5] offset:1024
	flat_load_dword v29, v[4:5] offset:2048
	flat_load_dword v30, v[4:5] offset:3072
	;; [unrolled: 4-line block ×3, first 2 shown]
	flat_load_dword v35, v[8:9]
	flat_load_dword v37, v[8:9] offset:1024
	v_cmp_ne_u32_e32 vcc, 0, v42
	v_cndmask_b32_e64 v39, 0, 1, vcc
	v_cmp_ne_u32_e32 vcc, 0, v11
	v_cndmask_b32_e64 v17, 0, 1, vcc
	;; [unrolled: 2-line block ×13, first 2 shown]
	s_waitcnt vmcnt(0) lgkmcnt(0)
	ds_write2st64_b32 v50, v1, v14 offset1:4
	ds_write2st64_b32 v50, v16, v26 offset0:8 offset1:12
	ds_write2st64_b32 v50, v27, v28 offset0:16 offset1:20
	;; [unrolled: 1-line block ×6, first 2 shown]
	s_waitcnt lgkmcnt(0)
	s_barrier
	ds_read2_b32 v[26:27], v36 offset0:7 offset1:8
	ds_read2_b32 v[28:29], v36 offset0:5 offset1:6
	;; [unrolled: 1-line block ×4, first 2 shown]
	ds_read2_b32 v[44:45], v36 offset1:13
	ds_read2_b32 v[34:35], v36 offset0:11 offset1:12
	ds_read2_b32 v[36:37], v36 offset0:9 offset1:10
	s_waitcnt lgkmcnt(5)
	v_mov_b32_e32 v10, v28
	s_waitcnt lgkmcnt(4)
	v_mov_b32_e32 v6, v30
	;; [unrolled: 2-line block ×4, first 2 shown]
	v_mov_b32_e32 v4, v33
	v_mov_b32_e32 v8, v31
	;; [unrolled: 1-line block ×5, first 2 shown]
	s_waitcnt lgkmcnt(0)
	v_mov_b32_e32 v18, v36
	v_mov_b32_e32 v20, v37
	;; [unrolled: 1-line block ×4, first 2 shown]
.LBB48_74:
	v_pk_mov_b32 v[40:41], s[2:3], s[2:3] op_sel:[0,1]
	s_and_saveexec_b64 s[2:3], s[16:17]
	s_cbranch_execz .LBB48_76
; %bb.75:
	v_cmp_ne_u32_e32 vcc, 0, v43
	v_cndmask_b32_e64 v41, 0, 1, vcc
	s_waitcnt lgkmcnt(0)
	v_mov_b32_e32 v40, v45
.LBB48_76:
	s_or_b64 exec, exec, s[2:3]
	s_mov_b32 s26, 0
	s_cmp_lg_u32 s6, 0
	v_mbcnt_lo_u32_b32 v52, -1, 0
	v_lshrrev_b32_e32 v1, 6, v0
	v_or_b32_e32 v51, 63, v0
	s_waitcnt lgkmcnt(0)
	s_barrier
	s_cbranch_scc0 .LBB48_117
; %bb.77:
	s_mov_b32 s27, 1
	v_cmp_gt_u64_e64 s[2:3], s[26:27], v[2:3]
	v_cndmask_b32_e64 v27, 0, v38, s[2:3]
	v_add_u32_e32 v27, v27, v2
	v_cmp_gt_u64_e64 s[4:5], s[26:27], v[4:5]
	v_cndmask_b32_e64 v27, 0, v27, s[4:5]
	v_add_u32_e32 v27, v27, v4
	v_cmp_gt_u64_e64 s[30:31], s[26:27], v[6:7]
	v_cndmask_b32_e64 v27, 0, v27, s[30:31]
	v_add_u32_e32 v27, v27, v6
	v_cmp_gt_u64_e64 s[8:9], s[26:27], v[8:9]
	v_cndmask_b32_e64 v27, 0, v27, s[8:9]
	v_add_u32_e32 v27, v27, v8
	v_cmp_gt_u64_e64 s[10:11], s[26:27], v[10:11]
	v_cndmask_b32_e64 v27, 0, v27, s[10:11]
	v_add_u32_e32 v27, v27, v10
	v_cmp_gt_u64_e64 s[12:13], s[26:27], v[12:13]
	v_cndmask_b32_e64 v27, 0, v27, s[12:13]
	v_add_u32_e32 v27, v27, v12
	v_cmp_gt_u64_e64 s[14:15], s[26:27], v[14:15]
	v_cndmask_b32_e64 v27, 0, v27, s[14:15]
	v_add_u32_e32 v27, v27, v14
	v_cmp_gt_u64_e64 s[16:17], s[26:27], v[16:17]
	v_cndmask_b32_e64 v27, 0, v27, s[16:17]
	v_add_u32_e32 v27, v27, v16
	v_cmp_gt_u64_e64 s[18:19], s[26:27], v[18:19]
	v_cndmask_b32_e64 v27, 0, v27, s[18:19]
	v_add_u32_e32 v27, v27, v18
	v_cmp_gt_u64_e64 s[20:21], s[26:27], v[20:21]
	v_cndmask_b32_e64 v27, 0, v27, s[20:21]
	v_add_u32_e32 v27, v27, v20
	v_cmp_gt_u64_e64 s[22:23], s[26:27], v[22:23]
	v_cndmask_b32_e64 v27, 0, v27, s[22:23]
	v_add_u32_e32 v27, v27, v22
	v_cmp_gt_u64_e64 s[24:25], s[26:27], v[24:25]
	v_cndmask_b32_e64 v27, 0, v27, s[24:25]
	v_add_u32_e32 v27, v27, v24
	v_cmp_gt_u64_e64 s[26:27], s[26:27], v[40:41]
	v_cndmask_b32_e64 v27, 0, v27, s[26:27]
	v_add_u32_e32 v28, v27, v40
	v_or3_b32 v27, v41, v25, v23
	v_or3_b32 v27, v27, v21, v19
	;; [unrolled: 1-line block ×6, first 2 shown]
	v_mov_b32_e32 v26, 0
	v_and_b32_e32 v27, 1, v27
	v_cmp_eq_u64_e32 vcc, 0, v[26:27]
	v_cndmask_b32_e32 v26, 1, v39, vcc
	v_mbcnt_hi_u32_b32 v46, -1, v52
	v_mov_b32_dpp v29, v28 row_shr:1 row_mask:0xf bank_mask:0xf
	v_mov_b32_dpp v30, v26 row_shr:1 row_mask:0xf bank_mask:0xf
	v_cmp_eq_u32_e32 vcc, 0, v26
	v_and_b32_e32 v31, 1, v26
	v_and_b32_e32 v27, 15, v46
	v_cndmask_b32_e32 v29, 0, v29, vcc
	v_and_b32_e32 v30, 1, v30
	v_cmp_eq_u32_e32 vcc, 1, v31
	v_cndmask_b32_e64 v30, v30, 1, vcc
	v_cmp_eq_u32_e32 vcc, 0, v27
	v_cndmask_b32_e32 v26, v30, v26, vcc
	v_and_b32_e32 v31, 1, v26
	v_cmp_eq_u32_e64 s[28:29], 1, v31
	v_mov_b32_dpp v30, v26 row_shr:2 row_mask:0xf bank_mask:0xf
	v_and_b32_e32 v30, 1, v30
	v_cndmask_b32_e64 v30, v30, 1, s[28:29]
	v_cmp_lt_u32_e64 s[28:29], 1, v27
	v_cndmask_b32_e64 v29, v29, 0, vcc
	v_cmp_eq_u32_e32 vcc, 0, v26
	v_cndmask_b32_e64 v26, v26, v30, s[28:29]
	v_add_u32_e32 v28, v29, v28
	v_and_b32_e32 v31, 1, v26
	v_mov_b32_dpp v30, v26 row_shr:4 row_mask:0xf bank_mask:0xf
	v_mov_b32_dpp v29, v28 row_shr:2 row_mask:0xf bank_mask:0xf
	s_and_b64 vcc, s[28:29], vcc
	v_and_b32_e32 v30, 1, v30
	v_cmp_eq_u32_e64 s[28:29], 1, v31
	v_cndmask_b32_e32 v29, 0, v29, vcc
	v_cndmask_b32_e64 v30, v30, 1, s[28:29]
	v_cmp_lt_u32_e64 s[28:29], 3, v27
	v_add_u32_e32 v28, v29, v28
	v_cmp_eq_u32_e32 vcc, 0, v26
	v_cndmask_b32_e64 v26, v26, v30, s[28:29]
	v_mov_b32_dpp v29, v28 row_shr:4 row_mask:0xf bank_mask:0xf
	s_and_b64 vcc, s[28:29], vcc
	v_mov_b32_dpp v30, v26 row_shr:8 row_mask:0xf bank_mask:0xf
	v_and_b32_e32 v31, 1, v26
	v_cndmask_b32_e32 v29, 0, v29, vcc
	v_and_b32_e32 v30, 1, v30
	v_cmp_eq_u32_e64 s[28:29], 1, v31
	v_add_u32_e32 v28, v29, v28
	v_cmp_eq_u32_e32 vcc, 0, v26
	v_cndmask_b32_e64 v30, v30, 1, s[28:29]
	v_cmp_lt_u32_e64 s[28:29], 7, v27
	v_mov_b32_dpp v29, v28 row_shr:8 row_mask:0xf bank_mask:0xf
	s_and_b64 vcc, s[28:29], vcc
	v_cndmask_b32_e32 v27, 0, v29, vcc
	v_cndmask_b32_e64 v26, v26, v30, s[28:29]
	v_add_u32_e32 v27, v27, v28
	v_cmp_eq_u32_e32 vcc, 0, v26
	v_mov_b32_dpp v29, v26 row_bcast:15 row_mask:0xf bank_mask:0xf
	v_mov_b32_dpp v28, v27 row_bcast:15 row_mask:0xf bank_mask:0xf
	v_and_b32_e32 v32, 1, v26
	v_and_b32_e32 v31, 16, v46
	v_cndmask_b32_e32 v28, 0, v28, vcc
	v_and_b32_e32 v29, 1, v29
	v_cmp_eq_u32_e32 vcc, 1, v32
	v_bfe_i32 v30, v46, 4, 1
	v_cndmask_b32_e64 v29, v29, 1, vcc
	v_cmp_eq_u32_e32 vcc, 0, v31
	v_and_b32_e32 v28, v30, v28
	v_cndmask_b32_e32 v26, v29, v26, vcc
	v_add_u32_e32 v27, v28, v27
	v_and_b32_e32 v30, 1, v26
	v_mov_b32_dpp v28, v26 row_bcast:31 row_mask:0xf bank_mask:0xf
	v_and_b32_e32 v28, 1, v28
	v_cmp_eq_u32_e64 s[28:29], 1, v30
	v_cmp_eq_u32_e32 vcc, 0, v26
	v_cndmask_b32_e64 v28, v28, 1, s[28:29]
	v_cmp_lt_u32_e64 s[28:29], 31, v46
	v_mov_b32_dpp v29, v27 row_bcast:31 row_mask:0xf bank_mask:0xf
	s_and_b64 vcc, s[28:29], vcc
	v_cndmask_b32_e64 v28, v26, v28, s[28:29]
	v_cndmask_b32_e32 v26, 0, v29, vcc
	v_add_u32_e32 v29, v26, v27
	v_cmp_eq_u32_e32 vcc, v51, v0
	s_and_saveexec_b64 s[28:29], vcc
	s_cbranch_execz .LBB48_79
; %bb.78:
	v_lshlrev_b32_e32 v26, 3, v1
	ds_write_b32 v26, v29
	ds_write_b8 v26, v28 offset:4
.LBB48_79:
	s_or_b64 exec, exec, s[28:29]
	v_cmp_gt_u32_e32 vcc, 4, v0
	s_waitcnt lgkmcnt(0)
	s_barrier
	s_and_saveexec_b64 s[28:29], vcc
	s_cbranch_execz .LBB48_83
; %bb.80:
	v_lshlrev_b32_e32 v30, 3, v0
	ds_read_b64 v[26:27], v30
	v_and_b32_e32 v31, 3, v46
	v_cmp_ne_u32_e32 vcc, 0, v31
	s_waitcnt lgkmcnt(0)
	v_mov_b32_dpp v32, v26 row_shr:1 row_mask:0xf bank_mask:0xf
	v_mov_b32_dpp v34, v27 row_shr:1 row_mask:0xf bank_mask:0xf
	v_mov_b32_e32 v33, v27
	s_and_saveexec_b64 s[34:35], vcc
	s_cbranch_execz .LBB48_82
; %bb.81:
	v_and_b32_e32 v33, 1, v27
	v_and_b32_e32 v34, 1, v34
	v_cmp_eq_u32_e32 vcc, 1, v33
	v_mov_b32_e32 v33, 0
	v_cndmask_b32_e64 v34, v34, 1, vcc
	v_cmp_eq_u16_sdwa vcc, v27, v33 src0_sel:BYTE_0 src1_sel:DWORD
	v_cndmask_b32_e32 v32, 0, v32, vcc
	v_add_u32_e32 v26, v32, v26
	v_and_b32_e32 v32, 0xffff, v34
	s_movk_i32 s7, 0xff00
	v_and_or_b32 v33, v27, s7, v32
	v_mov_b32_e32 v27, v34
.LBB48_82:
	s_or_b64 exec, exec, s[34:35]
	v_mov_b32_dpp v33, v33 row_shr:2 row_mask:0xf bank_mask:0xf
	v_and_b32_e32 v34, 1, v27
	v_and_b32_e32 v33, 1, v33
	v_cmp_eq_u32_e32 vcc, 1, v34
	v_mov_b32_e32 v34, 0
	v_cndmask_b32_e64 v33, v33, 1, vcc
	v_cmp_eq_u16_sdwa s[34:35], v27, v34 src0_sel:BYTE_0 src1_sel:DWORD
	v_cmp_lt_u32_e32 vcc, 1, v31
	v_mov_b32_dpp v32, v26 row_shr:2 row_mask:0xf bank_mask:0xf
	v_cndmask_b32_e32 v27, v27, v33, vcc
	s_and_b64 vcc, vcc, s[34:35]
	v_cndmask_b32_e32 v31, 0, v32, vcc
	v_add_u32_e32 v26, v31, v26
	ds_write_b32 v30, v26
	ds_write_b8 v30, v27 offset:4
.LBB48_83:
	s_or_b64 exec, exec, s[28:29]
	v_cmp_gt_u32_e32 vcc, 64, v0
	v_cmp_lt_u32_e64 s[28:29], 63, v0
	v_mov_b32_e32 v42, 0
	v_mov_b32_e32 v43, 0
	s_waitcnt lgkmcnt(0)
	s_barrier
	s_and_saveexec_b64 s[34:35], s[28:29]
	s_cbranch_execz .LBB48_85
; %bb.84:
	v_lshl_add_u32 v26, v1, 3, -8
	ds_read_b32 v42, v26
	ds_read_u8 v43, v26 offset:4
	v_and_b32_e32 v27, 1, v28
	v_cmp_eq_u32_e64 s[28:29], 0, v28
	s_waitcnt lgkmcnt(1)
	v_cndmask_b32_e64 v26, 0, v42, s[28:29]
	v_cmp_eq_u32_e64 s[28:29], 1, v27
	v_add_u32_e32 v29, v26, v29
	s_waitcnt lgkmcnt(0)
	v_cndmask_b32_e64 v28, v43, 1, s[28:29]
.LBB48_85:
	s_or_b64 exec, exec, s[34:35]
	v_add_u32_e32 v26, -1, v46
	v_and_b32_e32 v27, 64, v46
	v_cmp_lt_i32_e64 s[28:29], v26, v27
	v_cndmask_b32_e64 v26, v26, v46, s[28:29]
	v_lshlrev_b32_e32 v26, 2, v26
	ds_bpermute_b32 v44, v26, v29
	ds_bpermute_b32 v45, v26, v28
	v_cmp_eq_u32_e64 s[28:29], 0, v46
	s_and_saveexec_b64 s[40:41], vcc
	s_cbranch_execz .LBB48_104
; %bb.86:
	v_mov_b32_e32 v29, 0
	ds_read_b64 v[26:27], v29 offset:24
	s_waitcnt lgkmcnt(0)
	v_readfirstlane_b32 s7, v27
	s_and_saveexec_b64 s[34:35], s[28:29]
	s_cbranch_execz .LBB48_88
; %bb.87:
	s_add_i32 s48, s6, 64
	s_mov_b32 s49, 0
	s_lshl_b64 s[54:55], s[48:49], 4
	s_add_u32 s54, s44, s54
	s_addc_u32 s55, s45, s55
	s_and_b32 s57, s7, 0xff000000
	s_mov_b32 s56, s49
	s_and_b32 s59, s7, 0xff0000
	s_mov_b32 s58, s49
	s_or_b64 s[56:57], s[58:59], s[56:57]
	s_and_b32 s59, s7, 0xff00
	s_or_b64 s[56:57], s[56:57], s[58:59]
	s_and_b32 s59, s7, 0xff
	s_or_b64 s[48:49], s[56:57], s[58:59]
	v_mov_b32_e32 v27, s49
	v_mov_b32_e32 v28, 1
	v_pk_mov_b32 v[30:31], s[54:55], s[54:55] op_sel:[0,1]
	;;#ASMSTART
	global_store_dwordx4 v[30:31], v[26:29] off	
s_waitcnt vmcnt(0)
	;;#ASMEND
.LBB48_88:
	s_or_b64 exec, exec, s[34:35]
	v_xad_u32 v34, v46, -1, s6
	v_add_u32_e32 v28, 64, v34
	v_lshlrev_b64 v[30:31], 4, v[28:29]
	v_mov_b32_e32 v27, s45
	v_add_co_u32_e32 v36, vcc, s44, v30
	v_addc_co_u32_e32 v37, vcc, v27, v31, vcc
	;;#ASMSTART
	global_load_dwordx4 v[30:33], v[36:37] off glc	
s_waitcnt vmcnt(0)
	;;#ASMEND
	v_and_b32_e32 v27, 0xff0000, v30
	v_or_b32_sdwa v27, v30, v27 dst_sel:DWORD dst_unused:UNUSED_PAD src0_sel:WORD_0 src1_sel:DWORD
	v_and_b32_e32 v28, 0xff000000, v30
	v_and_b32_e32 v30, 0xff, v31
	v_or3_b32 v31, 0, 0, v30
	v_or3_b32 v30, v27, v28, 0
	v_cmp_eq_u16_sdwa s[48:49], v32, v29 src0_sel:BYTE_0 src1_sel:DWORD
	s_and_saveexec_b64 s[34:35], s[48:49]
	s_cbranch_execz .LBB48_92
; %bb.89:
	s_mov_b64 s[48:49], 0
	v_mov_b32_e32 v27, 0
.LBB48_90:                              ; =>This Inner Loop Header: Depth=1
	;;#ASMSTART
	global_load_dwordx4 v[30:33], v[36:37] off glc	
s_waitcnt vmcnt(0)
	;;#ASMEND
	v_cmp_ne_u16_sdwa s[54:55], v32, v27 src0_sel:BYTE_0 src1_sel:DWORD
	s_or_b64 s[48:49], s[54:55], s[48:49]
	s_andn2_b64 exec, exec, s[48:49]
	s_cbranch_execnz .LBB48_90
; %bb.91:
	s_or_b64 exec, exec, s[48:49]
	v_and_b32_e32 v31, 0xff, v31
.LBB48_92:
	s_or_b64 exec, exec, s[34:35]
	v_mov_b32_e32 v27, 2
	v_cmp_eq_u16_sdwa s[34:35], v32, v27 src0_sel:BYTE_0 src1_sel:DWORD
	v_lshlrev_b64 v[28:29], v46, -1
	v_and_b32_e32 v33, s35, v29
	v_or_b32_e32 v33, 0x80000000, v33
	v_and_b32_e32 v35, s34, v28
	v_ffbl_b32_e32 v33, v33
	v_and_b32_e32 v47, 63, v46
	v_add_u32_e32 v33, 32, v33
	v_ffbl_b32_e32 v35, v35
	v_cmp_ne_u32_e32 vcc, 63, v47
	v_min_u32_e32 v33, v35, v33
	v_addc_co_u32_e32 v35, vcc, 0, v46, vcc
	v_lshlrev_b32_e32 v48, 2, v35
	ds_bpermute_b32 v35, v48, v31
	ds_bpermute_b32 v36, v48, v30
	s_mov_b32 s48, 0
	v_and_b32_e32 v37, 1, v31
	s_mov_b32 s49, 1
	s_waitcnt lgkmcnt(1)
	v_and_b32_e32 v35, 1, v35
	v_cmp_eq_u32_e32 vcc, 1, v37
	v_cndmask_b32_e64 v35, v35, 1, vcc
	v_cmp_gt_u64_e32 vcc, s[48:49], v[30:31]
	v_cmp_lt_u32_e64 s[34:35], v47, v33
	s_and_b64 vcc, s[34:35], vcc
	v_and_b32_e32 v37, 0xffff, v35
	v_cndmask_b32_e64 v54, v31, v35, s[34:35]
	s_waitcnt lgkmcnt(0)
	v_cndmask_b32_e32 v35, 0, v36, vcc
	v_cmp_gt_u32_e32 vcc, 62, v47
	v_cndmask_b32_e64 v36, 0, 1, vcc
	v_lshlrev_b32_e32 v36, 1, v36
	v_cndmask_b32_e64 v31, v31, v37, s[34:35]
	v_add_lshl_u32 v49, v36, v46, 2
	ds_bpermute_b32 v36, v49, v31
	v_add_u32_e32 v30, v35, v30
	ds_bpermute_b32 v37, v49, v30
	v_and_b32_e32 v35, 1, v54
	v_cmp_eq_u32_e32 vcc, 1, v35
	s_waitcnt lgkmcnt(1)
	v_and_b32_e32 v36, 1, v36
	v_mov_b32_e32 v35, 0
	v_add_u32_e32 v53, 2, v47
	v_cndmask_b32_e64 v36, v36, 1, vcc
	v_cmp_eq_u16_sdwa vcc, v54, v35 src0_sel:BYTE_0 src1_sel:DWORD
	v_and_b32_e32 v55, 0xffff, v36
	s_waitcnt lgkmcnt(0)
	v_cndmask_b32_e32 v37, 0, v37, vcc
	v_cmp_gt_u32_e32 vcc, v53, v33
	v_cndmask_b32_e32 v36, v36, v54, vcc
	v_cndmask_b32_e64 v37, v37, 0, vcc
	v_cndmask_b32_e32 v31, v55, v31, vcc
	v_cmp_gt_u32_e32 vcc, 60, v47
	v_cndmask_b32_e64 v54, 0, 1, vcc
	v_lshlrev_b32_e32 v54, 2, v54
	v_add_lshl_u32 v54, v54, v46, 2
	ds_bpermute_b32 v56, v54, v31
	v_add_u32_e32 v30, v37, v30
	ds_bpermute_b32 v37, v54, v30
	v_and_b32_e32 v57, 1, v36
	v_cmp_eq_u32_e32 vcc, 1, v57
	s_waitcnt lgkmcnt(1)
	v_and_b32_e32 v56, 1, v56
	v_add_u32_e32 v55, 4, v47
	v_cndmask_b32_e64 v56, v56, 1, vcc
	v_cmp_eq_u16_sdwa vcc, v36, v35 src0_sel:BYTE_0 src1_sel:DWORD
	v_and_b32_e32 v57, 0xffff, v56
	s_waitcnt lgkmcnt(0)
	v_cndmask_b32_e32 v37, 0, v37, vcc
	v_cmp_gt_u32_e32 vcc, v55, v33
	v_cndmask_b32_e32 v36, v56, v36, vcc
	v_cndmask_b32_e64 v37, v37, 0, vcc
	v_cndmask_b32_e32 v31, v57, v31, vcc
	v_cmp_gt_u32_e32 vcc, 56, v47
	v_cndmask_b32_e64 v56, 0, 1, vcc
	v_lshlrev_b32_e32 v56, 3, v56
	v_add_lshl_u32 v56, v56, v46, 2
	ds_bpermute_b32 v58, v56, v31
	v_add_u32_e32 v30, v37, v30
	ds_bpermute_b32 v37, v56, v30
	v_and_b32_e32 v59, 1, v36
	v_cmp_eq_u32_e32 vcc, 1, v59
	s_waitcnt lgkmcnt(1)
	v_and_b32_e32 v58, 1, v58
	;; [unrolled: 21-line block ×4, first 2 shown]
	v_add_u32_e32 v62, 32, v47
	v_cndmask_b32_e64 v31, v31, 1, vcc
	v_cmp_eq_u16_sdwa vcc, v36, v35 src0_sel:BYTE_0 src1_sel:DWORD
	s_waitcnt lgkmcnt(0)
	v_cndmask_b32_e32 v37, 0, v37, vcc
	v_cmp_gt_u32_e32 vcc, v62, v33
	v_cndmask_b32_e64 v33, v37, 0, vcc
	v_cndmask_b32_e32 v31, v31, v36, vcc
	v_add_u32_e32 v30, v33, v30
	s_branch .LBB48_94
.LBB48_93:                              ;   in Loop: Header=BB48_94 Depth=1
	s_or_b64 exec, exec, s[34:35]
	v_cmp_eq_u16_sdwa s[34:35], v32, v27 src0_sel:BYTE_0 src1_sel:DWORD
	v_and_b32_e32 v33, s35, v29
	ds_bpermute_b32 v37, v48, v31
	v_or_b32_e32 v33, 0x80000000, v33
	v_and_b32_e32 v36, s34, v28
	v_ffbl_b32_e32 v33, v33
	v_add_u32_e32 v33, 32, v33
	v_ffbl_b32_e32 v36, v36
	v_min_u32_e32 v33, v36, v33
	ds_bpermute_b32 v36, v48, v30
	v_and_b32_e32 v63, 1, v31
	s_waitcnt lgkmcnt(1)
	v_and_b32_e32 v37, 1, v37
	v_cmp_eq_u32_e32 vcc, 1, v63
	v_cndmask_b32_e64 v37, v37, 1, vcc
	v_cmp_gt_u64_e32 vcc, s[48:49], v[30:31]
	v_and_b32_e32 v63, 0xffff, v37
	v_cmp_lt_u32_e64 s[34:35], v47, v33
	v_cndmask_b32_e64 v37, v31, v37, s[34:35]
	v_cndmask_b32_e64 v31, v31, v63, s[34:35]
	s_and_b64 vcc, s[34:35], vcc
	ds_bpermute_b32 v63, v49, v31
	s_waitcnt lgkmcnt(1)
	v_cndmask_b32_e32 v36, 0, v36, vcc
	v_add_u32_e32 v30, v36, v30
	ds_bpermute_b32 v36, v49, v30
	v_and_b32_e32 v64, 1, v37
	s_waitcnt lgkmcnt(1)
	v_and_b32_e32 v63, 1, v63
	v_cmp_eq_u32_e32 vcc, 1, v64
	v_cndmask_b32_e64 v63, v63, 1, vcc
	v_cmp_eq_u16_sdwa vcc, v37, v35 src0_sel:BYTE_0 src1_sel:DWORD
	v_and_b32_e32 v64, 0xffff, v63
	s_waitcnt lgkmcnt(0)
	v_cndmask_b32_e32 v36, 0, v36, vcc
	v_cmp_gt_u32_e32 vcc, v53, v33
	v_cndmask_b32_e32 v31, v64, v31, vcc
	v_cndmask_b32_e32 v37, v63, v37, vcc
	ds_bpermute_b32 v63, v54, v31
	v_cndmask_b32_e64 v36, v36, 0, vcc
	v_add_u32_e32 v30, v36, v30
	ds_bpermute_b32 v36, v54, v30
	v_and_b32_e32 v64, 1, v37
	s_waitcnt lgkmcnt(1)
	v_and_b32_e32 v63, 1, v63
	v_cmp_eq_u32_e32 vcc, 1, v64
	v_cndmask_b32_e64 v63, v63, 1, vcc
	v_cmp_eq_u16_sdwa vcc, v37, v35 src0_sel:BYTE_0 src1_sel:DWORD
	v_and_b32_e32 v64, 0xffff, v63
	s_waitcnt lgkmcnt(0)
	v_cndmask_b32_e32 v36, 0, v36, vcc
	v_cmp_gt_u32_e32 vcc, v55, v33
	v_cndmask_b32_e32 v31, v64, v31, vcc
	v_cndmask_b32_e32 v37, v63, v37, vcc
	ds_bpermute_b32 v63, v56, v31
	v_cndmask_b32_e64 v36, v36, 0, vcc
	;; [unrolled: 16-line block ×3, first 2 shown]
	v_add_u32_e32 v30, v36, v30
	ds_bpermute_b32 v36, v58, v30
	v_and_b32_e32 v64, 1, v37
	s_waitcnt lgkmcnt(1)
	v_and_b32_e32 v63, 1, v63
	v_cmp_eq_u32_e32 vcc, 1, v64
	v_cndmask_b32_e64 v63, v63, 1, vcc
	v_cmp_eq_u16_sdwa vcc, v37, v35 src0_sel:BYTE_0 src1_sel:DWORD
	v_and_b32_e32 v64, 0xffff, v63
	s_waitcnt lgkmcnt(0)
	v_cndmask_b32_e32 v36, 0, v36, vcc
	v_cmp_gt_u32_e32 vcc, v59, v33
	v_cndmask_b32_e64 v36, v36, 0, vcc
	v_cndmask_b32_e32 v31, v64, v31, vcc
	ds_bpermute_b32 v31, v61, v31
	v_add_u32_e32 v30, v36, v30
	ds_bpermute_b32 v36, v61, v30
	v_cndmask_b32_e32 v37, v63, v37, vcc
	v_and_b32_e32 v63, 1, v37
	v_cmp_eq_u32_e32 vcc, 1, v63
	s_waitcnt lgkmcnt(1)
	v_cndmask_b32_e64 v31, v31, 1, vcc
	v_cmp_eq_u16_sdwa vcc, v37, v35 src0_sel:BYTE_0 src1_sel:DWORD
	s_waitcnt lgkmcnt(0)
	v_cndmask_b32_e32 v36, 0, v36, vcc
	v_cmp_gt_u32_e32 vcc, v62, v33
	v_cndmask_b32_e64 v33, v36, 0, vcc
	v_cndmask_b32_e32 v31, v31, v37, vcc
	v_add_u32_e32 v30, v33, v30
	v_cmp_eq_u16_sdwa vcc, v46, v35 src0_sel:BYTE_0 src1_sel:DWORD
	v_and_b32_e32 v33, 1, v46
	v_cndmask_b32_e32 v30, 0, v30, vcc
	v_and_b32_e32 v31, 1, v31
	v_cmp_eq_u32_e32 vcc, 1, v33
	v_subrev_u32_e32 v34, 64, v34
	v_add_u32_e32 v30, v30, v60
	v_cndmask_b32_e64 v31, v31, 1, vcc
.LBB48_94:                              ; =>This Loop Header: Depth=1
                                        ;     Child Loop BB48_97 Depth 2
	v_cmp_ne_u16_sdwa s[34:35], v32, v27 src0_sel:BYTE_0 src1_sel:DWORD
	v_mov_b32_e32 v46, v31
	v_cndmask_b32_e64 v31, 0, 1, s[34:35]
	;;#ASMSTART
	;;#ASMEND
	v_cmp_ne_u32_e32 vcc, 0, v31
	s_cmp_lg_u64 vcc, exec
	v_mov_b32_e32 v60, v30
	s_cbranch_scc1 .LBB48_99
; %bb.95:                               ;   in Loop: Header=BB48_94 Depth=1
	v_lshlrev_b64 v[30:31], 4, v[34:35]
	v_mov_b32_e32 v32, s45
	v_add_co_u32_e32 v36, vcc, s44, v30
	v_addc_co_u32_e32 v37, vcc, v32, v31, vcc
	;;#ASMSTART
	global_load_dwordx4 v[30:33], v[36:37] off glc	
s_waitcnt vmcnt(0)
	;;#ASMEND
	v_and_b32_e32 v33, 0xff0000, v30
	v_or_b32_sdwa v33, v30, v33 dst_sel:DWORD dst_unused:UNUSED_PAD src0_sel:WORD_0 src1_sel:DWORD
	v_and_b32_e32 v30, 0xff000000, v30
	v_and_b32_e32 v31, 0xff, v31
	v_or3_b32 v31, 0, 0, v31
	v_or3_b32 v30, v33, v30, 0
	v_cmp_eq_u16_sdwa s[54:55], v32, v35 src0_sel:BYTE_0 src1_sel:DWORD
	s_and_saveexec_b64 s[34:35], s[54:55]
	s_cbranch_execz .LBB48_93
; %bb.96:                               ;   in Loop: Header=BB48_94 Depth=1
	s_mov_b64 s[54:55], 0
.LBB48_97:                              ;   Parent Loop BB48_94 Depth=1
                                        ; =>  This Inner Loop Header: Depth=2
	;;#ASMSTART
	global_load_dwordx4 v[30:33], v[36:37] off glc	
s_waitcnt vmcnt(0)
	;;#ASMEND
	v_cmp_ne_u16_sdwa s[56:57], v32, v35 src0_sel:BYTE_0 src1_sel:DWORD
	s_or_b64 s[54:55], s[56:57], s[54:55]
	s_andn2_b64 exec, exec, s[54:55]
	s_cbranch_execnz .LBB48_97
; %bb.98:                               ;   in Loop: Header=BB48_94 Depth=1
	s_or_b64 exec, exec, s[54:55]
	v_and_b32_e32 v31, 0xff, v31
	s_branch .LBB48_93
.LBB48_99:                              ;   in Loop: Header=BB48_94 Depth=1
                                        ; implicit-def: $vgpr31
                                        ; implicit-def: $vgpr30
                                        ; implicit-def: $vgpr32
	s_cbranch_execz .LBB48_94
; %bb.100:
	s_and_saveexec_b64 s[34:35], s[28:29]
	s_cbranch_execz .LBB48_102
; %bb.101:
	s_and_b32 s47, s7, 0xff
	s_cmp_eq_u32 s47, 0
	s_cselect_b64 vcc, -1, 0
	s_bitcmp1_b32 s7, 0
	s_mov_b32 s49, 0
	s_cselect_b64 s[54:55], -1, 0
	s_add_i32 s48, s6, 64
	s_lshl_b64 s[6:7], s[48:49], 4
	v_cndmask_b32_e32 v27, 0, v60, vcc
	s_add_u32 s6, s44, s6
	v_add_u32_e32 v26, v27, v26
	v_and_b32_e32 v27, 1, v46
	s_addc_u32 s7, s45, s7
	v_mov_b32_e32 v29, 0
	v_cndmask_b32_e64 v27, v27, 1, s[54:55]
	v_mov_b32_e32 v28, 2
	v_pk_mov_b32 v[30:31], s[6:7], s[6:7] op_sel:[0,1]
	;;#ASMSTART
	global_store_dwordx4 v[30:31], v[26:29] off	
s_waitcnt vmcnt(0)
	;;#ASMEND
.LBB48_102:
	s_or_b64 exec, exec, s[34:35]
	v_cmp_eq_u32_e32 vcc, 0, v0
	s_and_b64 exec, exec, vcc
	s_cbranch_execz .LBB48_104
; %bb.103:
	v_mov_b32_e32 v26, 0
	ds_write_b32 v26, v60 offset:24
	ds_write_b8 v26, v46 offset:28
.LBB48_104:
	s_or_b64 exec, exec, s[40:41]
	s_mov_b32 s6, 0
	v_mov_b32_e32 v28, 0
	s_mov_b32 s7, 1
	s_waitcnt lgkmcnt(0)
	v_cndmask_b32_e64 v26, v45, v43, s[28:29]
	v_cndmask_b32_e64 v27, v44, v42, s[28:29]
	s_barrier
	ds_read_b32 v29, v28 offset:24
	v_cmp_gt_u64_e32 vcc, s[6:7], v[38:39]
	v_and_b32_e32 v30, 1, v39
	v_cndmask_b32_e32 v27, 0, v27, vcc
	v_and_b32_e32 v26, 1, v26
	v_cmp_eq_u32_e32 vcc, 1, v30
	v_cndmask_b32_e64 v26, v26, 1, vcc
	v_cmp_eq_u32_e32 vcc, 0, v0
	v_cndmask_b32_e32 v26, v26, v39, vcc
	v_cndmask_b32_e64 v27, v27, 0, vcc
	v_cmp_eq_u16_sdwa vcc, v26, v28 src0_sel:BYTE_0 src1_sel:DWORD
	s_waitcnt lgkmcnt(0)
	v_cndmask_b32_e32 v26, 0, v29, vcc
	v_add3_u32 v26, v27, v38, v26
	v_cndmask_b32_e64 v27, 0, v26, s[2:3]
	v_add_u32_e32 v27, v27, v2
	v_cndmask_b32_e64 v28, 0, v27, s[4:5]
	v_add_u32_e32 v42, v28, v4
	v_cndmask_b32_e64 v28, 0, v42, s[30:31]
	v_add_u32_e32 v43, v28, v6
	v_cndmask_b32_e64 v28, 0, v43, s[8:9]
	v_add_u32_e32 v30, v28, v8
	v_cndmask_b32_e64 v28, 0, v30, s[10:11]
	v_add_u32_e32 v31, v28, v10
	v_cndmask_b32_e64 v28, 0, v31, s[12:13]
	v_add_u32_e32 v44, v28, v12
	v_cndmask_b32_e64 v28, 0, v44, s[14:15]
	v_add_u32_e32 v45, v28, v14
	v_cndmask_b32_e64 v28, 0, v45, s[16:17]
	v_add_u32_e32 v34, v28, v16
	v_cndmask_b32_e64 v28, 0, v34, s[18:19]
	v_add_u32_e32 v35, v28, v18
	v_cndmask_b32_e64 v28, 0, v35, s[20:21]
	v_add_u32_e32 v46, v28, v20
	v_cndmask_b32_e64 v28, 0, v46, s[22:23]
	v_add_u32_e32 v47, v28, v22
	v_cndmask_b32_e64 v28, 0, v47, s[24:25]
	v_add_u32_e32 v48, v28, v24
	v_cndmask_b32_e64 v28, 0, v48, s[26:27]
	v_add_u32_e32 v49, v28, v40
	s_branch .LBB48_133
.LBB48_105:
	s_or_b64 exec, exec, s[30:31]
                                        ; implicit-def: $vgpr14
	s_and_saveexec_b64 s[30:31], s[2:3]
	s_cbranch_execz .LBB48_31
.LBB48_106:
	v_mov_b32_e32 v15, s47
	v_add_co_u32_e32 v14, vcc, s7, v12
	v_addc_co_u32_e32 v15, vcc, 0, v15, vcc
	flat_load_dword v14, v[14:15] offset:1024
	s_or_b64 exec, exec, s[30:31]
                                        ; implicit-def: $vgpr15
	s_and_saveexec_b64 s[2:3], s[4:5]
	s_cbranch_execnz .LBB48_32
.LBB48_107:
	s_or_b64 exec, exec, s[2:3]
                                        ; implicit-def: $vgpr16
	s_and_saveexec_b64 s[2:3], s[28:29]
	s_cbranch_execz .LBB48_33
.LBB48_108:
	v_mov_b32_e32 v17, s47
	v_add_co_u32_e32 v16, vcc, s7, v12
	v_addc_co_u32_e32 v17, vcc, 0, v17, vcc
	flat_load_dword v16, v[16:17] offset:3072
	s_or_b64 exec, exec, s[2:3]
                                        ; implicit-def: $vgpr17
	s_and_saveexec_b64 s[2:3], s[8:9]
	s_cbranch_execnz .LBB48_34
.LBB48_109:
	s_or_b64 exec, exec, s[2:3]
                                        ; implicit-def: $vgpr2
	s_and_saveexec_b64 s[2:3], s[10:11]
	s_cbranch_execz .LBB48_35
.LBB48_110:
	v_mov_b32_e32 v18, s47
	v_add_co_u32_e32 v2, vcc, s7, v3
	v_addc_co_u32_e32 v3, vcc, 0, v18, vcc
	flat_load_dword v2, v[2:3]
	s_or_b64 exec, exec, s[2:3]
                                        ; implicit-def: $vgpr3
	s_and_saveexec_b64 s[2:3], s[12:13]
	s_cbranch_execnz .LBB48_36
.LBB48_111:
	s_or_b64 exec, exec, s[2:3]
                                        ; implicit-def: $vgpr4
	s_and_saveexec_b64 s[2:3], s[14:15]
	s_cbranch_execz .LBB48_37
.LBB48_112:
	v_mov_b32_e32 v18, s47
	v_add_co_u32_e32 v4, vcc, s7, v5
	v_addc_co_u32_e32 v5, vcc, 0, v18, vcc
	flat_load_dword v4, v[4:5]
	s_or_b64 exec, exec, s[2:3]
                                        ; implicit-def: $vgpr5
	s_and_saveexec_b64 s[2:3], s[16:17]
	s_cbranch_execnz .LBB48_38
.LBB48_113:
	s_or_b64 exec, exec, s[2:3]
                                        ; implicit-def: $vgpr6
	s_and_saveexec_b64 s[2:3], s[18:19]
	s_cbranch_execz .LBB48_39
.LBB48_114:
	v_mov_b32_e32 v18, s47
	v_add_co_u32_e32 v6, vcc, s7, v7
	v_addc_co_u32_e32 v7, vcc, 0, v18, vcc
	flat_load_dword v6, v[6:7]
	s_or_b64 exec, exec, s[2:3]
                                        ; implicit-def: $vgpr7
	s_and_saveexec_b64 s[2:3], s[20:21]
	s_cbranch_execnz .LBB48_40
.LBB48_115:
	s_or_b64 exec, exec, s[2:3]
                                        ; implicit-def: $vgpr8
	s_and_saveexec_b64 s[2:3], s[22:23]
	s_cbranch_execz .LBB48_41
.LBB48_116:
	v_mov_b32_e32 v18, s47
	v_add_co_u32_e32 v8, vcc, s7, v9
	v_addc_co_u32_e32 v9, vcc, 0, v18, vcc
	flat_load_dword v8, v[8:9]
	s_or_b64 exec, exec, s[2:3]
                                        ; implicit-def: $vgpr9
	s_and_saveexec_b64 s[2:3], s[24:25]
	s_cbranch_execz .LBB48_43
	s_branch .LBB48_42
.LBB48_117:
                                        ; implicit-def: $vgpr49
                                        ; implicit-def: $vgpr47
                                        ; implicit-def: $vgpr45
                                        ; implicit-def: $vgpr43
                                        ; implicit-def: $vgpr34_vgpr35_vgpr36_vgpr37
                                        ; implicit-def: $vgpr30_vgpr31_vgpr32_vgpr33
                                        ; implicit-def: $vgpr26_vgpr27_vgpr28_vgpr29
	s_cbranch_execz .LBB48_133
; %bb.118:
	s_cmp_lg_u64 s[52:53], 0
	s_cselect_b32 s5, s51, 0
	s_cselect_b32 s4, s50, 0
	s_cmp_lg_u64 s[4:5], 0
	s_cselect_b64 s[6:7], -1, 0
	v_cmp_eq_u32_e32 vcc, 0, v0
	s_mov_b32 s28, 0
	v_cmp_ne_u32_e64 s[2:3], 0, v0
	s_and_b64 s[8:9], vcc, s[6:7]
	s_and_saveexec_b64 s[6:7], s[8:9]
	s_cbranch_execz .LBB48_120
; %bb.119:
	v_mov_b32_e32 v26, 0
	global_load_dword v28, v26, s[4:5]
	global_load_ubyte v29, v26, s[4:5] offset:4
	s_mov_b32 s29, 1
	v_and_b32_e32 v27, 1, v39
	v_cmp_gt_u64_e64 s[4:5], s[28:29], v[38:39]
	s_waitcnt vmcnt(1)
	v_cndmask_b32_e64 v28, 0, v28, s[4:5]
	s_waitcnt vmcnt(0)
	v_and_b32_e32 v29, 1, v29
	v_cmp_eq_u64_e64 s[4:5], 0, v[26:27]
	v_add_u32_e32 v38, v28, v38
	v_cndmask_b32_e64 v39, 1, v29, s[4:5]
.LBB48_120:
	s_or_b64 exec, exec, s[6:7]
	s_mov_b32 s29, 1
	v_cmp_gt_u64_e64 s[4:5], s[28:29], v[2:3]
	v_cndmask_b32_e64 v26, 0, v38, s[4:5]
	v_add_u32_e32 v27, v26, v2
	v_cmp_gt_u64_e64 s[6:7], s[28:29], v[4:5]
	v_cndmask_b32_e64 v26, 0, v27, s[6:7]
	v_add_u32_e32 v42, v26, v4
	;; [unrolled: 3-line block ×7, first 2 shown]
	v_cmp_gt_u64_e64 s[18:19], s[28:29], v[16:17]
	v_mov_b32_e32 v28, 0
	v_cndmask_b32_e64 v26, 0, v45, s[18:19]
	v_or3_b32 v7, v23, v15, v7
	v_add_u32_e32 v34, v26, v16
	v_cmp_gt_u64_e64 s[20:21], s[28:29], v[18:19]
	v_or3_b32 v9, v25, v17, v9
	v_and_b32_e32 v55, 1, v7
	v_mov_b32_e32 v54, v28
	v_cndmask_b32_e64 v26, 0, v34, s[20:21]
	v_or3_b32 v3, v19, v11, v3
	v_and_b32_e32 v37, 1, v9
	v_mov_b32_e32 v36, v28
	v_cmp_ne_u64_e64 s[34:35], 0, v[54:55]
	v_add_u32_e32 v35, v26, v18
	v_cmp_gt_u64_e64 s[22:23], s[28:29], v[20:21]
	v_or3_b32 v5, v21, v13, v5
	v_and_b32_e32 v29, 1, v3
	v_cndmask_b32_e64 v3, 0, 1, s[34:35]
	v_cmp_ne_u64_e64 s[34:35], 0, v[36:37]
	v_cndmask_b32_e64 v26, 0, v35, s[22:23]
	v_and_b32_e32 v33, 1, v5
	v_mov_b32_e32 v32, v28
	v_cndmask_b32_e64 v5, 0, 1, s[34:35]
	v_add_u32_e32 v46, v26, v20
	v_cmp_gt_u64_e64 s[24:25], s[28:29], v[22:23]
	v_lshlrev_b16_e32 v3, 2, v3
	v_lshlrev_b16_e32 v5, 3, v5
	v_cmp_ne_u64_e64 s[34:35], 0, v[32:33]
	v_cndmask_b32_e64 v26, 0, v46, s[24:25]
	v_or_b32_e32 v3, v5, v3
	v_cndmask_b32_e64 v5, 0, 1, s[34:35]
	v_cmp_ne_u64_e64 s[34:35], 0, v[28:29]
	v_add_u32_e32 v47, v26, v22
	v_cmp_gt_u64_e64 s[26:27], s[28:29], v[24:25]
	v_lshlrev_b16_e32 v5, 1, v5
	v_cndmask_b32_e64 v7, 0, 1, s[34:35]
	v_cndmask_b32_e64 v26, 0, v47, s[26:27]
	v_or_b32_e32 v5, v7, v5
	v_add_u32_e32 v48, v26, v24
	v_cmp_gt_u64_e64 s[28:29], s[28:29], v[40:41]
	v_and_b32_e32 v5, 3, v5
	v_cndmask_b32_e64 v26, 0, v48, s[28:29]
	v_or_b32_e32 v3, v5, v3
	v_add_u32_e32 v49, v26, v40
	v_and_b32_e32 v26, 1, v41
	v_and_b32_e32 v3, 15, v3
	v_cmp_eq_u32_e64 s[30:31], 1, v26
	v_cmp_ne_u16_e64 s[34:35], 0, v3
	s_or_b64 s[30:31], s[30:31], s[34:35]
	v_cndmask_b32_e64 v5, v39, 1, s[30:31]
	v_mbcnt_hi_u32_b32 v3, -1, v52
	v_mov_b32_dpp v9, v49 row_shr:1 row_mask:0xf bank_mask:0xf
	v_mov_b32_dpp v11, v5 row_shr:1 row_mask:0xf bank_mask:0xf
	v_cmp_eq_u32_e64 s[30:31], 0, v5
	v_and_b32_e32 v13, 1, v5
	v_and_b32_e32 v7, 15, v3
	v_cndmask_b32_e64 v9, 0, v9, s[30:31]
	v_and_b32_e32 v11, 1, v11
	v_cmp_eq_u32_e64 s[30:31], 1, v13
	v_cndmask_b32_e64 v11, v11, 1, s[30:31]
	v_cmp_eq_u32_e64 s[30:31], 0, v7
	v_cndmask_b32_e64 v5, v11, v5, s[30:31]
	v_and_b32_e32 v15, 1, v5
	v_cmp_eq_u32_e64 s[34:35], 1, v15
	v_mov_b32_dpp v13, v5 row_shr:2 row_mask:0xf bank_mask:0xf
	v_and_b32_e32 v13, 1, v13
	v_cndmask_b32_e64 v13, v13, 1, s[34:35]
	v_cmp_lt_u32_e64 s[34:35], 1, v7
	v_cndmask_b32_e64 v9, v9, 0, s[30:31]
	v_cmp_eq_u32_e64 s[30:31], 0, v5
	v_cndmask_b32_e64 v5, v5, v13, s[34:35]
	v_add_u32_e32 v9, v49, v9
	v_and_b32_e32 v15, 1, v5
	v_mov_b32_dpp v13, v5 row_shr:4 row_mask:0xf bank_mask:0xf
	v_mov_b32_dpp v11, v9 row_shr:2 row_mask:0xf bank_mask:0xf
	s_and_b64 s[30:31], s[34:35], s[30:31]
	v_and_b32_e32 v13, 1, v13
	v_cmp_eq_u32_e64 s[34:35], 1, v15
	v_cndmask_b32_e64 v11, 0, v11, s[30:31]
	v_cndmask_b32_e64 v13, v13, 1, s[34:35]
	v_cmp_lt_u32_e64 s[34:35], 3, v7
	v_add_u32_e32 v9, v9, v11
	v_cmp_eq_u32_e64 s[30:31], 0, v5
	v_cndmask_b32_e64 v5, v5, v13, s[34:35]
	v_mov_b32_dpp v11, v9 row_shr:4 row_mask:0xf bank_mask:0xf
	s_and_b64 s[30:31], s[34:35], s[30:31]
	v_mov_b32_dpp v13, v5 row_shr:8 row_mask:0xf bank_mask:0xf
	v_and_b32_e32 v15, 1, v5
	v_cndmask_b32_e64 v11, 0, v11, s[30:31]
	v_and_b32_e32 v13, 1, v13
	v_cmp_eq_u32_e64 s[34:35], 1, v15
	v_add_u32_e32 v9, v9, v11
	v_cmp_eq_u32_e64 s[30:31], 0, v5
	v_cndmask_b32_e64 v13, v13, 1, s[34:35]
	v_cmp_lt_u32_e64 s[34:35], 7, v7
	v_mov_b32_dpp v11, v9 row_shr:8 row_mask:0xf bank_mask:0xf
	s_and_b64 s[30:31], s[34:35], s[30:31]
	v_cndmask_b32_e64 v7, 0, v11, s[30:31]
	v_cndmask_b32_e64 v5, v5, v13, s[34:35]
	v_add_u32_e32 v7, v9, v7
	v_cmp_eq_u32_e64 s[30:31], 0, v5
	v_mov_b32_dpp v11, v5 row_bcast:15 row_mask:0xf bank_mask:0xf
	v_mov_b32_dpp v9, v7 row_bcast:15 row_mask:0xf bank_mask:0xf
	v_and_b32_e32 v17, 1, v5
	v_and_b32_e32 v15, 16, v3
	v_cndmask_b32_e64 v9, 0, v9, s[30:31]
	v_and_b32_e32 v11, 1, v11
	v_cmp_eq_u32_e64 s[30:31], 1, v17
	v_bfe_i32 v13, v3, 4, 1
	v_cndmask_b32_e64 v11, v11, 1, s[30:31]
	v_cmp_eq_u32_e64 s[30:31], 0, v15
	v_and_b32_e32 v9, v13, v9
	v_cndmask_b32_e64 v5, v11, v5, s[30:31]
	v_add_u32_e32 v9, v7, v9
	v_and_b32_e32 v13, 1, v5
	v_mov_b32_dpp v7, v5 row_bcast:31 row_mask:0xf bank_mask:0xf
	v_and_b32_e32 v7, 1, v7
	v_cmp_eq_u32_e64 s[34:35], 1, v13
	v_cmp_eq_u32_e64 s[30:31], 0, v5
	v_cndmask_b32_e64 v7, v7, 1, s[34:35]
	v_cmp_lt_u32_e64 s[34:35], 31, v3
	v_mov_b32_dpp v11, v9 row_bcast:31 row_mask:0xf bank_mask:0xf
	s_and_b64 s[30:31], s[34:35], s[30:31]
	v_cndmask_b32_e64 v7, v5, v7, s[34:35]
	v_cndmask_b32_e64 v5, 0, v11, s[30:31]
	v_add_u32_e32 v5, v9, v5
	v_cmp_eq_u32_e64 s[30:31], v51, v0
	s_and_saveexec_b64 s[34:35], s[30:31]
	s_cbranch_execz .LBB48_122
; %bb.121:
	v_lshlrev_b32_e32 v9, 3, v1
	ds_write_b32 v9, v5
	ds_write_b8 v9, v7 offset:4
.LBB48_122:
	s_or_b64 exec, exec, s[34:35]
	v_cmp_gt_u32_e64 s[30:31], 4, v0
	s_waitcnt lgkmcnt(0)
	s_barrier
	s_and_saveexec_b64 s[34:35], s[30:31]
	s_cbranch_execz .LBB48_126
; %bb.123:
	v_lshlrev_b32_e32 v9, 3, v0
	ds_read_b64 v[28:29], v9
	v_and_b32_e32 v11, 3, v3
	v_cmp_ne_u32_e64 s[30:31], 0, v11
	s_waitcnt lgkmcnt(0)
	v_mov_b32_dpp v13, v28 row_shr:1 row_mask:0xf bank_mask:0xf
	v_mov_b32_dpp v17, v29 row_shr:1 row_mask:0xf bank_mask:0xf
	v_mov_b32_e32 v15, v29
	s_and_saveexec_b64 s[40:41], s[30:31]
	s_cbranch_execz .LBB48_125
; %bb.124:
	v_and_b32_e32 v15, 1, v29
	v_and_b32_e32 v17, 1, v17
	v_cmp_eq_u32_e64 s[30:31], 1, v15
	v_mov_b32_e32 v15, 0
	v_cndmask_b32_e64 v17, v17, 1, s[30:31]
	v_cmp_eq_u16_sdwa s[30:31], v29, v15 src0_sel:BYTE_0 src1_sel:DWORD
	v_cndmask_b32_e64 v13, 0, v13, s[30:31]
	v_add_u32_e32 v28, v13, v28
	v_and_b32_e32 v13, 0xffff, v17
	s_movk_i32 s30, 0xff00
	v_and_or_b32 v15, v29, s30, v13
	v_mov_b32_e32 v29, v17
.LBB48_125:
	s_or_b64 exec, exec, s[40:41]
	v_mov_b32_dpp v15, v15 row_shr:2 row_mask:0xf bank_mask:0xf
	v_and_b32_e32 v17, 1, v29
	v_and_b32_e32 v15, 1, v15
	v_cmp_eq_u32_e64 s[30:31], 1, v17
	v_mov_b32_e32 v17, 0
	v_cndmask_b32_e64 v15, v15, 1, s[30:31]
	v_cmp_eq_u16_sdwa s[40:41], v29, v17 src0_sel:BYTE_0 src1_sel:DWORD
	v_cmp_lt_u32_e64 s[30:31], 1, v11
	v_mov_b32_dpp v13, v28 row_shr:2 row_mask:0xf bank_mask:0xf
	v_cndmask_b32_e64 v11, v29, v15, s[30:31]
	s_and_b64 s[30:31], s[30:31], s[40:41]
	v_cndmask_b32_e64 v13, 0, v13, s[30:31]
	v_add_u32_e32 v13, v13, v28
	ds_write_b32 v9, v13
	ds_write_b8 v9, v11 offset:4
.LBB48_126:
	s_or_b64 exec, exec, s[34:35]
	v_cmp_lt_u32_e64 s[30:31], 63, v0
	v_mov_b32_e32 v9, 0
	s_waitcnt lgkmcnt(0)
	s_barrier
	s_and_saveexec_b64 s[34:35], s[30:31]
	s_cbranch_execz .LBB48_128
; %bb.127:
	v_lshl_add_u32 v1, v1, 3, -8
	ds_read_b32 v9, v1
	v_cmp_eq_u32_e64 s[30:31], 0, v7
	s_waitcnt lgkmcnt(0)
	v_cndmask_b32_e64 v1, 0, v9, s[30:31]
	v_add_u32_e32 v5, v1, v5
.LBB48_128:
	s_or_b64 exec, exec, s[34:35]
	v_add_u32_e32 v1, -1, v3
	v_and_b32_e32 v7, 64, v3
	v_cmp_lt_i32_e64 s[30:31], v1, v7
	v_cndmask_b32_e64 v1, v1, v3, s[30:31]
	v_lshlrev_b32_e32 v1, 2, v1
	ds_bpermute_b32 v1, v1, v5
	s_and_saveexec_b64 s[30:31], s[2:3]
	s_cbranch_execz .LBB48_130
; %bb.129:
	v_and_b32_e32 v27, 0xff, v39
	v_mov_b32_e32 v26, 0
	v_cmp_eq_u32_e64 s[2:3], 0, v3
	s_waitcnt lgkmcnt(0)
	v_cndmask_b32_e64 v1, v1, v9, s[2:3]
	v_cmp_eq_u64_e64 s[2:3], 0, v[26:27]
	v_cndmask_b32_e64 v1, 0, v1, s[2:3]
	v_add_u32_e32 v38, v1, v38
	v_cndmask_b32_e64 v1, 0, v38, s[4:5]
	v_add_u32_e32 v27, v1, v2
	;; [unrolled: 2-line block ×14, first 2 shown]
	;;#ASMSTART
	;;#ASMEND
.LBB48_130:
	s_or_b64 exec, exec, s[30:31]
	s_and_saveexec_b64 s[2:3], vcc
	s_cbranch_execz .LBB48_132
; %bb.131:
	v_mov_b32_e32 v5, 0
	ds_read_b32 v2, v5 offset:24
	ds_read_u8 v3, v5 offset:28
	s_add_u32 s4, s44, 0x400
	s_addc_u32 s5, s45, 0
	v_mov_b32_e32 v4, 2
	v_pk_mov_b32 v[6:7], s[4:5], s[4:5] op_sel:[0,1]
	s_waitcnt lgkmcnt(0)
	;;#ASMSTART
	global_store_dwordx4 v[6:7], v[2:5] off	
s_waitcnt vmcnt(0)
	;;#ASMEND
.LBB48_132:
	s_or_b64 exec, exec, s[2:3]
	v_mov_b32_e32 v26, v38
.LBB48_133:
	s_add_u32 s2, s42, s38
	s_addc_u32 s3, s43, s39
	s_add_u32 s4, s2, s36
	s_waitcnt lgkmcnt(0)
	v_mul_u32_u24_e32 v1, 14, v0
	s_addc_u32 s5, s3, s37
	s_and_b64 vcc, exec, s[0:1]
	v_lshlrev_b32_e32 v2, 2, v1
	s_cbranch_vccz .LBB48_161
; %bb.134:
	s_movk_i32 s0, 0xffcc
	v_mad_i32_i24 v3, v0, s0, v2
	s_barrier
	ds_write2_b64 v2, v[26:27], v[42:43] offset1:1
	ds_write2_b64 v2, v[30:31], v[44:45] offset0:2 offset1:3
	ds_write2_b64 v2, v[34:35], v[46:47] offset0:4 offset1:5
	ds_write_b64 v2, v[48:49] offset:48
	s_waitcnt lgkmcnt(0)
	s_barrier
	ds_read2st64_b32 v[16:17], v3 offset0:4 offset1:8
	ds_read2st64_b32 v[14:15], v3 offset0:12 offset1:16
	;; [unrolled: 1-line block ×6, first 2 shown]
	ds_read_b32 v3, v3 offset:13312
	v_mov_b32_e32 v7, s5
	v_add_co_u32_e32 v6, vcc, s4, v50
	s_add_i32 s33, s33, s46
	v_addc_co_u32_e32 v7, vcc, 0, v7, vcc
	v_mov_b32_e32 v1, 0
	v_cmp_gt_u32_e32 vcc, s33, v0
	s_and_saveexec_b64 s[0:1], vcc
	s_cbranch_execz .LBB48_136
; %bb.135:
	v_mul_i32_i24_e32 v18, 0xffffffcc, v0
	v_add_u32_e32 v18, v2, v18
	ds_read_b32 v18, v18
	s_waitcnt lgkmcnt(0)
	flat_store_dword v[6:7], v18
.LBB48_136:
	s_or_b64 exec, exec, s[0:1]
	v_or_b32_e32 v18, 0x100, v0
	v_cmp_gt_u32_e32 vcc, s33, v18
	s_and_saveexec_b64 s[0:1], vcc
	s_cbranch_execz .LBB48_138
; %bb.137:
	s_waitcnt lgkmcnt(0)
	flat_store_dword v[6:7], v16 offset:1024
.LBB48_138:
	s_or_b64 exec, exec, s[0:1]
	s_waitcnt lgkmcnt(0)
	v_or_b32_e32 v16, 0x200, v0
	v_cmp_gt_u32_e32 vcc, s33, v16
	s_and_saveexec_b64 s[0:1], vcc
	s_cbranch_execz .LBB48_140
; %bb.139:
	flat_store_dword v[6:7], v17 offset:2048
.LBB48_140:
	s_or_b64 exec, exec, s[0:1]
	v_or_b32_e32 v16, 0x300, v0
	v_cmp_gt_u32_e32 vcc, s33, v16
	s_and_saveexec_b64 s[0:1], vcc
	s_cbranch_execz .LBB48_142
; %bb.141:
	flat_store_dword v[6:7], v14 offset:3072
.LBB48_142:
	s_or_b64 exec, exec, s[0:1]
	v_or_b32_e32 v14, 0x400, v0
	v_cmp_gt_u32_e32 vcc, s33, v14
	s_and_saveexec_b64 s[0:1], vcc
	s_cbranch_execz .LBB48_144
; %bb.143:
	v_add_co_u32_e32 v16, vcc, 0x1000, v6
	v_addc_co_u32_e32 v17, vcc, 0, v7, vcc
	flat_store_dword v[16:17], v15
.LBB48_144:
	s_or_b64 exec, exec, s[0:1]
	v_or_b32_e32 v14, 0x500, v0
	v_cmp_gt_u32_e32 vcc, s33, v14
	s_and_saveexec_b64 s[0:1], vcc
	s_cbranch_execz .LBB48_146
; %bb.145:
	v_add_co_u32_e32 v14, vcc, 0x1000, v6
	v_addc_co_u32_e32 v15, vcc, 0, v7, vcc
	flat_store_dword v[14:15], v12 offset:1024
.LBB48_146:
	s_or_b64 exec, exec, s[0:1]
	v_or_b32_e32 v12, 0x600, v0
	v_cmp_gt_u32_e32 vcc, s33, v12
	s_and_saveexec_b64 s[0:1], vcc
	s_cbranch_execz .LBB48_148
; %bb.147:
	v_add_co_u32_e32 v14, vcc, 0x1000, v6
	v_addc_co_u32_e32 v15, vcc, 0, v7, vcc
	flat_store_dword v[14:15], v13 offset:2048
.LBB48_148:
	s_or_b64 exec, exec, s[0:1]
	v_or_b32_e32 v12, 0x700, v0
	v_cmp_gt_u32_e32 vcc, s33, v12
	s_and_saveexec_b64 s[0:1], vcc
	s_cbranch_execz .LBB48_150
; %bb.149:
	v_add_co_u32_e32 v12, vcc, 0x1000, v6
	v_addc_co_u32_e32 v13, vcc, 0, v7, vcc
	flat_store_dword v[12:13], v10 offset:3072
.LBB48_150:
	s_or_b64 exec, exec, s[0:1]
	v_or_b32_e32 v10, 0x800, v0
	v_cmp_gt_u32_e32 vcc, s33, v10
	s_and_saveexec_b64 s[0:1], vcc
	s_cbranch_execz .LBB48_152
; %bb.151:
	v_add_co_u32_e32 v12, vcc, 0x2000, v6
	v_addc_co_u32_e32 v13, vcc, 0, v7, vcc
	flat_store_dword v[12:13], v11
.LBB48_152:
	s_or_b64 exec, exec, s[0:1]
	v_or_b32_e32 v10, 0x900, v0
	v_cmp_gt_u32_e32 vcc, s33, v10
	s_and_saveexec_b64 s[0:1], vcc
	s_cbranch_execz .LBB48_154
; %bb.153:
	v_add_co_u32_e32 v10, vcc, 0x2000, v6
	v_addc_co_u32_e32 v11, vcc, 0, v7, vcc
	flat_store_dword v[10:11], v8 offset:1024
.LBB48_154:
	s_or_b64 exec, exec, s[0:1]
	v_or_b32_e32 v8, 0xa00, v0
	v_cmp_gt_u32_e32 vcc, s33, v8
	s_and_saveexec_b64 s[0:1], vcc
	s_cbranch_execz .LBB48_156
; %bb.155:
	v_add_co_u32_e32 v10, vcc, 0x2000, v6
	v_addc_co_u32_e32 v11, vcc, 0, v7, vcc
	flat_store_dword v[10:11], v9 offset:2048
.LBB48_156:
	;; [unrolled: 10-line block ×3, first 2 shown]
	s_or_b64 exec, exec, s[0:1]
	v_or_b32_e32 v4, 0xc00, v0
	v_cmp_gt_u32_e32 vcc, s33, v4
	s_and_saveexec_b64 s[0:1], vcc
	s_cbranch_execz .LBB48_160
; %bb.159:
	v_add_co_u32_e32 v6, vcc, 0x3000, v6
	v_addc_co_u32_e32 v7, vcc, 0, v7, vcc
	flat_store_dword v[6:7], v5
.LBB48_160:
	s_or_b64 exec, exec, s[0:1]
	v_or_b32_e32 v4, 0xd00, v0
	v_cmp_gt_u32_e64 s[0:1], s33, v4
	s_branch .LBB48_163
.LBB48_161:
	s_mov_b64 s[0:1], 0
                                        ; implicit-def: $vgpr3
	s_cbranch_execz .LBB48_163
; %bb.162:
	s_movk_i32 s2, 0xffcc
	s_waitcnt lgkmcnt(0)
	s_barrier
	ds_write2_b64 v2, v[26:27], v[42:43] offset1:1
	ds_write2_b64 v2, v[30:31], v[44:45] offset0:2 offset1:3
	ds_write2_b64 v2, v[34:35], v[46:47] offset0:4 offset1:5
	ds_write_b64 v2, v[48:49] offset:48
	v_mad_i32_i24 v2, v0, s2, v2
	v_mov_b32_e32 v17, s5
	v_add_co_u32_e32 v16, vcc, s4, v50
	s_waitcnt lgkmcnt(0)
	s_barrier
	ds_read2st64_b32 v[4:5], v2 offset1:4
	ds_read2st64_b32 v[6:7], v2 offset0:8 offset1:12
	ds_read2st64_b32 v[8:9], v2 offset0:16 offset1:20
	;; [unrolled: 1-line block ×6, first 2 shown]
	v_addc_co_u32_e32 v17, vcc, 0, v17, vcc
	s_movk_i32 s2, 0x1000
	s_waitcnt lgkmcnt(0)
	flat_store_dword v[16:17], v4
	flat_store_dword v[16:17], v5 offset:1024
	flat_store_dword v[16:17], v6 offset:2048
	;; [unrolled: 1-line block ×3, first 2 shown]
	v_add_co_u32_e32 v4, vcc, s2, v16
	v_addc_co_u32_e32 v5, vcc, 0, v17, vcc
	flat_store_dword v[4:5], v8
	flat_store_dword v[4:5], v9 offset:1024
	flat_store_dword v[4:5], v10 offset:2048
	;; [unrolled: 1-line block ×3, first 2 shown]
	v_add_co_u32_e32 v4, vcc, 0x2000, v16
	v_addc_co_u32_e32 v5, vcc, 0, v17, vcc
	flat_store_dword v[4:5], v12
	flat_store_dword v[4:5], v13 offset:1024
	flat_store_dword v[4:5], v14 offset:2048
	;; [unrolled: 1-line block ×3, first 2 shown]
	v_add_co_u32_e32 v4, vcc, 0x3000, v16
	v_mov_b32_e32 v1, 0
	v_addc_co_u32_e32 v5, vcc, 0, v17, vcc
	s_or_b64 s[0:1], s[0:1], exec
	flat_store_dword v[4:5], v2
.LBB48_163:
	s_and_saveexec_b64 s[2:3], s[0:1]
	s_cbranch_execz .LBB48_165
; %bb.164:
	v_lshlrev_b64 v[0:1], 2, v[0:1]
	v_mov_b32_e32 v2, s5
	v_add_co_u32_e32 v0, vcc, s4, v0
	v_addc_co_u32_e32 v1, vcc, v2, v1, vcc
	v_add_co_u32_e32 v0, vcc, 0x3000, v0
	v_addc_co_u32_e32 v1, vcc, 0, v1, vcc
	flat_store_dword v[0:1], v3 offset:1024
	s_endpgm
.LBB48_165:
	s_endpgm
	.section	.rodata,"a",@progbits
	.p2align	6, 0x0
	.amdhsa_kernel _ZN7rocprim17ROCPRIM_400000_NS6detail17trampoline_kernelINS0_14default_configENS1_27scan_by_key_config_selectorIiiEEZZNS1_16scan_by_key_implILNS1_25lookback_scan_determinismE0ELb0ES3_N6thrust23THRUST_200600_302600_NS6detail15normal_iteratorINS9_10device_ptrIiEEEESE_SE_iNS9_4plusIvEE19head_flag_predicateIiEiEE10hipError_tPvRmT2_T3_T4_T5_mT6_T7_P12ihipStream_tbENKUlT_T0_E_clISt17integral_constantIbLb0EESZ_EEDaSU_SV_EUlSU_E_NS1_11comp_targetILNS1_3genE4ELNS1_11target_archE910ELNS1_3gpuE8ELNS1_3repE0EEENS1_30default_config_static_selectorELNS0_4arch9wavefront6targetE1EEEvT1_
		.amdhsa_group_segment_fixed_size 16384
		.amdhsa_private_segment_fixed_size 0
		.amdhsa_kernarg_size 112
		.amdhsa_user_sgpr_count 6
		.amdhsa_user_sgpr_private_segment_buffer 1
		.amdhsa_user_sgpr_dispatch_ptr 0
		.amdhsa_user_sgpr_queue_ptr 0
		.amdhsa_user_sgpr_kernarg_segment_ptr 1
		.amdhsa_user_sgpr_dispatch_id 0
		.amdhsa_user_sgpr_flat_scratch_init 0
		.amdhsa_user_sgpr_kernarg_preload_length 0
		.amdhsa_user_sgpr_kernarg_preload_offset 0
		.amdhsa_user_sgpr_private_segment_size 0
		.amdhsa_uses_dynamic_stack 0
		.amdhsa_system_sgpr_private_segment_wavefront_offset 0
		.amdhsa_system_sgpr_workgroup_id_x 1
		.amdhsa_system_sgpr_workgroup_id_y 0
		.amdhsa_system_sgpr_workgroup_id_z 0
		.amdhsa_system_sgpr_workgroup_info 0
		.amdhsa_system_vgpr_workitem_id 0
		.amdhsa_next_free_vgpr 65
		.amdhsa_next_free_sgpr 60
		.amdhsa_accum_offset 68
		.amdhsa_reserve_vcc 1
		.amdhsa_reserve_flat_scratch 0
		.amdhsa_float_round_mode_32 0
		.amdhsa_float_round_mode_16_64 0
		.amdhsa_float_denorm_mode_32 3
		.amdhsa_float_denorm_mode_16_64 3
		.amdhsa_dx10_clamp 1
		.amdhsa_ieee_mode 1
		.amdhsa_fp16_overflow 0
		.amdhsa_tg_split 0
		.amdhsa_exception_fp_ieee_invalid_op 0
		.amdhsa_exception_fp_denorm_src 0
		.amdhsa_exception_fp_ieee_div_zero 0
		.amdhsa_exception_fp_ieee_overflow 0
		.amdhsa_exception_fp_ieee_underflow 0
		.amdhsa_exception_fp_ieee_inexact 0
		.amdhsa_exception_int_div_zero 0
	.end_amdhsa_kernel
	.section	.text._ZN7rocprim17ROCPRIM_400000_NS6detail17trampoline_kernelINS0_14default_configENS1_27scan_by_key_config_selectorIiiEEZZNS1_16scan_by_key_implILNS1_25lookback_scan_determinismE0ELb0ES3_N6thrust23THRUST_200600_302600_NS6detail15normal_iteratorINS9_10device_ptrIiEEEESE_SE_iNS9_4plusIvEE19head_flag_predicateIiEiEE10hipError_tPvRmT2_T3_T4_T5_mT6_T7_P12ihipStream_tbENKUlT_T0_E_clISt17integral_constantIbLb0EESZ_EEDaSU_SV_EUlSU_E_NS1_11comp_targetILNS1_3genE4ELNS1_11target_archE910ELNS1_3gpuE8ELNS1_3repE0EEENS1_30default_config_static_selectorELNS0_4arch9wavefront6targetE1EEEvT1_,"axG",@progbits,_ZN7rocprim17ROCPRIM_400000_NS6detail17trampoline_kernelINS0_14default_configENS1_27scan_by_key_config_selectorIiiEEZZNS1_16scan_by_key_implILNS1_25lookback_scan_determinismE0ELb0ES3_N6thrust23THRUST_200600_302600_NS6detail15normal_iteratorINS9_10device_ptrIiEEEESE_SE_iNS9_4plusIvEE19head_flag_predicateIiEiEE10hipError_tPvRmT2_T3_T4_T5_mT6_T7_P12ihipStream_tbENKUlT_T0_E_clISt17integral_constantIbLb0EESZ_EEDaSU_SV_EUlSU_E_NS1_11comp_targetILNS1_3genE4ELNS1_11target_archE910ELNS1_3gpuE8ELNS1_3repE0EEENS1_30default_config_static_selectorELNS0_4arch9wavefront6targetE1EEEvT1_,comdat
.Lfunc_end48:
	.size	_ZN7rocprim17ROCPRIM_400000_NS6detail17trampoline_kernelINS0_14default_configENS1_27scan_by_key_config_selectorIiiEEZZNS1_16scan_by_key_implILNS1_25lookback_scan_determinismE0ELb0ES3_N6thrust23THRUST_200600_302600_NS6detail15normal_iteratorINS9_10device_ptrIiEEEESE_SE_iNS9_4plusIvEE19head_flag_predicateIiEiEE10hipError_tPvRmT2_T3_T4_T5_mT6_T7_P12ihipStream_tbENKUlT_T0_E_clISt17integral_constantIbLb0EESZ_EEDaSU_SV_EUlSU_E_NS1_11comp_targetILNS1_3genE4ELNS1_11target_archE910ELNS1_3gpuE8ELNS1_3repE0EEENS1_30default_config_static_selectorELNS0_4arch9wavefront6targetE1EEEvT1_, .Lfunc_end48-_ZN7rocprim17ROCPRIM_400000_NS6detail17trampoline_kernelINS0_14default_configENS1_27scan_by_key_config_selectorIiiEEZZNS1_16scan_by_key_implILNS1_25lookback_scan_determinismE0ELb0ES3_N6thrust23THRUST_200600_302600_NS6detail15normal_iteratorINS9_10device_ptrIiEEEESE_SE_iNS9_4plusIvEE19head_flag_predicateIiEiEE10hipError_tPvRmT2_T3_T4_T5_mT6_T7_P12ihipStream_tbENKUlT_T0_E_clISt17integral_constantIbLb0EESZ_EEDaSU_SV_EUlSU_E_NS1_11comp_targetILNS1_3genE4ELNS1_11target_archE910ELNS1_3gpuE8ELNS1_3repE0EEENS1_30default_config_static_selectorELNS0_4arch9wavefront6targetE1EEEvT1_
                                        ; -- End function
	.section	.AMDGPU.csdata,"",@progbits
; Kernel info:
; codeLenInByte = 10736
; NumSgprs: 64
; NumVgprs: 65
; NumAgprs: 0
; TotalNumVgprs: 65
; ScratchSize: 0
; MemoryBound: 0
; FloatMode: 240
; IeeeMode: 1
; LDSByteSize: 16384 bytes/workgroup (compile time only)
; SGPRBlocks: 7
; VGPRBlocks: 8
; NumSGPRsForWavesPerEU: 64
; NumVGPRsForWavesPerEU: 65
; AccumOffset: 68
; Occupancy: 4
; WaveLimiterHint : 1
; COMPUTE_PGM_RSRC2:SCRATCH_EN: 0
; COMPUTE_PGM_RSRC2:USER_SGPR: 6
; COMPUTE_PGM_RSRC2:TRAP_HANDLER: 0
; COMPUTE_PGM_RSRC2:TGID_X_EN: 1
; COMPUTE_PGM_RSRC2:TGID_Y_EN: 0
; COMPUTE_PGM_RSRC2:TGID_Z_EN: 0
; COMPUTE_PGM_RSRC2:TIDIG_COMP_CNT: 0
; COMPUTE_PGM_RSRC3_GFX90A:ACCUM_OFFSET: 16
; COMPUTE_PGM_RSRC3_GFX90A:TG_SPLIT: 0
	.section	.text._ZN7rocprim17ROCPRIM_400000_NS6detail17trampoline_kernelINS0_14default_configENS1_27scan_by_key_config_selectorIiiEEZZNS1_16scan_by_key_implILNS1_25lookback_scan_determinismE0ELb0ES3_N6thrust23THRUST_200600_302600_NS6detail15normal_iteratorINS9_10device_ptrIiEEEESE_SE_iNS9_4plusIvEE19head_flag_predicateIiEiEE10hipError_tPvRmT2_T3_T4_T5_mT6_T7_P12ihipStream_tbENKUlT_T0_E_clISt17integral_constantIbLb0EESZ_EEDaSU_SV_EUlSU_E_NS1_11comp_targetILNS1_3genE3ELNS1_11target_archE908ELNS1_3gpuE7ELNS1_3repE0EEENS1_30default_config_static_selectorELNS0_4arch9wavefront6targetE1EEEvT1_,"axG",@progbits,_ZN7rocprim17ROCPRIM_400000_NS6detail17trampoline_kernelINS0_14default_configENS1_27scan_by_key_config_selectorIiiEEZZNS1_16scan_by_key_implILNS1_25lookback_scan_determinismE0ELb0ES3_N6thrust23THRUST_200600_302600_NS6detail15normal_iteratorINS9_10device_ptrIiEEEESE_SE_iNS9_4plusIvEE19head_flag_predicateIiEiEE10hipError_tPvRmT2_T3_T4_T5_mT6_T7_P12ihipStream_tbENKUlT_T0_E_clISt17integral_constantIbLb0EESZ_EEDaSU_SV_EUlSU_E_NS1_11comp_targetILNS1_3genE3ELNS1_11target_archE908ELNS1_3gpuE7ELNS1_3repE0EEENS1_30default_config_static_selectorELNS0_4arch9wavefront6targetE1EEEvT1_,comdat
	.protected	_ZN7rocprim17ROCPRIM_400000_NS6detail17trampoline_kernelINS0_14default_configENS1_27scan_by_key_config_selectorIiiEEZZNS1_16scan_by_key_implILNS1_25lookback_scan_determinismE0ELb0ES3_N6thrust23THRUST_200600_302600_NS6detail15normal_iteratorINS9_10device_ptrIiEEEESE_SE_iNS9_4plusIvEE19head_flag_predicateIiEiEE10hipError_tPvRmT2_T3_T4_T5_mT6_T7_P12ihipStream_tbENKUlT_T0_E_clISt17integral_constantIbLb0EESZ_EEDaSU_SV_EUlSU_E_NS1_11comp_targetILNS1_3genE3ELNS1_11target_archE908ELNS1_3gpuE7ELNS1_3repE0EEENS1_30default_config_static_selectorELNS0_4arch9wavefront6targetE1EEEvT1_ ; -- Begin function _ZN7rocprim17ROCPRIM_400000_NS6detail17trampoline_kernelINS0_14default_configENS1_27scan_by_key_config_selectorIiiEEZZNS1_16scan_by_key_implILNS1_25lookback_scan_determinismE0ELb0ES3_N6thrust23THRUST_200600_302600_NS6detail15normal_iteratorINS9_10device_ptrIiEEEESE_SE_iNS9_4plusIvEE19head_flag_predicateIiEiEE10hipError_tPvRmT2_T3_T4_T5_mT6_T7_P12ihipStream_tbENKUlT_T0_E_clISt17integral_constantIbLb0EESZ_EEDaSU_SV_EUlSU_E_NS1_11comp_targetILNS1_3genE3ELNS1_11target_archE908ELNS1_3gpuE7ELNS1_3repE0EEENS1_30default_config_static_selectorELNS0_4arch9wavefront6targetE1EEEvT1_
	.globl	_ZN7rocprim17ROCPRIM_400000_NS6detail17trampoline_kernelINS0_14default_configENS1_27scan_by_key_config_selectorIiiEEZZNS1_16scan_by_key_implILNS1_25lookback_scan_determinismE0ELb0ES3_N6thrust23THRUST_200600_302600_NS6detail15normal_iteratorINS9_10device_ptrIiEEEESE_SE_iNS9_4plusIvEE19head_flag_predicateIiEiEE10hipError_tPvRmT2_T3_T4_T5_mT6_T7_P12ihipStream_tbENKUlT_T0_E_clISt17integral_constantIbLb0EESZ_EEDaSU_SV_EUlSU_E_NS1_11comp_targetILNS1_3genE3ELNS1_11target_archE908ELNS1_3gpuE7ELNS1_3repE0EEENS1_30default_config_static_selectorELNS0_4arch9wavefront6targetE1EEEvT1_
	.p2align	8
	.type	_ZN7rocprim17ROCPRIM_400000_NS6detail17trampoline_kernelINS0_14default_configENS1_27scan_by_key_config_selectorIiiEEZZNS1_16scan_by_key_implILNS1_25lookback_scan_determinismE0ELb0ES3_N6thrust23THRUST_200600_302600_NS6detail15normal_iteratorINS9_10device_ptrIiEEEESE_SE_iNS9_4plusIvEE19head_flag_predicateIiEiEE10hipError_tPvRmT2_T3_T4_T5_mT6_T7_P12ihipStream_tbENKUlT_T0_E_clISt17integral_constantIbLb0EESZ_EEDaSU_SV_EUlSU_E_NS1_11comp_targetILNS1_3genE3ELNS1_11target_archE908ELNS1_3gpuE7ELNS1_3repE0EEENS1_30default_config_static_selectorELNS0_4arch9wavefront6targetE1EEEvT1_,@function
_ZN7rocprim17ROCPRIM_400000_NS6detail17trampoline_kernelINS0_14default_configENS1_27scan_by_key_config_selectorIiiEEZZNS1_16scan_by_key_implILNS1_25lookback_scan_determinismE0ELb0ES3_N6thrust23THRUST_200600_302600_NS6detail15normal_iteratorINS9_10device_ptrIiEEEESE_SE_iNS9_4plusIvEE19head_flag_predicateIiEiEE10hipError_tPvRmT2_T3_T4_T5_mT6_T7_P12ihipStream_tbENKUlT_T0_E_clISt17integral_constantIbLb0EESZ_EEDaSU_SV_EUlSU_E_NS1_11comp_targetILNS1_3genE3ELNS1_11target_archE908ELNS1_3gpuE7ELNS1_3repE0EEENS1_30default_config_static_selectorELNS0_4arch9wavefront6targetE1EEEvT1_: ; @_ZN7rocprim17ROCPRIM_400000_NS6detail17trampoline_kernelINS0_14default_configENS1_27scan_by_key_config_selectorIiiEEZZNS1_16scan_by_key_implILNS1_25lookback_scan_determinismE0ELb0ES3_N6thrust23THRUST_200600_302600_NS6detail15normal_iteratorINS9_10device_ptrIiEEEESE_SE_iNS9_4plusIvEE19head_flag_predicateIiEiEE10hipError_tPvRmT2_T3_T4_T5_mT6_T7_P12ihipStream_tbENKUlT_T0_E_clISt17integral_constantIbLb0EESZ_EEDaSU_SV_EUlSU_E_NS1_11comp_targetILNS1_3genE3ELNS1_11target_archE908ELNS1_3gpuE7ELNS1_3repE0EEENS1_30default_config_static_selectorELNS0_4arch9wavefront6targetE1EEEvT1_
; %bb.0:
	.section	.rodata,"a",@progbits
	.p2align	6, 0x0
	.amdhsa_kernel _ZN7rocprim17ROCPRIM_400000_NS6detail17trampoline_kernelINS0_14default_configENS1_27scan_by_key_config_selectorIiiEEZZNS1_16scan_by_key_implILNS1_25lookback_scan_determinismE0ELb0ES3_N6thrust23THRUST_200600_302600_NS6detail15normal_iteratorINS9_10device_ptrIiEEEESE_SE_iNS9_4plusIvEE19head_flag_predicateIiEiEE10hipError_tPvRmT2_T3_T4_T5_mT6_T7_P12ihipStream_tbENKUlT_T0_E_clISt17integral_constantIbLb0EESZ_EEDaSU_SV_EUlSU_E_NS1_11comp_targetILNS1_3genE3ELNS1_11target_archE908ELNS1_3gpuE7ELNS1_3repE0EEENS1_30default_config_static_selectorELNS0_4arch9wavefront6targetE1EEEvT1_
		.amdhsa_group_segment_fixed_size 0
		.amdhsa_private_segment_fixed_size 0
		.amdhsa_kernarg_size 112
		.amdhsa_user_sgpr_count 6
		.amdhsa_user_sgpr_private_segment_buffer 1
		.amdhsa_user_sgpr_dispatch_ptr 0
		.amdhsa_user_sgpr_queue_ptr 0
		.amdhsa_user_sgpr_kernarg_segment_ptr 1
		.amdhsa_user_sgpr_dispatch_id 0
		.amdhsa_user_sgpr_flat_scratch_init 0
		.amdhsa_user_sgpr_kernarg_preload_length 0
		.amdhsa_user_sgpr_kernarg_preload_offset 0
		.amdhsa_user_sgpr_private_segment_size 0
		.amdhsa_uses_dynamic_stack 0
		.amdhsa_system_sgpr_private_segment_wavefront_offset 0
		.amdhsa_system_sgpr_workgroup_id_x 1
		.amdhsa_system_sgpr_workgroup_id_y 0
		.amdhsa_system_sgpr_workgroup_id_z 0
		.amdhsa_system_sgpr_workgroup_info 0
		.amdhsa_system_vgpr_workitem_id 0
		.amdhsa_next_free_vgpr 1
		.amdhsa_next_free_sgpr 0
		.amdhsa_accum_offset 4
		.amdhsa_reserve_vcc 0
		.amdhsa_reserve_flat_scratch 0
		.amdhsa_float_round_mode_32 0
		.amdhsa_float_round_mode_16_64 0
		.amdhsa_float_denorm_mode_32 3
		.amdhsa_float_denorm_mode_16_64 3
		.amdhsa_dx10_clamp 1
		.amdhsa_ieee_mode 1
		.amdhsa_fp16_overflow 0
		.amdhsa_tg_split 0
		.amdhsa_exception_fp_ieee_invalid_op 0
		.amdhsa_exception_fp_denorm_src 0
		.amdhsa_exception_fp_ieee_div_zero 0
		.amdhsa_exception_fp_ieee_overflow 0
		.amdhsa_exception_fp_ieee_underflow 0
		.amdhsa_exception_fp_ieee_inexact 0
		.amdhsa_exception_int_div_zero 0
	.end_amdhsa_kernel
	.section	.text._ZN7rocprim17ROCPRIM_400000_NS6detail17trampoline_kernelINS0_14default_configENS1_27scan_by_key_config_selectorIiiEEZZNS1_16scan_by_key_implILNS1_25lookback_scan_determinismE0ELb0ES3_N6thrust23THRUST_200600_302600_NS6detail15normal_iteratorINS9_10device_ptrIiEEEESE_SE_iNS9_4plusIvEE19head_flag_predicateIiEiEE10hipError_tPvRmT2_T3_T4_T5_mT6_T7_P12ihipStream_tbENKUlT_T0_E_clISt17integral_constantIbLb0EESZ_EEDaSU_SV_EUlSU_E_NS1_11comp_targetILNS1_3genE3ELNS1_11target_archE908ELNS1_3gpuE7ELNS1_3repE0EEENS1_30default_config_static_selectorELNS0_4arch9wavefront6targetE1EEEvT1_,"axG",@progbits,_ZN7rocprim17ROCPRIM_400000_NS6detail17trampoline_kernelINS0_14default_configENS1_27scan_by_key_config_selectorIiiEEZZNS1_16scan_by_key_implILNS1_25lookback_scan_determinismE0ELb0ES3_N6thrust23THRUST_200600_302600_NS6detail15normal_iteratorINS9_10device_ptrIiEEEESE_SE_iNS9_4plusIvEE19head_flag_predicateIiEiEE10hipError_tPvRmT2_T3_T4_T5_mT6_T7_P12ihipStream_tbENKUlT_T0_E_clISt17integral_constantIbLb0EESZ_EEDaSU_SV_EUlSU_E_NS1_11comp_targetILNS1_3genE3ELNS1_11target_archE908ELNS1_3gpuE7ELNS1_3repE0EEENS1_30default_config_static_selectorELNS0_4arch9wavefront6targetE1EEEvT1_,comdat
.Lfunc_end49:
	.size	_ZN7rocprim17ROCPRIM_400000_NS6detail17trampoline_kernelINS0_14default_configENS1_27scan_by_key_config_selectorIiiEEZZNS1_16scan_by_key_implILNS1_25lookback_scan_determinismE0ELb0ES3_N6thrust23THRUST_200600_302600_NS6detail15normal_iteratorINS9_10device_ptrIiEEEESE_SE_iNS9_4plusIvEE19head_flag_predicateIiEiEE10hipError_tPvRmT2_T3_T4_T5_mT6_T7_P12ihipStream_tbENKUlT_T0_E_clISt17integral_constantIbLb0EESZ_EEDaSU_SV_EUlSU_E_NS1_11comp_targetILNS1_3genE3ELNS1_11target_archE908ELNS1_3gpuE7ELNS1_3repE0EEENS1_30default_config_static_selectorELNS0_4arch9wavefront6targetE1EEEvT1_, .Lfunc_end49-_ZN7rocprim17ROCPRIM_400000_NS6detail17trampoline_kernelINS0_14default_configENS1_27scan_by_key_config_selectorIiiEEZZNS1_16scan_by_key_implILNS1_25lookback_scan_determinismE0ELb0ES3_N6thrust23THRUST_200600_302600_NS6detail15normal_iteratorINS9_10device_ptrIiEEEESE_SE_iNS9_4plusIvEE19head_flag_predicateIiEiEE10hipError_tPvRmT2_T3_T4_T5_mT6_T7_P12ihipStream_tbENKUlT_T0_E_clISt17integral_constantIbLb0EESZ_EEDaSU_SV_EUlSU_E_NS1_11comp_targetILNS1_3genE3ELNS1_11target_archE908ELNS1_3gpuE7ELNS1_3repE0EEENS1_30default_config_static_selectorELNS0_4arch9wavefront6targetE1EEEvT1_
                                        ; -- End function
	.section	.AMDGPU.csdata,"",@progbits
; Kernel info:
; codeLenInByte = 0
; NumSgprs: 4
; NumVgprs: 0
; NumAgprs: 0
; TotalNumVgprs: 0
; ScratchSize: 0
; MemoryBound: 0
; FloatMode: 240
; IeeeMode: 1
; LDSByteSize: 0 bytes/workgroup (compile time only)
; SGPRBlocks: 0
; VGPRBlocks: 0
; NumSGPRsForWavesPerEU: 4
; NumVGPRsForWavesPerEU: 1
; AccumOffset: 4
; Occupancy: 8
; WaveLimiterHint : 0
; COMPUTE_PGM_RSRC2:SCRATCH_EN: 0
; COMPUTE_PGM_RSRC2:USER_SGPR: 6
; COMPUTE_PGM_RSRC2:TRAP_HANDLER: 0
; COMPUTE_PGM_RSRC2:TGID_X_EN: 1
; COMPUTE_PGM_RSRC2:TGID_Y_EN: 0
; COMPUTE_PGM_RSRC2:TGID_Z_EN: 0
; COMPUTE_PGM_RSRC2:TIDIG_COMP_CNT: 0
; COMPUTE_PGM_RSRC3_GFX90A:ACCUM_OFFSET: 0
; COMPUTE_PGM_RSRC3_GFX90A:TG_SPLIT: 0
	.section	.text._ZN7rocprim17ROCPRIM_400000_NS6detail17trampoline_kernelINS0_14default_configENS1_27scan_by_key_config_selectorIiiEEZZNS1_16scan_by_key_implILNS1_25lookback_scan_determinismE0ELb0ES3_N6thrust23THRUST_200600_302600_NS6detail15normal_iteratorINS9_10device_ptrIiEEEESE_SE_iNS9_4plusIvEE19head_flag_predicateIiEiEE10hipError_tPvRmT2_T3_T4_T5_mT6_T7_P12ihipStream_tbENKUlT_T0_E_clISt17integral_constantIbLb0EESZ_EEDaSU_SV_EUlSU_E_NS1_11comp_targetILNS1_3genE2ELNS1_11target_archE906ELNS1_3gpuE6ELNS1_3repE0EEENS1_30default_config_static_selectorELNS0_4arch9wavefront6targetE1EEEvT1_,"axG",@progbits,_ZN7rocprim17ROCPRIM_400000_NS6detail17trampoline_kernelINS0_14default_configENS1_27scan_by_key_config_selectorIiiEEZZNS1_16scan_by_key_implILNS1_25lookback_scan_determinismE0ELb0ES3_N6thrust23THRUST_200600_302600_NS6detail15normal_iteratorINS9_10device_ptrIiEEEESE_SE_iNS9_4plusIvEE19head_flag_predicateIiEiEE10hipError_tPvRmT2_T3_T4_T5_mT6_T7_P12ihipStream_tbENKUlT_T0_E_clISt17integral_constantIbLb0EESZ_EEDaSU_SV_EUlSU_E_NS1_11comp_targetILNS1_3genE2ELNS1_11target_archE906ELNS1_3gpuE6ELNS1_3repE0EEENS1_30default_config_static_selectorELNS0_4arch9wavefront6targetE1EEEvT1_,comdat
	.protected	_ZN7rocprim17ROCPRIM_400000_NS6detail17trampoline_kernelINS0_14default_configENS1_27scan_by_key_config_selectorIiiEEZZNS1_16scan_by_key_implILNS1_25lookback_scan_determinismE0ELb0ES3_N6thrust23THRUST_200600_302600_NS6detail15normal_iteratorINS9_10device_ptrIiEEEESE_SE_iNS9_4plusIvEE19head_flag_predicateIiEiEE10hipError_tPvRmT2_T3_T4_T5_mT6_T7_P12ihipStream_tbENKUlT_T0_E_clISt17integral_constantIbLb0EESZ_EEDaSU_SV_EUlSU_E_NS1_11comp_targetILNS1_3genE2ELNS1_11target_archE906ELNS1_3gpuE6ELNS1_3repE0EEENS1_30default_config_static_selectorELNS0_4arch9wavefront6targetE1EEEvT1_ ; -- Begin function _ZN7rocprim17ROCPRIM_400000_NS6detail17trampoline_kernelINS0_14default_configENS1_27scan_by_key_config_selectorIiiEEZZNS1_16scan_by_key_implILNS1_25lookback_scan_determinismE0ELb0ES3_N6thrust23THRUST_200600_302600_NS6detail15normal_iteratorINS9_10device_ptrIiEEEESE_SE_iNS9_4plusIvEE19head_flag_predicateIiEiEE10hipError_tPvRmT2_T3_T4_T5_mT6_T7_P12ihipStream_tbENKUlT_T0_E_clISt17integral_constantIbLb0EESZ_EEDaSU_SV_EUlSU_E_NS1_11comp_targetILNS1_3genE2ELNS1_11target_archE906ELNS1_3gpuE6ELNS1_3repE0EEENS1_30default_config_static_selectorELNS0_4arch9wavefront6targetE1EEEvT1_
	.globl	_ZN7rocprim17ROCPRIM_400000_NS6detail17trampoline_kernelINS0_14default_configENS1_27scan_by_key_config_selectorIiiEEZZNS1_16scan_by_key_implILNS1_25lookback_scan_determinismE0ELb0ES3_N6thrust23THRUST_200600_302600_NS6detail15normal_iteratorINS9_10device_ptrIiEEEESE_SE_iNS9_4plusIvEE19head_flag_predicateIiEiEE10hipError_tPvRmT2_T3_T4_T5_mT6_T7_P12ihipStream_tbENKUlT_T0_E_clISt17integral_constantIbLb0EESZ_EEDaSU_SV_EUlSU_E_NS1_11comp_targetILNS1_3genE2ELNS1_11target_archE906ELNS1_3gpuE6ELNS1_3repE0EEENS1_30default_config_static_selectorELNS0_4arch9wavefront6targetE1EEEvT1_
	.p2align	8
	.type	_ZN7rocprim17ROCPRIM_400000_NS6detail17trampoline_kernelINS0_14default_configENS1_27scan_by_key_config_selectorIiiEEZZNS1_16scan_by_key_implILNS1_25lookback_scan_determinismE0ELb0ES3_N6thrust23THRUST_200600_302600_NS6detail15normal_iteratorINS9_10device_ptrIiEEEESE_SE_iNS9_4plusIvEE19head_flag_predicateIiEiEE10hipError_tPvRmT2_T3_T4_T5_mT6_T7_P12ihipStream_tbENKUlT_T0_E_clISt17integral_constantIbLb0EESZ_EEDaSU_SV_EUlSU_E_NS1_11comp_targetILNS1_3genE2ELNS1_11target_archE906ELNS1_3gpuE6ELNS1_3repE0EEENS1_30default_config_static_selectorELNS0_4arch9wavefront6targetE1EEEvT1_,@function
_ZN7rocprim17ROCPRIM_400000_NS6detail17trampoline_kernelINS0_14default_configENS1_27scan_by_key_config_selectorIiiEEZZNS1_16scan_by_key_implILNS1_25lookback_scan_determinismE0ELb0ES3_N6thrust23THRUST_200600_302600_NS6detail15normal_iteratorINS9_10device_ptrIiEEEESE_SE_iNS9_4plusIvEE19head_flag_predicateIiEiEE10hipError_tPvRmT2_T3_T4_T5_mT6_T7_P12ihipStream_tbENKUlT_T0_E_clISt17integral_constantIbLb0EESZ_EEDaSU_SV_EUlSU_E_NS1_11comp_targetILNS1_3genE2ELNS1_11target_archE906ELNS1_3gpuE6ELNS1_3repE0EEENS1_30default_config_static_selectorELNS0_4arch9wavefront6targetE1EEEvT1_: ; @_ZN7rocprim17ROCPRIM_400000_NS6detail17trampoline_kernelINS0_14default_configENS1_27scan_by_key_config_selectorIiiEEZZNS1_16scan_by_key_implILNS1_25lookback_scan_determinismE0ELb0ES3_N6thrust23THRUST_200600_302600_NS6detail15normal_iteratorINS9_10device_ptrIiEEEESE_SE_iNS9_4plusIvEE19head_flag_predicateIiEiEE10hipError_tPvRmT2_T3_T4_T5_mT6_T7_P12ihipStream_tbENKUlT_T0_E_clISt17integral_constantIbLb0EESZ_EEDaSU_SV_EUlSU_E_NS1_11comp_targetILNS1_3genE2ELNS1_11target_archE906ELNS1_3gpuE6ELNS1_3repE0EEENS1_30default_config_static_selectorELNS0_4arch9wavefront6targetE1EEEvT1_
; %bb.0:
	.section	.rodata,"a",@progbits
	.p2align	6, 0x0
	.amdhsa_kernel _ZN7rocprim17ROCPRIM_400000_NS6detail17trampoline_kernelINS0_14default_configENS1_27scan_by_key_config_selectorIiiEEZZNS1_16scan_by_key_implILNS1_25lookback_scan_determinismE0ELb0ES3_N6thrust23THRUST_200600_302600_NS6detail15normal_iteratorINS9_10device_ptrIiEEEESE_SE_iNS9_4plusIvEE19head_flag_predicateIiEiEE10hipError_tPvRmT2_T3_T4_T5_mT6_T7_P12ihipStream_tbENKUlT_T0_E_clISt17integral_constantIbLb0EESZ_EEDaSU_SV_EUlSU_E_NS1_11comp_targetILNS1_3genE2ELNS1_11target_archE906ELNS1_3gpuE6ELNS1_3repE0EEENS1_30default_config_static_selectorELNS0_4arch9wavefront6targetE1EEEvT1_
		.amdhsa_group_segment_fixed_size 0
		.amdhsa_private_segment_fixed_size 0
		.amdhsa_kernarg_size 112
		.amdhsa_user_sgpr_count 6
		.amdhsa_user_sgpr_private_segment_buffer 1
		.amdhsa_user_sgpr_dispatch_ptr 0
		.amdhsa_user_sgpr_queue_ptr 0
		.amdhsa_user_sgpr_kernarg_segment_ptr 1
		.amdhsa_user_sgpr_dispatch_id 0
		.amdhsa_user_sgpr_flat_scratch_init 0
		.amdhsa_user_sgpr_kernarg_preload_length 0
		.amdhsa_user_sgpr_kernarg_preload_offset 0
		.amdhsa_user_sgpr_private_segment_size 0
		.amdhsa_uses_dynamic_stack 0
		.amdhsa_system_sgpr_private_segment_wavefront_offset 0
		.amdhsa_system_sgpr_workgroup_id_x 1
		.amdhsa_system_sgpr_workgroup_id_y 0
		.amdhsa_system_sgpr_workgroup_id_z 0
		.amdhsa_system_sgpr_workgroup_info 0
		.amdhsa_system_vgpr_workitem_id 0
		.amdhsa_next_free_vgpr 1
		.amdhsa_next_free_sgpr 0
		.amdhsa_accum_offset 4
		.amdhsa_reserve_vcc 0
		.amdhsa_reserve_flat_scratch 0
		.amdhsa_float_round_mode_32 0
		.amdhsa_float_round_mode_16_64 0
		.amdhsa_float_denorm_mode_32 3
		.amdhsa_float_denorm_mode_16_64 3
		.amdhsa_dx10_clamp 1
		.amdhsa_ieee_mode 1
		.amdhsa_fp16_overflow 0
		.amdhsa_tg_split 0
		.amdhsa_exception_fp_ieee_invalid_op 0
		.amdhsa_exception_fp_denorm_src 0
		.amdhsa_exception_fp_ieee_div_zero 0
		.amdhsa_exception_fp_ieee_overflow 0
		.amdhsa_exception_fp_ieee_underflow 0
		.amdhsa_exception_fp_ieee_inexact 0
		.amdhsa_exception_int_div_zero 0
	.end_amdhsa_kernel
	.section	.text._ZN7rocprim17ROCPRIM_400000_NS6detail17trampoline_kernelINS0_14default_configENS1_27scan_by_key_config_selectorIiiEEZZNS1_16scan_by_key_implILNS1_25lookback_scan_determinismE0ELb0ES3_N6thrust23THRUST_200600_302600_NS6detail15normal_iteratorINS9_10device_ptrIiEEEESE_SE_iNS9_4plusIvEE19head_flag_predicateIiEiEE10hipError_tPvRmT2_T3_T4_T5_mT6_T7_P12ihipStream_tbENKUlT_T0_E_clISt17integral_constantIbLb0EESZ_EEDaSU_SV_EUlSU_E_NS1_11comp_targetILNS1_3genE2ELNS1_11target_archE906ELNS1_3gpuE6ELNS1_3repE0EEENS1_30default_config_static_selectorELNS0_4arch9wavefront6targetE1EEEvT1_,"axG",@progbits,_ZN7rocprim17ROCPRIM_400000_NS6detail17trampoline_kernelINS0_14default_configENS1_27scan_by_key_config_selectorIiiEEZZNS1_16scan_by_key_implILNS1_25lookback_scan_determinismE0ELb0ES3_N6thrust23THRUST_200600_302600_NS6detail15normal_iteratorINS9_10device_ptrIiEEEESE_SE_iNS9_4plusIvEE19head_flag_predicateIiEiEE10hipError_tPvRmT2_T3_T4_T5_mT6_T7_P12ihipStream_tbENKUlT_T0_E_clISt17integral_constantIbLb0EESZ_EEDaSU_SV_EUlSU_E_NS1_11comp_targetILNS1_3genE2ELNS1_11target_archE906ELNS1_3gpuE6ELNS1_3repE0EEENS1_30default_config_static_selectorELNS0_4arch9wavefront6targetE1EEEvT1_,comdat
.Lfunc_end50:
	.size	_ZN7rocprim17ROCPRIM_400000_NS6detail17trampoline_kernelINS0_14default_configENS1_27scan_by_key_config_selectorIiiEEZZNS1_16scan_by_key_implILNS1_25lookback_scan_determinismE0ELb0ES3_N6thrust23THRUST_200600_302600_NS6detail15normal_iteratorINS9_10device_ptrIiEEEESE_SE_iNS9_4plusIvEE19head_flag_predicateIiEiEE10hipError_tPvRmT2_T3_T4_T5_mT6_T7_P12ihipStream_tbENKUlT_T0_E_clISt17integral_constantIbLb0EESZ_EEDaSU_SV_EUlSU_E_NS1_11comp_targetILNS1_3genE2ELNS1_11target_archE906ELNS1_3gpuE6ELNS1_3repE0EEENS1_30default_config_static_selectorELNS0_4arch9wavefront6targetE1EEEvT1_, .Lfunc_end50-_ZN7rocprim17ROCPRIM_400000_NS6detail17trampoline_kernelINS0_14default_configENS1_27scan_by_key_config_selectorIiiEEZZNS1_16scan_by_key_implILNS1_25lookback_scan_determinismE0ELb0ES3_N6thrust23THRUST_200600_302600_NS6detail15normal_iteratorINS9_10device_ptrIiEEEESE_SE_iNS9_4plusIvEE19head_flag_predicateIiEiEE10hipError_tPvRmT2_T3_T4_T5_mT6_T7_P12ihipStream_tbENKUlT_T0_E_clISt17integral_constantIbLb0EESZ_EEDaSU_SV_EUlSU_E_NS1_11comp_targetILNS1_3genE2ELNS1_11target_archE906ELNS1_3gpuE6ELNS1_3repE0EEENS1_30default_config_static_selectorELNS0_4arch9wavefront6targetE1EEEvT1_
                                        ; -- End function
	.section	.AMDGPU.csdata,"",@progbits
; Kernel info:
; codeLenInByte = 0
; NumSgprs: 4
; NumVgprs: 0
; NumAgprs: 0
; TotalNumVgprs: 0
; ScratchSize: 0
; MemoryBound: 0
; FloatMode: 240
; IeeeMode: 1
; LDSByteSize: 0 bytes/workgroup (compile time only)
; SGPRBlocks: 0
; VGPRBlocks: 0
; NumSGPRsForWavesPerEU: 4
; NumVGPRsForWavesPerEU: 1
; AccumOffset: 4
; Occupancy: 8
; WaveLimiterHint : 0
; COMPUTE_PGM_RSRC2:SCRATCH_EN: 0
; COMPUTE_PGM_RSRC2:USER_SGPR: 6
; COMPUTE_PGM_RSRC2:TRAP_HANDLER: 0
; COMPUTE_PGM_RSRC2:TGID_X_EN: 1
; COMPUTE_PGM_RSRC2:TGID_Y_EN: 0
; COMPUTE_PGM_RSRC2:TGID_Z_EN: 0
; COMPUTE_PGM_RSRC2:TIDIG_COMP_CNT: 0
; COMPUTE_PGM_RSRC3_GFX90A:ACCUM_OFFSET: 0
; COMPUTE_PGM_RSRC3_GFX90A:TG_SPLIT: 0
	.section	.text._ZN7rocprim17ROCPRIM_400000_NS6detail17trampoline_kernelINS0_14default_configENS1_27scan_by_key_config_selectorIiiEEZZNS1_16scan_by_key_implILNS1_25lookback_scan_determinismE0ELb0ES3_N6thrust23THRUST_200600_302600_NS6detail15normal_iteratorINS9_10device_ptrIiEEEESE_SE_iNS9_4plusIvEE19head_flag_predicateIiEiEE10hipError_tPvRmT2_T3_T4_T5_mT6_T7_P12ihipStream_tbENKUlT_T0_E_clISt17integral_constantIbLb0EESZ_EEDaSU_SV_EUlSU_E_NS1_11comp_targetILNS1_3genE10ELNS1_11target_archE1200ELNS1_3gpuE4ELNS1_3repE0EEENS1_30default_config_static_selectorELNS0_4arch9wavefront6targetE1EEEvT1_,"axG",@progbits,_ZN7rocprim17ROCPRIM_400000_NS6detail17trampoline_kernelINS0_14default_configENS1_27scan_by_key_config_selectorIiiEEZZNS1_16scan_by_key_implILNS1_25lookback_scan_determinismE0ELb0ES3_N6thrust23THRUST_200600_302600_NS6detail15normal_iteratorINS9_10device_ptrIiEEEESE_SE_iNS9_4plusIvEE19head_flag_predicateIiEiEE10hipError_tPvRmT2_T3_T4_T5_mT6_T7_P12ihipStream_tbENKUlT_T0_E_clISt17integral_constantIbLb0EESZ_EEDaSU_SV_EUlSU_E_NS1_11comp_targetILNS1_3genE10ELNS1_11target_archE1200ELNS1_3gpuE4ELNS1_3repE0EEENS1_30default_config_static_selectorELNS0_4arch9wavefront6targetE1EEEvT1_,comdat
	.protected	_ZN7rocprim17ROCPRIM_400000_NS6detail17trampoline_kernelINS0_14default_configENS1_27scan_by_key_config_selectorIiiEEZZNS1_16scan_by_key_implILNS1_25lookback_scan_determinismE0ELb0ES3_N6thrust23THRUST_200600_302600_NS6detail15normal_iteratorINS9_10device_ptrIiEEEESE_SE_iNS9_4plusIvEE19head_flag_predicateIiEiEE10hipError_tPvRmT2_T3_T4_T5_mT6_T7_P12ihipStream_tbENKUlT_T0_E_clISt17integral_constantIbLb0EESZ_EEDaSU_SV_EUlSU_E_NS1_11comp_targetILNS1_3genE10ELNS1_11target_archE1200ELNS1_3gpuE4ELNS1_3repE0EEENS1_30default_config_static_selectorELNS0_4arch9wavefront6targetE1EEEvT1_ ; -- Begin function _ZN7rocprim17ROCPRIM_400000_NS6detail17trampoline_kernelINS0_14default_configENS1_27scan_by_key_config_selectorIiiEEZZNS1_16scan_by_key_implILNS1_25lookback_scan_determinismE0ELb0ES3_N6thrust23THRUST_200600_302600_NS6detail15normal_iteratorINS9_10device_ptrIiEEEESE_SE_iNS9_4plusIvEE19head_flag_predicateIiEiEE10hipError_tPvRmT2_T3_T4_T5_mT6_T7_P12ihipStream_tbENKUlT_T0_E_clISt17integral_constantIbLb0EESZ_EEDaSU_SV_EUlSU_E_NS1_11comp_targetILNS1_3genE10ELNS1_11target_archE1200ELNS1_3gpuE4ELNS1_3repE0EEENS1_30default_config_static_selectorELNS0_4arch9wavefront6targetE1EEEvT1_
	.globl	_ZN7rocprim17ROCPRIM_400000_NS6detail17trampoline_kernelINS0_14default_configENS1_27scan_by_key_config_selectorIiiEEZZNS1_16scan_by_key_implILNS1_25lookback_scan_determinismE0ELb0ES3_N6thrust23THRUST_200600_302600_NS6detail15normal_iteratorINS9_10device_ptrIiEEEESE_SE_iNS9_4plusIvEE19head_flag_predicateIiEiEE10hipError_tPvRmT2_T3_T4_T5_mT6_T7_P12ihipStream_tbENKUlT_T0_E_clISt17integral_constantIbLb0EESZ_EEDaSU_SV_EUlSU_E_NS1_11comp_targetILNS1_3genE10ELNS1_11target_archE1200ELNS1_3gpuE4ELNS1_3repE0EEENS1_30default_config_static_selectorELNS0_4arch9wavefront6targetE1EEEvT1_
	.p2align	8
	.type	_ZN7rocprim17ROCPRIM_400000_NS6detail17trampoline_kernelINS0_14default_configENS1_27scan_by_key_config_selectorIiiEEZZNS1_16scan_by_key_implILNS1_25lookback_scan_determinismE0ELb0ES3_N6thrust23THRUST_200600_302600_NS6detail15normal_iteratorINS9_10device_ptrIiEEEESE_SE_iNS9_4plusIvEE19head_flag_predicateIiEiEE10hipError_tPvRmT2_T3_T4_T5_mT6_T7_P12ihipStream_tbENKUlT_T0_E_clISt17integral_constantIbLb0EESZ_EEDaSU_SV_EUlSU_E_NS1_11comp_targetILNS1_3genE10ELNS1_11target_archE1200ELNS1_3gpuE4ELNS1_3repE0EEENS1_30default_config_static_selectorELNS0_4arch9wavefront6targetE1EEEvT1_,@function
_ZN7rocprim17ROCPRIM_400000_NS6detail17trampoline_kernelINS0_14default_configENS1_27scan_by_key_config_selectorIiiEEZZNS1_16scan_by_key_implILNS1_25lookback_scan_determinismE0ELb0ES3_N6thrust23THRUST_200600_302600_NS6detail15normal_iteratorINS9_10device_ptrIiEEEESE_SE_iNS9_4plusIvEE19head_flag_predicateIiEiEE10hipError_tPvRmT2_T3_T4_T5_mT6_T7_P12ihipStream_tbENKUlT_T0_E_clISt17integral_constantIbLb0EESZ_EEDaSU_SV_EUlSU_E_NS1_11comp_targetILNS1_3genE10ELNS1_11target_archE1200ELNS1_3gpuE4ELNS1_3repE0EEENS1_30default_config_static_selectorELNS0_4arch9wavefront6targetE1EEEvT1_: ; @_ZN7rocprim17ROCPRIM_400000_NS6detail17trampoline_kernelINS0_14default_configENS1_27scan_by_key_config_selectorIiiEEZZNS1_16scan_by_key_implILNS1_25lookback_scan_determinismE0ELb0ES3_N6thrust23THRUST_200600_302600_NS6detail15normal_iteratorINS9_10device_ptrIiEEEESE_SE_iNS9_4plusIvEE19head_flag_predicateIiEiEE10hipError_tPvRmT2_T3_T4_T5_mT6_T7_P12ihipStream_tbENKUlT_T0_E_clISt17integral_constantIbLb0EESZ_EEDaSU_SV_EUlSU_E_NS1_11comp_targetILNS1_3genE10ELNS1_11target_archE1200ELNS1_3gpuE4ELNS1_3repE0EEENS1_30default_config_static_selectorELNS0_4arch9wavefront6targetE1EEEvT1_
; %bb.0:
	.section	.rodata,"a",@progbits
	.p2align	6, 0x0
	.amdhsa_kernel _ZN7rocprim17ROCPRIM_400000_NS6detail17trampoline_kernelINS0_14default_configENS1_27scan_by_key_config_selectorIiiEEZZNS1_16scan_by_key_implILNS1_25lookback_scan_determinismE0ELb0ES3_N6thrust23THRUST_200600_302600_NS6detail15normal_iteratorINS9_10device_ptrIiEEEESE_SE_iNS9_4plusIvEE19head_flag_predicateIiEiEE10hipError_tPvRmT2_T3_T4_T5_mT6_T7_P12ihipStream_tbENKUlT_T0_E_clISt17integral_constantIbLb0EESZ_EEDaSU_SV_EUlSU_E_NS1_11comp_targetILNS1_3genE10ELNS1_11target_archE1200ELNS1_3gpuE4ELNS1_3repE0EEENS1_30default_config_static_selectorELNS0_4arch9wavefront6targetE1EEEvT1_
		.amdhsa_group_segment_fixed_size 0
		.amdhsa_private_segment_fixed_size 0
		.amdhsa_kernarg_size 112
		.amdhsa_user_sgpr_count 6
		.amdhsa_user_sgpr_private_segment_buffer 1
		.amdhsa_user_sgpr_dispatch_ptr 0
		.amdhsa_user_sgpr_queue_ptr 0
		.amdhsa_user_sgpr_kernarg_segment_ptr 1
		.amdhsa_user_sgpr_dispatch_id 0
		.amdhsa_user_sgpr_flat_scratch_init 0
		.amdhsa_user_sgpr_kernarg_preload_length 0
		.amdhsa_user_sgpr_kernarg_preload_offset 0
		.amdhsa_user_sgpr_private_segment_size 0
		.amdhsa_uses_dynamic_stack 0
		.amdhsa_system_sgpr_private_segment_wavefront_offset 0
		.amdhsa_system_sgpr_workgroup_id_x 1
		.amdhsa_system_sgpr_workgroup_id_y 0
		.amdhsa_system_sgpr_workgroup_id_z 0
		.amdhsa_system_sgpr_workgroup_info 0
		.amdhsa_system_vgpr_workitem_id 0
		.amdhsa_next_free_vgpr 1
		.amdhsa_next_free_sgpr 0
		.amdhsa_accum_offset 4
		.amdhsa_reserve_vcc 0
		.amdhsa_reserve_flat_scratch 0
		.amdhsa_float_round_mode_32 0
		.amdhsa_float_round_mode_16_64 0
		.amdhsa_float_denorm_mode_32 3
		.amdhsa_float_denorm_mode_16_64 3
		.amdhsa_dx10_clamp 1
		.amdhsa_ieee_mode 1
		.amdhsa_fp16_overflow 0
		.amdhsa_tg_split 0
		.amdhsa_exception_fp_ieee_invalid_op 0
		.amdhsa_exception_fp_denorm_src 0
		.amdhsa_exception_fp_ieee_div_zero 0
		.amdhsa_exception_fp_ieee_overflow 0
		.amdhsa_exception_fp_ieee_underflow 0
		.amdhsa_exception_fp_ieee_inexact 0
		.amdhsa_exception_int_div_zero 0
	.end_amdhsa_kernel
	.section	.text._ZN7rocprim17ROCPRIM_400000_NS6detail17trampoline_kernelINS0_14default_configENS1_27scan_by_key_config_selectorIiiEEZZNS1_16scan_by_key_implILNS1_25lookback_scan_determinismE0ELb0ES3_N6thrust23THRUST_200600_302600_NS6detail15normal_iteratorINS9_10device_ptrIiEEEESE_SE_iNS9_4plusIvEE19head_flag_predicateIiEiEE10hipError_tPvRmT2_T3_T4_T5_mT6_T7_P12ihipStream_tbENKUlT_T0_E_clISt17integral_constantIbLb0EESZ_EEDaSU_SV_EUlSU_E_NS1_11comp_targetILNS1_3genE10ELNS1_11target_archE1200ELNS1_3gpuE4ELNS1_3repE0EEENS1_30default_config_static_selectorELNS0_4arch9wavefront6targetE1EEEvT1_,"axG",@progbits,_ZN7rocprim17ROCPRIM_400000_NS6detail17trampoline_kernelINS0_14default_configENS1_27scan_by_key_config_selectorIiiEEZZNS1_16scan_by_key_implILNS1_25lookback_scan_determinismE0ELb0ES3_N6thrust23THRUST_200600_302600_NS6detail15normal_iteratorINS9_10device_ptrIiEEEESE_SE_iNS9_4plusIvEE19head_flag_predicateIiEiEE10hipError_tPvRmT2_T3_T4_T5_mT6_T7_P12ihipStream_tbENKUlT_T0_E_clISt17integral_constantIbLb0EESZ_EEDaSU_SV_EUlSU_E_NS1_11comp_targetILNS1_3genE10ELNS1_11target_archE1200ELNS1_3gpuE4ELNS1_3repE0EEENS1_30default_config_static_selectorELNS0_4arch9wavefront6targetE1EEEvT1_,comdat
.Lfunc_end51:
	.size	_ZN7rocprim17ROCPRIM_400000_NS6detail17trampoline_kernelINS0_14default_configENS1_27scan_by_key_config_selectorIiiEEZZNS1_16scan_by_key_implILNS1_25lookback_scan_determinismE0ELb0ES3_N6thrust23THRUST_200600_302600_NS6detail15normal_iteratorINS9_10device_ptrIiEEEESE_SE_iNS9_4plusIvEE19head_flag_predicateIiEiEE10hipError_tPvRmT2_T3_T4_T5_mT6_T7_P12ihipStream_tbENKUlT_T0_E_clISt17integral_constantIbLb0EESZ_EEDaSU_SV_EUlSU_E_NS1_11comp_targetILNS1_3genE10ELNS1_11target_archE1200ELNS1_3gpuE4ELNS1_3repE0EEENS1_30default_config_static_selectorELNS0_4arch9wavefront6targetE1EEEvT1_, .Lfunc_end51-_ZN7rocprim17ROCPRIM_400000_NS6detail17trampoline_kernelINS0_14default_configENS1_27scan_by_key_config_selectorIiiEEZZNS1_16scan_by_key_implILNS1_25lookback_scan_determinismE0ELb0ES3_N6thrust23THRUST_200600_302600_NS6detail15normal_iteratorINS9_10device_ptrIiEEEESE_SE_iNS9_4plusIvEE19head_flag_predicateIiEiEE10hipError_tPvRmT2_T3_T4_T5_mT6_T7_P12ihipStream_tbENKUlT_T0_E_clISt17integral_constantIbLb0EESZ_EEDaSU_SV_EUlSU_E_NS1_11comp_targetILNS1_3genE10ELNS1_11target_archE1200ELNS1_3gpuE4ELNS1_3repE0EEENS1_30default_config_static_selectorELNS0_4arch9wavefront6targetE1EEEvT1_
                                        ; -- End function
	.section	.AMDGPU.csdata,"",@progbits
; Kernel info:
; codeLenInByte = 0
; NumSgprs: 4
; NumVgprs: 0
; NumAgprs: 0
; TotalNumVgprs: 0
; ScratchSize: 0
; MemoryBound: 0
; FloatMode: 240
; IeeeMode: 1
; LDSByteSize: 0 bytes/workgroup (compile time only)
; SGPRBlocks: 0
; VGPRBlocks: 0
; NumSGPRsForWavesPerEU: 4
; NumVGPRsForWavesPerEU: 1
; AccumOffset: 4
; Occupancy: 8
; WaveLimiterHint : 0
; COMPUTE_PGM_RSRC2:SCRATCH_EN: 0
; COMPUTE_PGM_RSRC2:USER_SGPR: 6
; COMPUTE_PGM_RSRC2:TRAP_HANDLER: 0
; COMPUTE_PGM_RSRC2:TGID_X_EN: 1
; COMPUTE_PGM_RSRC2:TGID_Y_EN: 0
; COMPUTE_PGM_RSRC2:TGID_Z_EN: 0
; COMPUTE_PGM_RSRC2:TIDIG_COMP_CNT: 0
; COMPUTE_PGM_RSRC3_GFX90A:ACCUM_OFFSET: 0
; COMPUTE_PGM_RSRC3_GFX90A:TG_SPLIT: 0
	.section	.text._ZN7rocprim17ROCPRIM_400000_NS6detail17trampoline_kernelINS0_14default_configENS1_27scan_by_key_config_selectorIiiEEZZNS1_16scan_by_key_implILNS1_25lookback_scan_determinismE0ELb0ES3_N6thrust23THRUST_200600_302600_NS6detail15normal_iteratorINS9_10device_ptrIiEEEESE_SE_iNS9_4plusIvEE19head_flag_predicateIiEiEE10hipError_tPvRmT2_T3_T4_T5_mT6_T7_P12ihipStream_tbENKUlT_T0_E_clISt17integral_constantIbLb0EESZ_EEDaSU_SV_EUlSU_E_NS1_11comp_targetILNS1_3genE9ELNS1_11target_archE1100ELNS1_3gpuE3ELNS1_3repE0EEENS1_30default_config_static_selectorELNS0_4arch9wavefront6targetE1EEEvT1_,"axG",@progbits,_ZN7rocprim17ROCPRIM_400000_NS6detail17trampoline_kernelINS0_14default_configENS1_27scan_by_key_config_selectorIiiEEZZNS1_16scan_by_key_implILNS1_25lookback_scan_determinismE0ELb0ES3_N6thrust23THRUST_200600_302600_NS6detail15normal_iteratorINS9_10device_ptrIiEEEESE_SE_iNS9_4plusIvEE19head_flag_predicateIiEiEE10hipError_tPvRmT2_T3_T4_T5_mT6_T7_P12ihipStream_tbENKUlT_T0_E_clISt17integral_constantIbLb0EESZ_EEDaSU_SV_EUlSU_E_NS1_11comp_targetILNS1_3genE9ELNS1_11target_archE1100ELNS1_3gpuE3ELNS1_3repE0EEENS1_30default_config_static_selectorELNS0_4arch9wavefront6targetE1EEEvT1_,comdat
	.protected	_ZN7rocprim17ROCPRIM_400000_NS6detail17trampoline_kernelINS0_14default_configENS1_27scan_by_key_config_selectorIiiEEZZNS1_16scan_by_key_implILNS1_25lookback_scan_determinismE0ELb0ES3_N6thrust23THRUST_200600_302600_NS6detail15normal_iteratorINS9_10device_ptrIiEEEESE_SE_iNS9_4plusIvEE19head_flag_predicateIiEiEE10hipError_tPvRmT2_T3_T4_T5_mT6_T7_P12ihipStream_tbENKUlT_T0_E_clISt17integral_constantIbLb0EESZ_EEDaSU_SV_EUlSU_E_NS1_11comp_targetILNS1_3genE9ELNS1_11target_archE1100ELNS1_3gpuE3ELNS1_3repE0EEENS1_30default_config_static_selectorELNS0_4arch9wavefront6targetE1EEEvT1_ ; -- Begin function _ZN7rocprim17ROCPRIM_400000_NS6detail17trampoline_kernelINS0_14default_configENS1_27scan_by_key_config_selectorIiiEEZZNS1_16scan_by_key_implILNS1_25lookback_scan_determinismE0ELb0ES3_N6thrust23THRUST_200600_302600_NS6detail15normal_iteratorINS9_10device_ptrIiEEEESE_SE_iNS9_4plusIvEE19head_flag_predicateIiEiEE10hipError_tPvRmT2_T3_T4_T5_mT6_T7_P12ihipStream_tbENKUlT_T0_E_clISt17integral_constantIbLb0EESZ_EEDaSU_SV_EUlSU_E_NS1_11comp_targetILNS1_3genE9ELNS1_11target_archE1100ELNS1_3gpuE3ELNS1_3repE0EEENS1_30default_config_static_selectorELNS0_4arch9wavefront6targetE1EEEvT1_
	.globl	_ZN7rocprim17ROCPRIM_400000_NS6detail17trampoline_kernelINS0_14default_configENS1_27scan_by_key_config_selectorIiiEEZZNS1_16scan_by_key_implILNS1_25lookback_scan_determinismE0ELb0ES3_N6thrust23THRUST_200600_302600_NS6detail15normal_iteratorINS9_10device_ptrIiEEEESE_SE_iNS9_4plusIvEE19head_flag_predicateIiEiEE10hipError_tPvRmT2_T3_T4_T5_mT6_T7_P12ihipStream_tbENKUlT_T0_E_clISt17integral_constantIbLb0EESZ_EEDaSU_SV_EUlSU_E_NS1_11comp_targetILNS1_3genE9ELNS1_11target_archE1100ELNS1_3gpuE3ELNS1_3repE0EEENS1_30default_config_static_selectorELNS0_4arch9wavefront6targetE1EEEvT1_
	.p2align	8
	.type	_ZN7rocprim17ROCPRIM_400000_NS6detail17trampoline_kernelINS0_14default_configENS1_27scan_by_key_config_selectorIiiEEZZNS1_16scan_by_key_implILNS1_25lookback_scan_determinismE0ELb0ES3_N6thrust23THRUST_200600_302600_NS6detail15normal_iteratorINS9_10device_ptrIiEEEESE_SE_iNS9_4plusIvEE19head_flag_predicateIiEiEE10hipError_tPvRmT2_T3_T4_T5_mT6_T7_P12ihipStream_tbENKUlT_T0_E_clISt17integral_constantIbLb0EESZ_EEDaSU_SV_EUlSU_E_NS1_11comp_targetILNS1_3genE9ELNS1_11target_archE1100ELNS1_3gpuE3ELNS1_3repE0EEENS1_30default_config_static_selectorELNS0_4arch9wavefront6targetE1EEEvT1_,@function
_ZN7rocprim17ROCPRIM_400000_NS6detail17trampoline_kernelINS0_14default_configENS1_27scan_by_key_config_selectorIiiEEZZNS1_16scan_by_key_implILNS1_25lookback_scan_determinismE0ELb0ES3_N6thrust23THRUST_200600_302600_NS6detail15normal_iteratorINS9_10device_ptrIiEEEESE_SE_iNS9_4plusIvEE19head_flag_predicateIiEiEE10hipError_tPvRmT2_T3_T4_T5_mT6_T7_P12ihipStream_tbENKUlT_T0_E_clISt17integral_constantIbLb0EESZ_EEDaSU_SV_EUlSU_E_NS1_11comp_targetILNS1_3genE9ELNS1_11target_archE1100ELNS1_3gpuE3ELNS1_3repE0EEENS1_30default_config_static_selectorELNS0_4arch9wavefront6targetE1EEEvT1_: ; @_ZN7rocprim17ROCPRIM_400000_NS6detail17trampoline_kernelINS0_14default_configENS1_27scan_by_key_config_selectorIiiEEZZNS1_16scan_by_key_implILNS1_25lookback_scan_determinismE0ELb0ES3_N6thrust23THRUST_200600_302600_NS6detail15normal_iteratorINS9_10device_ptrIiEEEESE_SE_iNS9_4plusIvEE19head_flag_predicateIiEiEE10hipError_tPvRmT2_T3_T4_T5_mT6_T7_P12ihipStream_tbENKUlT_T0_E_clISt17integral_constantIbLb0EESZ_EEDaSU_SV_EUlSU_E_NS1_11comp_targetILNS1_3genE9ELNS1_11target_archE1100ELNS1_3gpuE3ELNS1_3repE0EEENS1_30default_config_static_selectorELNS0_4arch9wavefront6targetE1EEEvT1_
; %bb.0:
	.section	.rodata,"a",@progbits
	.p2align	6, 0x0
	.amdhsa_kernel _ZN7rocprim17ROCPRIM_400000_NS6detail17trampoline_kernelINS0_14default_configENS1_27scan_by_key_config_selectorIiiEEZZNS1_16scan_by_key_implILNS1_25lookback_scan_determinismE0ELb0ES3_N6thrust23THRUST_200600_302600_NS6detail15normal_iteratorINS9_10device_ptrIiEEEESE_SE_iNS9_4plusIvEE19head_flag_predicateIiEiEE10hipError_tPvRmT2_T3_T4_T5_mT6_T7_P12ihipStream_tbENKUlT_T0_E_clISt17integral_constantIbLb0EESZ_EEDaSU_SV_EUlSU_E_NS1_11comp_targetILNS1_3genE9ELNS1_11target_archE1100ELNS1_3gpuE3ELNS1_3repE0EEENS1_30default_config_static_selectorELNS0_4arch9wavefront6targetE1EEEvT1_
		.amdhsa_group_segment_fixed_size 0
		.amdhsa_private_segment_fixed_size 0
		.amdhsa_kernarg_size 112
		.amdhsa_user_sgpr_count 6
		.amdhsa_user_sgpr_private_segment_buffer 1
		.amdhsa_user_sgpr_dispatch_ptr 0
		.amdhsa_user_sgpr_queue_ptr 0
		.amdhsa_user_sgpr_kernarg_segment_ptr 1
		.amdhsa_user_sgpr_dispatch_id 0
		.amdhsa_user_sgpr_flat_scratch_init 0
		.amdhsa_user_sgpr_kernarg_preload_length 0
		.amdhsa_user_sgpr_kernarg_preload_offset 0
		.amdhsa_user_sgpr_private_segment_size 0
		.amdhsa_uses_dynamic_stack 0
		.amdhsa_system_sgpr_private_segment_wavefront_offset 0
		.amdhsa_system_sgpr_workgroup_id_x 1
		.amdhsa_system_sgpr_workgroup_id_y 0
		.amdhsa_system_sgpr_workgroup_id_z 0
		.amdhsa_system_sgpr_workgroup_info 0
		.amdhsa_system_vgpr_workitem_id 0
		.amdhsa_next_free_vgpr 1
		.amdhsa_next_free_sgpr 0
		.amdhsa_accum_offset 4
		.amdhsa_reserve_vcc 0
		.amdhsa_reserve_flat_scratch 0
		.amdhsa_float_round_mode_32 0
		.amdhsa_float_round_mode_16_64 0
		.amdhsa_float_denorm_mode_32 3
		.amdhsa_float_denorm_mode_16_64 3
		.amdhsa_dx10_clamp 1
		.amdhsa_ieee_mode 1
		.amdhsa_fp16_overflow 0
		.amdhsa_tg_split 0
		.amdhsa_exception_fp_ieee_invalid_op 0
		.amdhsa_exception_fp_denorm_src 0
		.amdhsa_exception_fp_ieee_div_zero 0
		.amdhsa_exception_fp_ieee_overflow 0
		.amdhsa_exception_fp_ieee_underflow 0
		.amdhsa_exception_fp_ieee_inexact 0
		.amdhsa_exception_int_div_zero 0
	.end_amdhsa_kernel
	.section	.text._ZN7rocprim17ROCPRIM_400000_NS6detail17trampoline_kernelINS0_14default_configENS1_27scan_by_key_config_selectorIiiEEZZNS1_16scan_by_key_implILNS1_25lookback_scan_determinismE0ELb0ES3_N6thrust23THRUST_200600_302600_NS6detail15normal_iteratorINS9_10device_ptrIiEEEESE_SE_iNS9_4plusIvEE19head_flag_predicateIiEiEE10hipError_tPvRmT2_T3_T4_T5_mT6_T7_P12ihipStream_tbENKUlT_T0_E_clISt17integral_constantIbLb0EESZ_EEDaSU_SV_EUlSU_E_NS1_11comp_targetILNS1_3genE9ELNS1_11target_archE1100ELNS1_3gpuE3ELNS1_3repE0EEENS1_30default_config_static_selectorELNS0_4arch9wavefront6targetE1EEEvT1_,"axG",@progbits,_ZN7rocprim17ROCPRIM_400000_NS6detail17trampoline_kernelINS0_14default_configENS1_27scan_by_key_config_selectorIiiEEZZNS1_16scan_by_key_implILNS1_25lookback_scan_determinismE0ELb0ES3_N6thrust23THRUST_200600_302600_NS6detail15normal_iteratorINS9_10device_ptrIiEEEESE_SE_iNS9_4plusIvEE19head_flag_predicateIiEiEE10hipError_tPvRmT2_T3_T4_T5_mT6_T7_P12ihipStream_tbENKUlT_T0_E_clISt17integral_constantIbLb0EESZ_EEDaSU_SV_EUlSU_E_NS1_11comp_targetILNS1_3genE9ELNS1_11target_archE1100ELNS1_3gpuE3ELNS1_3repE0EEENS1_30default_config_static_selectorELNS0_4arch9wavefront6targetE1EEEvT1_,comdat
.Lfunc_end52:
	.size	_ZN7rocprim17ROCPRIM_400000_NS6detail17trampoline_kernelINS0_14default_configENS1_27scan_by_key_config_selectorIiiEEZZNS1_16scan_by_key_implILNS1_25lookback_scan_determinismE0ELb0ES3_N6thrust23THRUST_200600_302600_NS6detail15normal_iteratorINS9_10device_ptrIiEEEESE_SE_iNS9_4plusIvEE19head_flag_predicateIiEiEE10hipError_tPvRmT2_T3_T4_T5_mT6_T7_P12ihipStream_tbENKUlT_T0_E_clISt17integral_constantIbLb0EESZ_EEDaSU_SV_EUlSU_E_NS1_11comp_targetILNS1_3genE9ELNS1_11target_archE1100ELNS1_3gpuE3ELNS1_3repE0EEENS1_30default_config_static_selectorELNS0_4arch9wavefront6targetE1EEEvT1_, .Lfunc_end52-_ZN7rocprim17ROCPRIM_400000_NS6detail17trampoline_kernelINS0_14default_configENS1_27scan_by_key_config_selectorIiiEEZZNS1_16scan_by_key_implILNS1_25lookback_scan_determinismE0ELb0ES3_N6thrust23THRUST_200600_302600_NS6detail15normal_iteratorINS9_10device_ptrIiEEEESE_SE_iNS9_4plusIvEE19head_flag_predicateIiEiEE10hipError_tPvRmT2_T3_T4_T5_mT6_T7_P12ihipStream_tbENKUlT_T0_E_clISt17integral_constantIbLb0EESZ_EEDaSU_SV_EUlSU_E_NS1_11comp_targetILNS1_3genE9ELNS1_11target_archE1100ELNS1_3gpuE3ELNS1_3repE0EEENS1_30default_config_static_selectorELNS0_4arch9wavefront6targetE1EEEvT1_
                                        ; -- End function
	.section	.AMDGPU.csdata,"",@progbits
; Kernel info:
; codeLenInByte = 0
; NumSgprs: 4
; NumVgprs: 0
; NumAgprs: 0
; TotalNumVgprs: 0
; ScratchSize: 0
; MemoryBound: 0
; FloatMode: 240
; IeeeMode: 1
; LDSByteSize: 0 bytes/workgroup (compile time only)
; SGPRBlocks: 0
; VGPRBlocks: 0
; NumSGPRsForWavesPerEU: 4
; NumVGPRsForWavesPerEU: 1
; AccumOffset: 4
; Occupancy: 8
; WaveLimiterHint : 0
; COMPUTE_PGM_RSRC2:SCRATCH_EN: 0
; COMPUTE_PGM_RSRC2:USER_SGPR: 6
; COMPUTE_PGM_RSRC2:TRAP_HANDLER: 0
; COMPUTE_PGM_RSRC2:TGID_X_EN: 1
; COMPUTE_PGM_RSRC2:TGID_Y_EN: 0
; COMPUTE_PGM_RSRC2:TGID_Z_EN: 0
; COMPUTE_PGM_RSRC2:TIDIG_COMP_CNT: 0
; COMPUTE_PGM_RSRC3_GFX90A:ACCUM_OFFSET: 0
; COMPUTE_PGM_RSRC3_GFX90A:TG_SPLIT: 0
	.section	.text._ZN7rocprim17ROCPRIM_400000_NS6detail17trampoline_kernelINS0_14default_configENS1_27scan_by_key_config_selectorIiiEEZZNS1_16scan_by_key_implILNS1_25lookback_scan_determinismE0ELb0ES3_N6thrust23THRUST_200600_302600_NS6detail15normal_iteratorINS9_10device_ptrIiEEEESE_SE_iNS9_4plusIvEE19head_flag_predicateIiEiEE10hipError_tPvRmT2_T3_T4_T5_mT6_T7_P12ihipStream_tbENKUlT_T0_E_clISt17integral_constantIbLb0EESZ_EEDaSU_SV_EUlSU_E_NS1_11comp_targetILNS1_3genE8ELNS1_11target_archE1030ELNS1_3gpuE2ELNS1_3repE0EEENS1_30default_config_static_selectorELNS0_4arch9wavefront6targetE1EEEvT1_,"axG",@progbits,_ZN7rocprim17ROCPRIM_400000_NS6detail17trampoline_kernelINS0_14default_configENS1_27scan_by_key_config_selectorIiiEEZZNS1_16scan_by_key_implILNS1_25lookback_scan_determinismE0ELb0ES3_N6thrust23THRUST_200600_302600_NS6detail15normal_iteratorINS9_10device_ptrIiEEEESE_SE_iNS9_4plusIvEE19head_flag_predicateIiEiEE10hipError_tPvRmT2_T3_T4_T5_mT6_T7_P12ihipStream_tbENKUlT_T0_E_clISt17integral_constantIbLb0EESZ_EEDaSU_SV_EUlSU_E_NS1_11comp_targetILNS1_3genE8ELNS1_11target_archE1030ELNS1_3gpuE2ELNS1_3repE0EEENS1_30default_config_static_selectorELNS0_4arch9wavefront6targetE1EEEvT1_,comdat
	.protected	_ZN7rocprim17ROCPRIM_400000_NS6detail17trampoline_kernelINS0_14default_configENS1_27scan_by_key_config_selectorIiiEEZZNS1_16scan_by_key_implILNS1_25lookback_scan_determinismE0ELb0ES3_N6thrust23THRUST_200600_302600_NS6detail15normal_iteratorINS9_10device_ptrIiEEEESE_SE_iNS9_4plusIvEE19head_flag_predicateIiEiEE10hipError_tPvRmT2_T3_T4_T5_mT6_T7_P12ihipStream_tbENKUlT_T0_E_clISt17integral_constantIbLb0EESZ_EEDaSU_SV_EUlSU_E_NS1_11comp_targetILNS1_3genE8ELNS1_11target_archE1030ELNS1_3gpuE2ELNS1_3repE0EEENS1_30default_config_static_selectorELNS0_4arch9wavefront6targetE1EEEvT1_ ; -- Begin function _ZN7rocprim17ROCPRIM_400000_NS6detail17trampoline_kernelINS0_14default_configENS1_27scan_by_key_config_selectorIiiEEZZNS1_16scan_by_key_implILNS1_25lookback_scan_determinismE0ELb0ES3_N6thrust23THRUST_200600_302600_NS6detail15normal_iteratorINS9_10device_ptrIiEEEESE_SE_iNS9_4plusIvEE19head_flag_predicateIiEiEE10hipError_tPvRmT2_T3_T4_T5_mT6_T7_P12ihipStream_tbENKUlT_T0_E_clISt17integral_constantIbLb0EESZ_EEDaSU_SV_EUlSU_E_NS1_11comp_targetILNS1_3genE8ELNS1_11target_archE1030ELNS1_3gpuE2ELNS1_3repE0EEENS1_30default_config_static_selectorELNS0_4arch9wavefront6targetE1EEEvT1_
	.globl	_ZN7rocprim17ROCPRIM_400000_NS6detail17trampoline_kernelINS0_14default_configENS1_27scan_by_key_config_selectorIiiEEZZNS1_16scan_by_key_implILNS1_25lookback_scan_determinismE0ELb0ES3_N6thrust23THRUST_200600_302600_NS6detail15normal_iteratorINS9_10device_ptrIiEEEESE_SE_iNS9_4plusIvEE19head_flag_predicateIiEiEE10hipError_tPvRmT2_T3_T4_T5_mT6_T7_P12ihipStream_tbENKUlT_T0_E_clISt17integral_constantIbLb0EESZ_EEDaSU_SV_EUlSU_E_NS1_11comp_targetILNS1_3genE8ELNS1_11target_archE1030ELNS1_3gpuE2ELNS1_3repE0EEENS1_30default_config_static_selectorELNS0_4arch9wavefront6targetE1EEEvT1_
	.p2align	8
	.type	_ZN7rocprim17ROCPRIM_400000_NS6detail17trampoline_kernelINS0_14default_configENS1_27scan_by_key_config_selectorIiiEEZZNS1_16scan_by_key_implILNS1_25lookback_scan_determinismE0ELb0ES3_N6thrust23THRUST_200600_302600_NS6detail15normal_iteratorINS9_10device_ptrIiEEEESE_SE_iNS9_4plusIvEE19head_flag_predicateIiEiEE10hipError_tPvRmT2_T3_T4_T5_mT6_T7_P12ihipStream_tbENKUlT_T0_E_clISt17integral_constantIbLb0EESZ_EEDaSU_SV_EUlSU_E_NS1_11comp_targetILNS1_3genE8ELNS1_11target_archE1030ELNS1_3gpuE2ELNS1_3repE0EEENS1_30default_config_static_selectorELNS0_4arch9wavefront6targetE1EEEvT1_,@function
_ZN7rocprim17ROCPRIM_400000_NS6detail17trampoline_kernelINS0_14default_configENS1_27scan_by_key_config_selectorIiiEEZZNS1_16scan_by_key_implILNS1_25lookback_scan_determinismE0ELb0ES3_N6thrust23THRUST_200600_302600_NS6detail15normal_iteratorINS9_10device_ptrIiEEEESE_SE_iNS9_4plusIvEE19head_flag_predicateIiEiEE10hipError_tPvRmT2_T3_T4_T5_mT6_T7_P12ihipStream_tbENKUlT_T0_E_clISt17integral_constantIbLb0EESZ_EEDaSU_SV_EUlSU_E_NS1_11comp_targetILNS1_3genE8ELNS1_11target_archE1030ELNS1_3gpuE2ELNS1_3repE0EEENS1_30default_config_static_selectorELNS0_4arch9wavefront6targetE1EEEvT1_: ; @_ZN7rocprim17ROCPRIM_400000_NS6detail17trampoline_kernelINS0_14default_configENS1_27scan_by_key_config_selectorIiiEEZZNS1_16scan_by_key_implILNS1_25lookback_scan_determinismE0ELb0ES3_N6thrust23THRUST_200600_302600_NS6detail15normal_iteratorINS9_10device_ptrIiEEEESE_SE_iNS9_4plusIvEE19head_flag_predicateIiEiEE10hipError_tPvRmT2_T3_T4_T5_mT6_T7_P12ihipStream_tbENKUlT_T0_E_clISt17integral_constantIbLb0EESZ_EEDaSU_SV_EUlSU_E_NS1_11comp_targetILNS1_3genE8ELNS1_11target_archE1030ELNS1_3gpuE2ELNS1_3repE0EEENS1_30default_config_static_selectorELNS0_4arch9wavefront6targetE1EEEvT1_
; %bb.0:
	.section	.rodata,"a",@progbits
	.p2align	6, 0x0
	.amdhsa_kernel _ZN7rocprim17ROCPRIM_400000_NS6detail17trampoline_kernelINS0_14default_configENS1_27scan_by_key_config_selectorIiiEEZZNS1_16scan_by_key_implILNS1_25lookback_scan_determinismE0ELb0ES3_N6thrust23THRUST_200600_302600_NS6detail15normal_iteratorINS9_10device_ptrIiEEEESE_SE_iNS9_4plusIvEE19head_flag_predicateIiEiEE10hipError_tPvRmT2_T3_T4_T5_mT6_T7_P12ihipStream_tbENKUlT_T0_E_clISt17integral_constantIbLb0EESZ_EEDaSU_SV_EUlSU_E_NS1_11comp_targetILNS1_3genE8ELNS1_11target_archE1030ELNS1_3gpuE2ELNS1_3repE0EEENS1_30default_config_static_selectorELNS0_4arch9wavefront6targetE1EEEvT1_
		.amdhsa_group_segment_fixed_size 0
		.amdhsa_private_segment_fixed_size 0
		.amdhsa_kernarg_size 112
		.amdhsa_user_sgpr_count 6
		.amdhsa_user_sgpr_private_segment_buffer 1
		.amdhsa_user_sgpr_dispatch_ptr 0
		.amdhsa_user_sgpr_queue_ptr 0
		.amdhsa_user_sgpr_kernarg_segment_ptr 1
		.amdhsa_user_sgpr_dispatch_id 0
		.amdhsa_user_sgpr_flat_scratch_init 0
		.amdhsa_user_sgpr_kernarg_preload_length 0
		.amdhsa_user_sgpr_kernarg_preload_offset 0
		.amdhsa_user_sgpr_private_segment_size 0
		.amdhsa_uses_dynamic_stack 0
		.amdhsa_system_sgpr_private_segment_wavefront_offset 0
		.amdhsa_system_sgpr_workgroup_id_x 1
		.amdhsa_system_sgpr_workgroup_id_y 0
		.amdhsa_system_sgpr_workgroup_id_z 0
		.amdhsa_system_sgpr_workgroup_info 0
		.amdhsa_system_vgpr_workitem_id 0
		.amdhsa_next_free_vgpr 1
		.amdhsa_next_free_sgpr 0
		.amdhsa_accum_offset 4
		.amdhsa_reserve_vcc 0
		.amdhsa_reserve_flat_scratch 0
		.amdhsa_float_round_mode_32 0
		.amdhsa_float_round_mode_16_64 0
		.amdhsa_float_denorm_mode_32 3
		.amdhsa_float_denorm_mode_16_64 3
		.amdhsa_dx10_clamp 1
		.amdhsa_ieee_mode 1
		.amdhsa_fp16_overflow 0
		.amdhsa_tg_split 0
		.amdhsa_exception_fp_ieee_invalid_op 0
		.amdhsa_exception_fp_denorm_src 0
		.amdhsa_exception_fp_ieee_div_zero 0
		.amdhsa_exception_fp_ieee_overflow 0
		.amdhsa_exception_fp_ieee_underflow 0
		.amdhsa_exception_fp_ieee_inexact 0
		.amdhsa_exception_int_div_zero 0
	.end_amdhsa_kernel
	.section	.text._ZN7rocprim17ROCPRIM_400000_NS6detail17trampoline_kernelINS0_14default_configENS1_27scan_by_key_config_selectorIiiEEZZNS1_16scan_by_key_implILNS1_25lookback_scan_determinismE0ELb0ES3_N6thrust23THRUST_200600_302600_NS6detail15normal_iteratorINS9_10device_ptrIiEEEESE_SE_iNS9_4plusIvEE19head_flag_predicateIiEiEE10hipError_tPvRmT2_T3_T4_T5_mT6_T7_P12ihipStream_tbENKUlT_T0_E_clISt17integral_constantIbLb0EESZ_EEDaSU_SV_EUlSU_E_NS1_11comp_targetILNS1_3genE8ELNS1_11target_archE1030ELNS1_3gpuE2ELNS1_3repE0EEENS1_30default_config_static_selectorELNS0_4arch9wavefront6targetE1EEEvT1_,"axG",@progbits,_ZN7rocprim17ROCPRIM_400000_NS6detail17trampoline_kernelINS0_14default_configENS1_27scan_by_key_config_selectorIiiEEZZNS1_16scan_by_key_implILNS1_25lookback_scan_determinismE0ELb0ES3_N6thrust23THRUST_200600_302600_NS6detail15normal_iteratorINS9_10device_ptrIiEEEESE_SE_iNS9_4plusIvEE19head_flag_predicateIiEiEE10hipError_tPvRmT2_T3_T4_T5_mT6_T7_P12ihipStream_tbENKUlT_T0_E_clISt17integral_constantIbLb0EESZ_EEDaSU_SV_EUlSU_E_NS1_11comp_targetILNS1_3genE8ELNS1_11target_archE1030ELNS1_3gpuE2ELNS1_3repE0EEENS1_30default_config_static_selectorELNS0_4arch9wavefront6targetE1EEEvT1_,comdat
.Lfunc_end53:
	.size	_ZN7rocprim17ROCPRIM_400000_NS6detail17trampoline_kernelINS0_14default_configENS1_27scan_by_key_config_selectorIiiEEZZNS1_16scan_by_key_implILNS1_25lookback_scan_determinismE0ELb0ES3_N6thrust23THRUST_200600_302600_NS6detail15normal_iteratorINS9_10device_ptrIiEEEESE_SE_iNS9_4plusIvEE19head_flag_predicateIiEiEE10hipError_tPvRmT2_T3_T4_T5_mT6_T7_P12ihipStream_tbENKUlT_T0_E_clISt17integral_constantIbLb0EESZ_EEDaSU_SV_EUlSU_E_NS1_11comp_targetILNS1_3genE8ELNS1_11target_archE1030ELNS1_3gpuE2ELNS1_3repE0EEENS1_30default_config_static_selectorELNS0_4arch9wavefront6targetE1EEEvT1_, .Lfunc_end53-_ZN7rocprim17ROCPRIM_400000_NS6detail17trampoline_kernelINS0_14default_configENS1_27scan_by_key_config_selectorIiiEEZZNS1_16scan_by_key_implILNS1_25lookback_scan_determinismE0ELb0ES3_N6thrust23THRUST_200600_302600_NS6detail15normal_iteratorINS9_10device_ptrIiEEEESE_SE_iNS9_4plusIvEE19head_flag_predicateIiEiEE10hipError_tPvRmT2_T3_T4_T5_mT6_T7_P12ihipStream_tbENKUlT_T0_E_clISt17integral_constantIbLb0EESZ_EEDaSU_SV_EUlSU_E_NS1_11comp_targetILNS1_3genE8ELNS1_11target_archE1030ELNS1_3gpuE2ELNS1_3repE0EEENS1_30default_config_static_selectorELNS0_4arch9wavefront6targetE1EEEvT1_
                                        ; -- End function
	.section	.AMDGPU.csdata,"",@progbits
; Kernel info:
; codeLenInByte = 0
; NumSgprs: 4
; NumVgprs: 0
; NumAgprs: 0
; TotalNumVgprs: 0
; ScratchSize: 0
; MemoryBound: 0
; FloatMode: 240
; IeeeMode: 1
; LDSByteSize: 0 bytes/workgroup (compile time only)
; SGPRBlocks: 0
; VGPRBlocks: 0
; NumSGPRsForWavesPerEU: 4
; NumVGPRsForWavesPerEU: 1
; AccumOffset: 4
; Occupancy: 8
; WaveLimiterHint : 0
; COMPUTE_PGM_RSRC2:SCRATCH_EN: 0
; COMPUTE_PGM_RSRC2:USER_SGPR: 6
; COMPUTE_PGM_RSRC2:TRAP_HANDLER: 0
; COMPUTE_PGM_RSRC2:TGID_X_EN: 1
; COMPUTE_PGM_RSRC2:TGID_Y_EN: 0
; COMPUTE_PGM_RSRC2:TGID_Z_EN: 0
; COMPUTE_PGM_RSRC2:TIDIG_COMP_CNT: 0
; COMPUTE_PGM_RSRC3_GFX90A:ACCUM_OFFSET: 0
; COMPUTE_PGM_RSRC3_GFX90A:TG_SPLIT: 0
	.section	.text._ZN7rocprim17ROCPRIM_400000_NS6detail17trampoline_kernelINS0_14default_configENS1_27scan_by_key_config_selectorIiiEEZZNS1_16scan_by_key_implILNS1_25lookback_scan_determinismE0ELb0ES3_N6thrust23THRUST_200600_302600_NS6detail15normal_iteratorINS9_10device_ptrIiEEEESE_SE_iNS9_4plusIvEE19head_flag_predicateIiEiEE10hipError_tPvRmT2_T3_T4_T5_mT6_T7_P12ihipStream_tbENKUlT_T0_E_clISt17integral_constantIbLb1EESZ_EEDaSU_SV_EUlSU_E_NS1_11comp_targetILNS1_3genE0ELNS1_11target_archE4294967295ELNS1_3gpuE0ELNS1_3repE0EEENS1_30default_config_static_selectorELNS0_4arch9wavefront6targetE1EEEvT1_,"axG",@progbits,_ZN7rocprim17ROCPRIM_400000_NS6detail17trampoline_kernelINS0_14default_configENS1_27scan_by_key_config_selectorIiiEEZZNS1_16scan_by_key_implILNS1_25lookback_scan_determinismE0ELb0ES3_N6thrust23THRUST_200600_302600_NS6detail15normal_iteratorINS9_10device_ptrIiEEEESE_SE_iNS9_4plusIvEE19head_flag_predicateIiEiEE10hipError_tPvRmT2_T3_T4_T5_mT6_T7_P12ihipStream_tbENKUlT_T0_E_clISt17integral_constantIbLb1EESZ_EEDaSU_SV_EUlSU_E_NS1_11comp_targetILNS1_3genE0ELNS1_11target_archE4294967295ELNS1_3gpuE0ELNS1_3repE0EEENS1_30default_config_static_selectorELNS0_4arch9wavefront6targetE1EEEvT1_,comdat
	.protected	_ZN7rocprim17ROCPRIM_400000_NS6detail17trampoline_kernelINS0_14default_configENS1_27scan_by_key_config_selectorIiiEEZZNS1_16scan_by_key_implILNS1_25lookback_scan_determinismE0ELb0ES3_N6thrust23THRUST_200600_302600_NS6detail15normal_iteratorINS9_10device_ptrIiEEEESE_SE_iNS9_4plusIvEE19head_flag_predicateIiEiEE10hipError_tPvRmT2_T3_T4_T5_mT6_T7_P12ihipStream_tbENKUlT_T0_E_clISt17integral_constantIbLb1EESZ_EEDaSU_SV_EUlSU_E_NS1_11comp_targetILNS1_3genE0ELNS1_11target_archE4294967295ELNS1_3gpuE0ELNS1_3repE0EEENS1_30default_config_static_selectorELNS0_4arch9wavefront6targetE1EEEvT1_ ; -- Begin function _ZN7rocprim17ROCPRIM_400000_NS6detail17trampoline_kernelINS0_14default_configENS1_27scan_by_key_config_selectorIiiEEZZNS1_16scan_by_key_implILNS1_25lookback_scan_determinismE0ELb0ES3_N6thrust23THRUST_200600_302600_NS6detail15normal_iteratorINS9_10device_ptrIiEEEESE_SE_iNS9_4plusIvEE19head_flag_predicateIiEiEE10hipError_tPvRmT2_T3_T4_T5_mT6_T7_P12ihipStream_tbENKUlT_T0_E_clISt17integral_constantIbLb1EESZ_EEDaSU_SV_EUlSU_E_NS1_11comp_targetILNS1_3genE0ELNS1_11target_archE4294967295ELNS1_3gpuE0ELNS1_3repE0EEENS1_30default_config_static_selectorELNS0_4arch9wavefront6targetE1EEEvT1_
	.globl	_ZN7rocprim17ROCPRIM_400000_NS6detail17trampoline_kernelINS0_14default_configENS1_27scan_by_key_config_selectorIiiEEZZNS1_16scan_by_key_implILNS1_25lookback_scan_determinismE0ELb0ES3_N6thrust23THRUST_200600_302600_NS6detail15normal_iteratorINS9_10device_ptrIiEEEESE_SE_iNS9_4plusIvEE19head_flag_predicateIiEiEE10hipError_tPvRmT2_T3_T4_T5_mT6_T7_P12ihipStream_tbENKUlT_T0_E_clISt17integral_constantIbLb1EESZ_EEDaSU_SV_EUlSU_E_NS1_11comp_targetILNS1_3genE0ELNS1_11target_archE4294967295ELNS1_3gpuE0ELNS1_3repE0EEENS1_30default_config_static_selectorELNS0_4arch9wavefront6targetE1EEEvT1_
	.p2align	8
	.type	_ZN7rocprim17ROCPRIM_400000_NS6detail17trampoline_kernelINS0_14default_configENS1_27scan_by_key_config_selectorIiiEEZZNS1_16scan_by_key_implILNS1_25lookback_scan_determinismE0ELb0ES3_N6thrust23THRUST_200600_302600_NS6detail15normal_iteratorINS9_10device_ptrIiEEEESE_SE_iNS9_4plusIvEE19head_flag_predicateIiEiEE10hipError_tPvRmT2_T3_T4_T5_mT6_T7_P12ihipStream_tbENKUlT_T0_E_clISt17integral_constantIbLb1EESZ_EEDaSU_SV_EUlSU_E_NS1_11comp_targetILNS1_3genE0ELNS1_11target_archE4294967295ELNS1_3gpuE0ELNS1_3repE0EEENS1_30default_config_static_selectorELNS0_4arch9wavefront6targetE1EEEvT1_,@function
_ZN7rocprim17ROCPRIM_400000_NS6detail17trampoline_kernelINS0_14default_configENS1_27scan_by_key_config_selectorIiiEEZZNS1_16scan_by_key_implILNS1_25lookback_scan_determinismE0ELb0ES3_N6thrust23THRUST_200600_302600_NS6detail15normal_iteratorINS9_10device_ptrIiEEEESE_SE_iNS9_4plusIvEE19head_flag_predicateIiEiEE10hipError_tPvRmT2_T3_T4_T5_mT6_T7_P12ihipStream_tbENKUlT_T0_E_clISt17integral_constantIbLb1EESZ_EEDaSU_SV_EUlSU_E_NS1_11comp_targetILNS1_3genE0ELNS1_11target_archE4294967295ELNS1_3gpuE0ELNS1_3repE0EEENS1_30default_config_static_selectorELNS0_4arch9wavefront6targetE1EEEvT1_: ; @_ZN7rocprim17ROCPRIM_400000_NS6detail17trampoline_kernelINS0_14default_configENS1_27scan_by_key_config_selectorIiiEEZZNS1_16scan_by_key_implILNS1_25lookback_scan_determinismE0ELb0ES3_N6thrust23THRUST_200600_302600_NS6detail15normal_iteratorINS9_10device_ptrIiEEEESE_SE_iNS9_4plusIvEE19head_flag_predicateIiEiEE10hipError_tPvRmT2_T3_T4_T5_mT6_T7_P12ihipStream_tbENKUlT_T0_E_clISt17integral_constantIbLb1EESZ_EEDaSU_SV_EUlSU_E_NS1_11comp_targetILNS1_3genE0ELNS1_11target_archE4294967295ELNS1_3gpuE0ELNS1_3repE0EEENS1_30default_config_static_selectorELNS0_4arch9wavefront6targetE1EEEvT1_
; %bb.0:
	.section	.rodata,"a",@progbits
	.p2align	6, 0x0
	.amdhsa_kernel _ZN7rocprim17ROCPRIM_400000_NS6detail17trampoline_kernelINS0_14default_configENS1_27scan_by_key_config_selectorIiiEEZZNS1_16scan_by_key_implILNS1_25lookback_scan_determinismE0ELb0ES3_N6thrust23THRUST_200600_302600_NS6detail15normal_iteratorINS9_10device_ptrIiEEEESE_SE_iNS9_4plusIvEE19head_flag_predicateIiEiEE10hipError_tPvRmT2_T3_T4_T5_mT6_T7_P12ihipStream_tbENKUlT_T0_E_clISt17integral_constantIbLb1EESZ_EEDaSU_SV_EUlSU_E_NS1_11comp_targetILNS1_3genE0ELNS1_11target_archE4294967295ELNS1_3gpuE0ELNS1_3repE0EEENS1_30default_config_static_selectorELNS0_4arch9wavefront6targetE1EEEvT1_
		.amdhsa_group_segment_fixed_size 0
		.amdhsa_private_segment_fixed_size 0
		.amdhsa_kernarg_size 112
		.amdhsa_user_sgpr_count 6
		.amdhsa_user_sgpr_private_segment_buffer 1
		.amdhsa_user_sgpr_dispatch_ptr 0
		.amdhsa_user_sgpr_queue_ptr 0
		.amdhsa_user_sgpr_kernarg_segment_ptr 1
		.amdhsa_user_sgpr_dispatch_id 0
		.amdhsa_user_sgpr_flat_scratch_init 0
		.amdhsa_user_sgpr_kernarg_preload_length 0
		.amdhsa_user_sgpr_kernarg_preload_offset 0
		.amdhsa_user_sgpr_private_segment_size 0
		.amdhsa_uses_dynamic_stack 0
		.amdhsa_system_sgpr_private_segment_wavefront_offset 0
		.amdhsa_system_sgpr_workgroup_id_x 1
		.amdhsa_system_sgpr_workgroup_id_y 0
		.amdhsa_system_sgpr_workgroup_id_z 0
		.amdhsa_system_sgpr_workgroup_info 0
		.amdhsa_system_vgpr_workitem_id 0
		.amdhsa_next_free_vgpr 1
		.amdhsa_next_free_sgpr 0
		.amdhsa_accum_offset 4
		.amdhsa_reserve_vcc 0
		.amdhsa_reserve_flat_scratch 0
		.amdhsa_float_round_mode_32 0
		.amdhsa_float_round_mode_16_64 0
		.amdhsa_float_denorm_mode_32 3
		.amdhsa_float_denorm_mode_16_64 3
		.amdhsa_dx10_clamp 1
		.amdhsa_ieee_mode 1
		.amdhsa_fp16_overflow 0
		.amdhsa_tg_split 0
		.amdhsa_exception_fp_ieee_invalid_op 0
		.amdhsa_exception_fp_denorm_src 0
		.amdhsa_exception_fp_ieee_div_zero 0
		.amdhsa_exception_fp_ieee_overflow 0
		.amdhsa_exception_fp_ieee_underflow 0
		.amdhsa_exception_fp_ieee_inexact 0
		.amdhsa_exception_int_div_zero 0
	.end_amdhsa_kernel
	.section	.text._ZN7rocprim17ROCPRIM_400000_NS6detail17trampoline_kernelINS0_14default_configENS1_27scan_by_key_config_selectorIiiEEZZNS1_16scan_by_key_implILNS1_25lookback_scan_determinismE0ELb0ES3_N6thrust23THRUST_200600_302600_NS6detail15normal_iteratorINS9_10device_ptrIiEEEESE_SE_iNS9_4plusIvEE19head_flag_predicateIiEiEE10hipError_tPvRmT2_T3_T4_T5_mT6_T7_P12ihipStream_tbENKUlT_T0_E_clISt17integral_constantIbLb1EESZ_EEDaSU_SV_EUlSU_E_NS1_11comp_targetILNS1_3genE0ELNS1_11target_archE4294967295ELNS1_3gpuE0ELNS1_3repE0EEENS1_30default_config_static_selectorELNS0_4arch9wavefront6targetE1EEEvT1_,"axG",@progbits,_ZN7rocprim17ROCPRIM_400000_NS6detail17trampoline_kernelINS0_14default_configENS1_27scan_by_key_config_selectorIiiEEZZNS1_16scan_by_key_implILNS1_25lookback_scan_determinismE0ELb0ES3_N6thrust23THRUST_200600_302600_NS6detail15normal_iteratorINS9_10device_ptrIiEEEESE_SE_iNS9_4plusIvEE19head_flag_predicateIiEiEE10hipError_tPvRmT2_T3_T4_T5_mT6_T7_P12ihipStream_tbENKUlT_T0_E_clISt17integral_constantIbLb1EESZ_EEDaSU_SV_EUlSU_E_NS1_11comp_targetILNS1_3genE0ELNS1_11target_archE4294967295ELNS1_3gpuE0ELNS1_3repE0EEENS1_30default_config_static_selectorELNS0_4arch9wavefront6targetE1EEEvT1_,comdat
.Lfunc_end54:
	.size	_ZN7rocprim17ROCPRIM_400000_NS6detail17trampoline_kernelINS0_14default_configENS1_27scan_by_key_config_selectorIiiEEZZNS1_16scan_by_key_implILNS1_25lookback_scan_determinismE0ELb0ES3_N6thrust23THRUST_200600_302600_NS6detail15normal_iteratorINS9_10device_ptrIiEEEESE_SE_iNS9_4plusIvEE19head_flag_predicateIiEiEE10hipError_tPvRmT2_T3_T4_T5_mT6_T7_P12ihipStream_tbENKUlT_T0_E_clISt17integral_constantIbLb1EESZ_EEDaSU_SV_EUlSU_E_NS1_11comp_targetILNS1_3genE0ELNS1_11target_archE4294967295ELNS1_3gpuE0ELNS1_3repE0EEENS1_30default_config_static_selectorELNS0_4arch9wavefront6targetE1EEEvT1_, .Lfunc_end54-_ZN7rocprim17ROCPRIM_400000_NS6detail17trampoline_kernelINS0_14default_configENS1_27scan_by_key_config_selectorIiiEEZZNS1_16scan_by_key_implILNS1_25lookback_scan_determinismE0ELb0ES3_N6thrust23THRUST_200600_302600_NS6detail15normal_iteratorINS9_10device_ptrIiEEEESE_SE_iNS9_4plusIvEE19head_flag_predicateIiEiEE10hipError_tPvRmT2_T3_T4_T5_mT6_T7_P12ihipStream_tbENKUlT_T0_E_clISt17integral_constantIbLb1EESZ_EEDaSU_SV_EUlSU_E_NS1_11comp_targetILNS1_3genE0ELNS1_11target_archE4294967295ELNS1_3gpuE0ELNS1_3repE0EEENS1_30default_config_static_selectorELNS0_4arch9wavefront6targetE1EEEvT1_
                                        ; -- End function
	.section	.AMDGPU.csdata,"",@progbits
; Kernel info:
; codeLenInByte = 0
; NumSgprs: 4
; NumVgprs: 0
; NumAgprs: 0
; TotalNumVgprs: 0
; ScratchSize: 0
; MemoryBound: 0
; FloatMode: 240
; IeeeMode: 1
; LDSByteSize: 0 bytes/workgroup (compile time only)
; SGPRBlocks: 0
; VGPRBlocks: 0
; NumSGPRsForWavesPerEU: 4
; NumVGPRsForWavesPerEU: 1
; AccumOffset: 4
; Occupancy: 8
; WaveLimiterHint : 0
; COMPUTE_PGM_RSRC2:SCRATCH_EN: 0
; COMPUTE_PGM_RSRC2:USER_SGPR: 6
; COMPUTE_PGM_RSRC2:TRAP_HANDLER: 0
; COMPUTE_PGM_RSRC2:TGID_X_EN: 1
; COMPUTE_PGM_RSRC2:TGID_Y_EN: 0
; COMPUTE_PGM_RSRC2:TGID_Z_EN: 0
; COMPUTE_PGM_RSRC2:TIDIG_COMP_CNT: 0
; COMPUTE_PGM_RSRC3_GFX90A:ACCUM_OFFSET: 0
; COMPUTE_PGM_RSRC3_GFX90A:TG_SPLIT: 0
	.section	.text._ZN7rocprim17ROCPRIM_400000_NS6detail17trampoline_kernelINS0_14default_configENS1_27scan_by_key_config_selectorIiiEEZZNS1_16scan_by_key_implILNS1_25lookback_scan_determinismE0ELb0ES3_N6thrust23THRUST_200600_302600_NS6detail15normal_iteratorINS9_10device_ptrIiEEEESE_SE_iNS9_4plusIvEE19head_flag_predicateIiEiEE10hipError_tPvRmT2_T3_T4_T5_mT6_T7_P12ihipStream_tbENKUlT_T0_E_clISt17integral_constantIbLb1EESZ_EEDaSU_SV_EUlSU_E_NS1_11comp_targetILNS1_3genE10ELNS1_11target_archE1201ELNS1_3gpuE5ELNS1_3repE0EEENS1_30default_config_static_selectorELNS0_4arch9wavefront6targetE1EEEvT1_,"axG",@progbits,_ZN7rocprim17ROCPRIM_400000_NS6detail17trampoline_kernelINS0_14default_configENS1_27scan_by_key_config_selectorIiiEEZZNS1_16scan_by_key_implILNS1_25lookback_scan_determinismE0ELb0ES3_N6thrust23THRUST_200600_302600_NS6detail15normal_iteratorINS9_10device_ptrIiEEEESE_SE_iNS9_4plusIvEE19head_flag_predicateIiEiEE10hipError_tPvRmT2_T3_T4_T5_mT6_T7_P12ihipStream_tbENKUlT_T0_E_clISt17integral_constantIbLb1EESZ_EEDaSU_SV_EUlSU_E_NS1_11comp_targetILNS1_3genE10ELNS1_11target_archE1201ELNS1_3gpuE5ELNS1_3repE0EEENS1_30default_config_static_selectorELNS0_4arch9wavefront6targetE1EEEvT1_,comdat
	.protected	_ZN7rocprim17ROCPRIM_400000_NS6detail17trampoline_kernelINS0_14default_configENS1_27scan_by_key_config_selectorIiiEEZZNS1_16scan_by_key_implILNS1_25lookback_scan_determinismE0ELb0ES3_N6thrust23THRUST_200600_302600_NS6detail15normal_iteratorINS9_10device_ptrIiEEEESE_SE_iNS9_4plusIvEE19head_flag_predicateIiEiEE10hipError_tPvRmT2_T3_T4_T5_mT6_T7_P12ihipStream_tbENKUlT_T0_E_clISt17integral_constantIbLb1EESZ_EEDaSU_SV_EUlSU_E_NS1_11comp_targetILNS1_3genE10ELNS1_11target_archE1201ELNS1_3gpuE5ELNS1_3repE0EEENS1_30default_config_static_selectorELNS0_4arch9wavefront6targetE1EEEvT1_ ; -- Begin function _ZN7rocprim17ROCPRIM_400000_NS6detail17trampoline_kernelINS0_14default_configENS1_27scan_by_key_config_selectorIiiEEZZNS1_16scan_by_key_implILNS1_25lookback_scan_determinismE0ELb0ES3_N6thrust23THRUST_200600_302600_NS6detail15normal_iteratorINS9_10device_ptrIiEEEESE_SE_iNS9_4plusIvEE19head_flag_predicateIiEiEE10hipError_tPvRmT2_T3_T4_T5_mT6_T7_P12ihipStream_tbENKUlT_T0_E_clISt17integral_constantIbLb1EESZ_EEDaSU_SV_EUlSU_E_NS1_11comp_targetILNS1_3genE10ELNS1_11target_archE1201ELNS1_3gpuE5ELNS1_3repE0EEENS1_30default_config_static_selectorELNS0_4arch9wavefront6targetE1EEEvT1_
	.globl	_ZN7rocprim17ROCPRIM_400000_NS6detail17trampoline_kernelINS0_14default_configENS1_27scan_by_key_config_selectorIiiEEZZNS1_16scan_by_key_implILNS1_25lookback_scan_determinismE0ELb0ES3_N6thrust23THRUST_200600_302600_NS6detail15normal_iteratorINS9_10device_ptrIiEEEESE_SE_iNS9_4plusIvEE19head_flag_predicateIiEiEE10hipError_tPvRmT2_T3_T4_T5_mT6_T7_P12ihipStream_tbENKUlT_T0_E_clISt17integral_constantIbLb1EESZ_EEDaSU_SV_EUlSU_E_NS1_11comp_targetILNS1_3genE10ELNS1_11target_archE1201ELNS1_3gpuE5ELNS1_3repE0EEENS1_30default_config_static_selectorELNS0_4arch9wavefront6targetE1EEEvT1_
	.p2align	8
	.type	_ZN7rocprim17ROCPRIM_400000_NS6detail17trampoline_kernelINS0_14default_configENS1_27scan_by_key_config_selectorIiiEEZZNS1_16scan_by_key_implILNS1_25lookback_scan_determinismE0ELb0ES3_N6thrust23THRUST_200600_302600_NS6detail15normal_iteratorINS9_10device_ptrIiEEEESE_SE_iNS9_4plusIvEE19head_flag_predicateIiEiEE10hipError_tPvRmT2_T3_T4_T5_mT6_T7_P12ihipStream_tbENKUlT_T0_E_clISt17integral_constantIbLb1EESZ_EEDaSU_SV_EUlSU_E_NS1_11comp_targetILNS1_3genE10ELNS1_11target_archE1201ELNS1_3gpuE5ELNS1_3repE0EEENS1_30default_config_static_selectorELNS0_4arch9wavefront6targetE1EEEvT1_,@function
_ZN7rocprim17ROCPRIM_400000_NS6detail17trampoline_kernelINS0_14default_configENS1_27scan_by_key_config_selectorIiiEEZZNS1_16scan_by_key_implILNS1_25lookback_scan_determinismE0ELb0ES3_N6thrust23THRUST_200600_302600_NS6detail15normal_iteratorINS9_10device_ptrIiEEEESE_SE_iNS9_4plusIvEE19head_flag_predicateIiEiEE10hipError_tPvRmT2_T3_T4_T5_mT6_T7_P12ihipStream_tbENKUlT_T0_E_clISt17integral_constantIbLb1EESZ_EEDaSU_SV_EUlSU_E_NS1_11comp_targetILNS1_3genE10ELNS1_11target_archE1201ELNS1_3gpuE5ELNS1_3repE0EEENS1_30default_config_static_selectorELNS0_4arch9wavefront6targetE1EEEvT1_: ; @_ZN7rocprim17ROCPRIM_400000_NS6detail17trampoline_kernelINS0_14default_configENS1_27scan_by_key_config_selectorIiiEEZZNS1_16scan_by_key_implILNS1_25lookback_scan_determinismE0ELb0ES3_N6thrust23THRUST_200600_302600_NS6detail15normal_iteratorINS9_10device_ptrIiEEEESE_SE_iNS9_4plusIvEE19head_flag_predicateIiEiEE10hipError_tPvRmT2_T3_T4_T5_mT6_T7_P12ihipStream_tbENKUlT_T0_E_clISt17integral_constantIbLb1EESZ_EEDaSU_SV_EUlSU_E_NS1_11comp_targetILNS1_3genE10ELNS1_11target_archE1201ELNS1_3gpuE5ELNS1_3repE0EEENS1_30default_config_static_selectorELNS0_4arch9wavefront6targetE1EEEvT1_
; %bb.0:
	.section	.rodata,"a",@progbits
	.p2align	6, 0x0
	.amdhsa_kernel _ZN7rocprim17ROCPRIM_400000_NS6detail17trampoline_kernelINS0_14default_configENS1_27scan_by_key_config_selectorIiiEEZZNS1_16scan_by_key_implILNS1_25lookback_scan_determinismE0ELb0ES3_N6thrust23THRUST_200600_302600_NS6detail15normal_iteratorINS9_10device_ptrIiEEEESE_SE_iNS9_4plusIvEE19head_flag_predicateIiEiEE10hipError_tPvRmT2_T3_T4_T5_mT6_T7_P12ihipStream_tbENKUlT_T0_E_clISt17integral_constantIbLb1EESZ_EEDaSU_SV_EUlSU_E_NS1_11comp_targetILNS1_3genE10ELNS1_11target_archE1201ELNS1_3gpuE5ELNS1_3repE0EEENS1_30default_config_static_selectorELNS0_4arch9wavefront6targetE1EEEvT1_
		.amdhsa_group_segment_fixed_size 0
		.amdhsa_private_segment_fixed_size 0
		.amdhsa_kernarg_size 112
		.amdhsa_user_sgpr_count 6
		.amdhsa_user_sgpr_private_segment_buffer 1
		.amdhsa_user_sgpr_dispatch_ptr 0
		.amdhsa_user_sgpr_queue_ptr 0
		.amdhsa_user_sgpr_kernarg_segment_ptr 1
		.amdhsa_user_sgpr_dispatch_id 0
		.amdhsa_user_sgpr_flat_scratch_init 0
		.amdhsa_user_sgpr_kernarg_preload_length 0
		.amdhsa_user_sgpr_kernarg_preload_offset 0
		.amdhsa_user_sgpr_private_segment_size 0
		.amdhsa_uses_dynamic_stack 0
		.amdhsa_system_sgpr_private_segment_wavefront_offset 0
		.amdhsa_system_sgpr_workgroup_id_x 1
		.amdhsa_system_sgpr_workgroup_id_y 0
		.amdhsa_system_sgpr_workgroup_id_z 0
		.amdhsa_system_sgpr_workgroup_info 0
		.amdhsa_system_vgpr_workitem_id 0
		.amdhsa_next_free_vgpr 1
		.amdhsa_next_free_sgpr 0
		.amdhsa_accum_offset 4
		.amdhsa_reserve_vcc 0
		.amdhsa_reserve_flat_scratch 0
		.amdhsa_float_round_mode_32 0
		.amdhsa_float_round_mode_16_64 0
		.amdhsa_float_denorm_mode_32 3
		.amdhsa_float_denorm_mode_16_64 3
		.amdhsa_dx10_clamp 1
		.amdhsa_ieee_mode 1
		.amdhsa_fp16_overflow 0
		.amdhsa_tg_split 0
		.amdhsa_exception_fp_ieee_invalid_op 0
		.amdhsa_exception_fp_denorm_src 0
		.amdhsa_exception_fp_ieee_div_zero 0
		.amdhsa_exception_fp_ieee_overflow 0
		.amdhsa_exception_fp_ieee_underflow 0
		.amdhsa_exception_fp_ieee_inexact 0
		.amdhsa_exception_int_div_zero 0
	.end_amdhsa_kernel
	.section	.text._ZN7rocprim17ROCPRIM_400000_NS6detail17trampoline_kernelINS0_14default_configENS1_27scan_by_key_config_selectorIiiEEZZNS1_16scan_by_key_implILNS1_25lookback_scan_determinismE0ELb0ES3_N6thrust23THRUST_200600_302600_NS6detail15normal_iteratorINS9_10device_ptrIiEEEESE_SE_iNS9_4plusIvEE19head_flag_predicateIiEiEE10hipError_tPvRmT2_T3_T4_T5_mT6_T7_P12ihipStream_tbENKUlT_T0_E_clISt17integral_constantIbLb1EESZ_EEDaSU_SV_EUlSU_E_NS1_11comp_targetILNS1_3genE10ELNS1_11target_archE1201ELNS1_3gpuE5ELNS1_3repE0EEENS1_30default_config_static_selectorELNS0_4arch9wavefront6targetE1EEEvT1_,"axG",@progbits,_ZN7rocprim17ROCPRIM_400000_NS6detail17trampoline_kernelINS0_14default_configENS1_27scan_by_key_config_selectorIiiEEZZNS1_16scan_by_key_implILNS1_25lookback_scan_determinismE0ELb0ES3_N6thrust23THRUST_200600_302600_NS6detail15normal_iteratorINS9_10device_ptrIiEEEESE_SE_iNS9_4plusIvEE19head_flag_predicateIiEiEE10hipError_tPvRmT2_T3_T4_T5_mT6_T7_P12ihipStream_tbENKUlT_T0_E_clISt17integral_constantIbLb1EESZ_EEDaSU_SV_EUlSU_E_NS1_11comp_targetILNS1_3genE10ELNS1_11target_archE1201ELNS1_3gpuE5ELNS1_3repE0EEENS1_30default_config_static_selectorELNS0_4arch9wavefront6targetE1EEEvT1_,comdat
.Lfunc_end55:
	.size	_ZN7rocprim17ROCPRIM_400000_NS6detail17trampoline_kernelINS0_14default_configENS1_27scan_by_key_config_selectorIiiEEZZNS1_16scan_by_key_implILNS1_25lookback_scan_determinismE0ELb0ES3_N6thrust23THRUST_200600_302600_NS6detail15normal_iteratorINS9_10device_ptrIiEEEESE_SE_iNS9_4plusIvEE19head_flag_predicateIiEiEE10hipError_tPvRmT2_T3_T4_T5_mT6_T7_P12ihipStream_tbENKUlT_T0_E_clISt17integral_constantIbLb1EESZ_EEDaSU_SV_EUlSU_E_NS1_11comp_targetILNS1_3genE10ELNS1_11target_archE1201ELNS1_3gpuE5ELNS1_3repE0EEENS1_30default_config_static_selectorELNS0_4arch9wavefront6targetE1EEEvT1_, .Lfunc_end55-_ZN7rocprim17ROCPRIM_400000_NS6detail17trampoline_kernelINS0_14default_configENS1_27scan_by_key_config_selectorIiiEEZZNS1_16scan_by_key_implILNS1_25lookback_scan_determinismE0ELb0ES3_N6thrust23THRUST_200600_302600_NS6detail15normal_iteratorINS9_10device_ptrIiEEEESE_SE_iNS9_4plusIvEE19head_flag_predicateIiEiEE10hipError_tPvRmT2_T3_T4_T5_mT6_T7_P12ihipStream_tbENKUlT_T0_E_clISt17integral_constantIbLb1EESZ_EEDaSU_SV_EUlSU_E_NS1_11comp_targetILNS1_3genE10ELNS1_11target_archE1201ELNS1_3gpuE5ELNS1_3repE0EEENS1_30default_config_static_selectorELNS0_4arch9wavefront6targetE1EEEvT1_
                                        ; -- End function
	.section	.AMDGPU.csdata,"",@progbits
; Kernel info:
; codeLenInByte = 0
; NumSgprs: 4
; NumVgprs: 0
; NumAgprs: 0
; TotalNumVgprs: 0
; ScratchSize: 0
; MemoryBound: 0
; FloatMode: 240
; IeeeMode: 1
; LDSByteSize: 0 bytes/workgroup (compile time only)
; SGPRBlocks: 0
; VGPRBlocks: 0
; NumSGPRsForWavesPerEU: 4
; NumVGPRsForWavesPerEU: 1
; AccumOffset: 4
; Occupancy: 8
; WaveLimiterHint : 0
; COMPUTE_PGM_RSRC2:SCRATCH_EN: 0
; COMPUTE_PGM_RSRC2:USER_SGPR: 6
; COMPUTE_PGM_RSRC2:TRAP_HANDLER: 0
; COMPUTE_PGM_RSRC2:TGID_X_EN: 1
; COMPUTE_PGM_RSRC2:TGID_Y_EN: 0
; COMPUTE_PGM_RSRC2:TGID_Z_EN: 0
; COMPUTE_PGM_RSRC2:TIDIG_COMP_CNT: 0
; COMPUTE_PGM_RSRC3_GFX90A:ACCUM_OFFSET: 0
; COMPUTE_PGM_RSRC3_GFX90A:TG_SPLIT: 0
	.section	.text._ZN7rocprim17ROCPRIM_400000_NS6detail17trampoline_kernelINS0_14default_configENS1_27scan_by_key_config_selectorIiiEEZZNS1_16scan_by_key_implILNS1_25lookback_scan_determinismE0ELb0ES3_N6thrust23THRUST_200600_302600_NS6detail15normal_iteratorINS9_10device_ptrIiEEEESE_SE_iNS9_4plusIvEE19head_flag_predicateIiEiEE10hipError_tPvRmT2_T3_T4_T5_mT6_T7_P12ihipStream_tbENKUlT_T0_E_clISt17integral_constantIbLb1EESZ_EEDaSU_SV_EUlSU_E_NS1_11comp_targetILNS1_3genE5ELNS1_11target_archE942ELNS1_3gpuE9ELNS1_3repE0EEENS1_30default_config_static_selectorELNS0_4arch9wavefront6targetE1EEEvT1_,"axG",@progbits,_ZN7rocprim17ROCPRIM_400000_NS6detail17trampoline_kernelINS0_14default_configENS1_27scan_by_key_config_selectorIiiEEZZNS1_16scan_by_key_implILNS1_25lookback_scan_determinismE0ELb0ES3_N6thrust23THRUST_200600_302600_NS6detail15normal_iteratorINS9_10device_ptrIiEEEESE_SE_iNS9_4plusIvEE19head_flag_predicateIiEiEE10hipError_tPvRmT2_T3_T4_T5_mT6_T7_P12ihipStream_tbENKUlT_T0_E_clISt17integral_constantIbLb1EESZ_EEDaSU_SV_EUlSU_E_NS1_11comp_targetILNS1_3genE5ELNS1_11target_archE942ELNS1_3gpuE9ELNS1_3repE0EEENS1_30default_config_static_selectorELNS0_4arch9wavefront6targetE1EEEvT1_,comdat
	.protected	_ZN7rocprim17ROCPRIM_400000_NS6detail17trampoline_kernelINS0_14default_configENS1_27scan_by_key_config_selectorIiiEEZZNS1_16scan_by_key_implILNS1_25lookback_scan_determinismE0ELb0ES3_N6thrust23THRUST_200600_302600_NS6detail15normal_iteratorINS9_10device_ptrIiEEEESE_SE_iNS9_4plusIvEE19head_flag_predicateIiEiEE10hipError_tPvRmT2_T3_T4_T5_mT6_T7_P12ihipStream_tbENKUlT_T0_E_clISt17integral_constantIbLb1EESZ_EEDaSU_SV_EUlSU_E_NS1_11comp_targetILNS1_3genE5ELNS1_11target_archE942ELNS1_3gpuE9ELNS1_3repE0EEENS1_30default_config_static_selectorELNS0_4arch9wavefront6targetE1EEEvT1_ ; -- Begin function _ZN7rocprim17ROCPRIM_400000_NS6detail17trampoline_kernelINS0_14default_configENS1_27scan_by_key_config_selectorIiiEEZZNS1_16scan_by_key_implILNS1_25lookback_scan_determinismE0ELb0ES3_N6thrust23THRUST_200600_302600_NS6detail15normal_iteratorINS9_10device_ptrIiEEEESE_SE_iNS9_4plusIvEE19head_flag_predicateIiEiEE10hipError_tPvRmT2_T3_T4_T5_mT6_T7_P12ihipStream_tbENKUlT_T0_E_clISt17integral_constantIbLb1EESZ_EEDaSU_SV_EUlSU_E_NS1_11comp_targetILNS1_3genE5ELNS1_11target_archE942ELNS1_3gpuE9ELNS1_3repE0EEENS1_30default_config_static_selectorELNS0_4arch9wavefront6targetE1EEEvT1_
	.globl	_ZN7rocprim17ROCPRIM_400000_NS6detail17trampoline_kernelINS0_14default_configENS1_27scan_by_key_config_selectorIiiEEZZNS1_16scan_by_key_implILNS1_25lookback_scan_determinismE0ELb0ES3_N6thrust23THRUST_200600_302600_NS6detail15normal_iteratorINS9_10device_ptrIiEEEESE_SE_iNS9_4plusIvEE19head_flag_predicateIiEiEE10hipError_tPvRmT2_T3_T4_T5_mT6_T7_P12ihipStream_tbENKUlT_T0_E_clISt17integral_constantIbLb1EESZ_EEDaSU_SV_EUlSU_E_NS1_11comp_targetILNS1_3genE5ELNS1_11target_archE942ELNS1_3gpuE9ELNS1_3repE0EEENS1_30default_config_static_selectorELNS0_4arch9wavefront6targetE1EEEvT1_
	.p2align	8
	.type	_ZN7rocprim17ROCPRIM_400000_NS6detail17trampoline_kernelINS0_14default_configENS1_27scan_by_key_config_selectorIiiEEZZNS1_16scan_by_key_implILNS1_25lookback_scan_determinismE0ELb0ES3_N6thrust23THRUST_200600_302600_NS6detail15normal_iteratorINS9_10device_ptrIiEEEESE_SE_iNS9_4plusIvEE19head_flag_predicateIiEiEE10hipError_tPvRmT2_T3_T4_T5_mT6_T7_P12ihipStream_tbENKUlT_T0_E_clISt17integral_constantIbLb1EESZ_EEDaSU_SV_EUlSU_E_NS1_11comp_targetILNS1_3genE5ELNS1_11target_archE942ELNS1_3gpuE9ELNS1_3repE0EEENS1_30default_config_static_selectorELNS0_4arch9wavefront6targetE1EEEvT1_,@function
_ZN7rocprim17ROCPRIM_400000_NS6detail17trampoline_kernelINS0_14default_configENS1_27scan_by_key_config_selectorIiiEEZZNS1_16scan_by_key_implILNS1_25lookback_scan_determinismE0ELb0ES3_N6thrust23THRUST_200600_302600_NS6detail15normal_iteratorINS9_10device_ptrIiEEEESE_SE_iNS9_4plusIvEE19head_flag_predicateIiEiEE10hipError_tPvRmT2_T3_T4_T5_mT6_T7_P12ihipStream_tbENKUlT_T0_E_clISt17integral_constantIbLb1EESZ_EEDaSU_SV_EUlSU_E_NS1_11comp_targetILNS1_3genE5ELNS1_11target_archE942ELNS1_3gpuE9ELNS1_3repE0EEENS1_30default_config_static_selectorELNS0_4arch9wavefront6targetE1EEEvT1_: ; @_ZN7rocprim17ROCPRIM_400000_NS6detail17trampoline_kernelINS0_14default_configENS1_27scan_by_key_config_selectorIiiEEZZNS1_16scan_by_key_implILNS1_25lookback_scan_determinismE0ELb0ES3_N6thrust23THRUST_200600_302600_NS6detail15normal_iteratorINS9_10device_ptrIiEEEESE_SE_iNS9_4plusIvEE19head_flag_predicateIiEiEE10hipError_tPvRmT2_T3_T4_T5_mT6_T7_P12ihipStream_tbENKUlT_T0_E_clISt17integral_constantIbLb1EESZ_EEDaSU_SV_EUlSU_E_NS1_11comp_targetILNS1_3genE5ELNS1_11target_archE942ELNS1_3gpuE9ELNS1_3repE0EEENS1_30default_config_static_selectorELNS0_4arch9wavefront6targetE1EEEvT1_
; %bb.0:
	.section	.rodata,"a",@progbits
	.p2align	6, 0x0
	.amdhsa_kernel _ZN7rocprim17ROCPRIM_400000_NS6detail17trampoline_kernelINS0_14default_configENS1_27scan_by_key_config_selectorIiiEEZZNS1_16scan_by_key_implILNS1_25lookback_scan_determinismE0ELb0ES3_N6thrust23THRUST_200600_302600_NS6detail15normal_iteratorINS9_10device_ptrIiEEEESE_SE_iNS9_4plusIvEE19head_flag_predicateIiEiEE10hipError_tPvRmT2_T3_T4_T5_mT6_T7_P12ihipStream_tbENKUlT_T0_E_clISt17integral_constantIbLb1EESZ_EEDaSU_SV_EUlSU_E_NS1_11comp_targetILNS1_3genE5ELNS1_11target_archE942ELNS1_3gpuE9ELNS1_3repE0EEENS1_30default_config_static_selectorELNS0_4arch9wavefront6targetE1EEEvT1_
		.amdhsa_group_segment_fixed_size 0
		.amdhsa_private_segment_fixed_size 0
		.amdhsa_kernarg_size 112
		.amdhsa_user_sgpr_count 6
		.amdhsa_user_sgpr_private_segment_buffer 1
		.amdhsa_user_sgpr_dispatch_ptr 0
		.amdhsa_user_sgpr_queue_ptr 0
		.amdhsa_user_sgpr_kernarg_segment_ptr 1
		.amdhsa_user_sgpr_dispatch_id 0
		.amdhsa_user_sgpr_flat_scratch_init 0
		.amdhsa_user_sgpr_kernarg_preload_length 0
		.amdhsa_user_sgpr_kernarg_preload_offset 0
		.amdhsa_user_sgpr_private_segment_size 0
		.amdhsa_uses_dynamic_stack 0
		.amdhsa_system_sgpr_private_segment_wavefront_offset 0
		.amdhsa_system_sgpr_workgroup_id_x 1
		.amdhsa_system_sgpr_workgroup_id_y 0
		.amdhsa_system_sgpr_workgroup_id_z 0
		.amdhsa_system_sgpr_workgroup_info 0
		.amdhsa_system_vgpr_workitem_id 0
		.amdhsa_next_free_vgpr 1
		.amdhsa_next_free_sgpr 0
		.amdhsa_accum_offset 4
		.amdhsa_reserve_vcc 0
		.amdhsa_reserve_flat_scratch 0
		.amdhsa_float_round_mode_32 0
		.amdhsa_float_round_mode_16_64 0
		.amdhsa_float_denorm_mode_32 3
		.amdhsa_float_denorm_mode_16_64 3
		.amdhsa_dx10_clamp 1
		.amdhsa_ieee_mode 1
		.amdhsa_fp16_overflow 0
		.amdhsa_tg_split 0
		.amdhsa_exception_fp_ieee_invalid_op 0
		.amdhsa_exception_fp_denorm_src 0
		.amdhsa_exception_fp_ieee_div_zero 0
		.amdhsa_exception_fp_ieee_overflow 0
		.amdhsa_exception_fp_ieee_underflow 0
		.amdhsa_exception_fp_ieee_inexact 0
		.amdhsa_exception_int_div_zero 0
	.end_amdhsa_kernel
	.section	.text._ZN7rocprim17ROCPRIM_400000_NS6detail17trampoline_kernelINS0_14default_configENS1_27scan_by_key_config_selectorIiiEEZZNS1_16scan_by_key_implILNS1_25lookback_scan_determinismE0ELb0ES3_N6thrust23THRUST_200600_302600_NS6detail15normal_iteratorINS9_10device_ptrIiEEEESE_SE_iNS9_4plusIvEE19head_flag_predicateIiEiEE10hipError_tPvRmT2_T3_T4_T5_mT6_T7_P12ihipStream_tbENKUlT_T0_E_clISt17integral_constantIbLb1EESZ_EEDaSU_SV_EUlSU_E_NS1_11comp_targetILNS1_3genE5ELNS1_11target_archE942ELNS1_3gpuE9ELNS1_3repE0EEENS1_30default_config_static_selectorELNS0_4arch9wavefront6targetE1EEEvT1_,"axG",@progbits,_ZN7rocprim17ROCPRIM_400000_NS6detail17trampoline_kernelINS0_14default_configENS1_27scan_by_key_config_selectorIiiEEZZNS1_16scan_by_key_implILNS1_25lookback_scan_determinismE0ELb0ES3_N6thrust23THRUST_200600_302600_NS6detail15normal_iteratorINS9_10device_ptrIiEEEESE_SE_iNS9_4plusIvEE19head_flag_predicateIiEiEE10hipError_tPvRmT2_T3_T4_T5_mT6_T7_P12ihipStream_tbENKUlT_T0_E_clISt17integral_constantIbLb1EESZ_EEDaSU_SV_EUlSU_E_NS1_11comp_targetILNS1_3genE5ELNS1_11target_archE942ELNS1_3gpuE9ELNS1_3repE0EEENS1_30default_config_static_selectorELNS0_4arch9wavefront6targetE1EEEvT1_,comdat
.Lfunc_end56:
	.size	_ZN7rocprim17ROCPRIM_400000_NS6detail17trampoline_kernelINS0_14default_configENS1_27scan_by_key_config_selectorIiiEEZZNS1_16scan_by_key_implILNS1_25lookback_scan_determinismE0ELb0ES3_N6thrust23THRUST_200600_302600_NS6detail15normal_iteratorINS9_10device_ptrIiEEEESE_SE_iNS9_4plusIvEE19head_flag_predicateIiEiEE10hipError_tPvRmT2_T3_T4_T5_mT6_T7_P12ihipStream_tbENKUlT_T0_E_clISt17integral_constantIbLb1EESZ_EEDaSU_SV_EUlSU_E_NS1_11comp_targetILNS1_3genE5ELNS1_11target_archE942ELNS1_3gpuE9ELNS1_3repE0EEENS1_30default_config_static_selectorELNS0_4arch9wavefront6targetE1EEEvT1_, .Lfunc_end56-_ZN7rocprim17ROCPRIM_400000_NS6detail17trampoline_kernelINS0_14default_configENS1_27scan_by_key_config_selectorIiiEEZZNS1_16scan_by_key_implILNS1_25lookback_scan_determinismE0ELb0ES3_N6thrust23THRUST_200600_302600_NS6detail15normal_iteratorINS9_10device_ptrIiEEEESE_SE_iNS9_4plusIvEE19head_flag_predicateIiEiEE10hipError_tPvRmT2_T3_T4_T5_mT6_T7_P12ihipStream_tbENKUlT_T0_E_clISt17integral_constantIbLb1EESZ_EEDaSU_SV_EUlSU_E_NS1_11comp_targetILNS1_3genE5ELNS1_11target_archE942ELNS1_3gpuE9ELNS1_3repE0EEENS1_30default_config_static_selectorELNS0_4arch9wavefront6targetE1EEEvT1_
                                        ; -- End function
	.section	.AMDGPU.csdata,"",@progbits
; Kernel info:
; codeLenInByte = 0
; NumSgprs: 4
; NumVgprs: 0
; NumAgprs: 0
; TotalNumVgprs: 0
; ScratchSize: 0
; MemoryBound: 0
; FloatMode: 240
; IeeeMode: 1
; LDSByteSize: 0 bytes/workgroup (compile time only)
; SGPRBlocks: 0
; VGPRBlocks: 0
; NumSGPRsForWavesPerEU: 4
; NumVGPRsForWavesPerEU: 1
; AccumOffset: 4
; Occupancy: 8
; WaveLimiterHint : 0
; COMPUTE_PGM_RSRC2:SCRATCH_EN: 0
; COMPUTE_PGM_RSRC2:USER_SGPR: 6
; COMPUTE_PGM_RSRC2:TRAP_HANDLER: 0
; COMPUTE_PGM_RSRC2:TGID_X_EN: 1
; COMPUTE_PGM_RSRC2:TGID_Y_EN: 0
; COMPUTE_PGM_RSRC2:TGID_Z_EN: 0
; COMPUTE_PGM_RSRC2:TIDIG_COMP_CNT: 0
; COMPUTE_PGM_RSRC3_GFX90A:ACCUM_OFFSET: 0
; COMPUTE_PGM_RSRC3_GFX90A:TG_SPLIT: 0
	.section	.text._ZN7rocprim17ROCPRIM_400000_NS6detail17trampoline_kernelINS0_14default_configENS1_27scan_by_key_config_selectorIiiEEZZNS1_16scan_by_key_implILNS1_25lookback_scan_determinismE0ELb0ES3_N6thrust23THRUST_200600_302600_NS6detail15normal_iteratorINS9_10device_ptrIiEEEESE_SE_iNS9_4plusIvEE19head_flag_predicateIiEiEE10hipError_tPvRmT2_T3_T4_T5_mT6_T7_P12ihipStream_tbENKUlT_T0_E_clISt17integral_constantIbLb1EESZ_EEDaSU_SV_EUlSU_E_NS1_11comp_targetILNS1_3genE4ELNS1_11target_archE910ELNS1_3gpuE8ELNS1_3repE0EEENS1_30default_config_static_selectorELNS0_4arch9wavefront6targetE1EEEvT1_,"axG",@progbits,_ZN7rocprim17ROCPRIM_400000_NS6detail17trampoline_kernelINS0_14default_configENS1_27scan_by_key_config_selectorIiiEEZZNS1_16scan_by_key_implILNS1_25lookback_scan_determinismE0ELb0ES3_N6thrust23THRUST_200600_302600_NS6detail15normal_iteratorINS9_10device_ptrIiEEEESE_SE_iNS9_4plusIvEE19head_flag_predicateIiEiEE10hipError_tPvRmT2_T3_T4_T5_mT6_T7_P12ihipStream_tbENKUlT_T0_E_clISt17integral_constantIbLb1EESZ_EEDaSU_SV_EUlSU_E_NS1_11comp_targetILNS1_3genE4ELNS1_11target_archE910ELNS1_3gpuE8ELNS1_3repE0EEENS1_30default_config_static_selectorELNS0_4arch9wavefront6targetE1EEEvT1_,comdat
	.protected	_ZN7rocprim17ROCPRIM_400000_NS6detail17trampoline_kernelINS0_14default_configENS1_27scan_by_key_config_selectorIiiEEZZNS1_16scan_by_key_implILNS1_25lookback_scan_determinismE0ELb0ES3_N6thrust23THRUST_200600_302600_NS6detail15normal_iteratorINS9_10device_ptrIiEEEESE_SE_iNS9_4plusIvEE19head_flag_predicateIiEiEE10hipError_tPvRmT2_T3_T4_T5_mT6_T7_P12ihipStream_tbENKUlT_T0_E_clISt17integral_constantIbLb1EESZ_EEDaSU_SV_EUlSU_E_NS1_11comp_targetILNS1_3genE4ELNS1_11target_archE910ELNS1_3gpuE8ELNS1_3repE0EEENS1_30default_config_static_selectorELNS0_4arch9wavefront6targetE1EEEvT1_ ; -- Begin function _ZN7rocprim17ROCPRIM_400000_NS6detail17trampoline_kernelINS0_14default_configENS1_27scan_by_key_config_selectorIiiEEZZNS1_16scan_by_key_implILNS1_25lookback_scan_determinismE0ELb0ES3_N6thrust23THRUST_200600_302600_NS6detail15normal_iteratorINS9_10device_ptrIiEEEESE_SE_iNS9_4plusIvEE19head_flag_predicateIiEiEE10hipError_tPvRmT2_T3_T4_T5_mT6_T7_P12ihipStream_tbENKUlT_T0_E_clISt17integral_constantIbLb1EESZ_EEDaSU_SV_EUlSU_E_NS1_11comp_targetILNS1_3genE4ELNS1_11target_archE910ELNS1_3gpuE8ELNS1_3repE0EEENS1_30default_config_static_selectorELNS0_4arch9wavefront6targetE1EEEvT1_
	.globl	_ZN7rocprim17ROCPRIM_400000_NS6detail17trampoline_kernelINS0_14default_configENS1_27scan_by_key_config_selectorIiiEEZZNS1_16scan_by_key_implILNS1_25lookback_scan_determinismE0ELb0ES3_N6thrust23THRUST_200600_302600_NS6detail15normal_iteratorINS9_10device_ptrIiEEEESE_SE_iNS9_4plusIvEE19head_flag_predicateIiEiEE10hipError_tPvRmT2_T3_T4_T5_mT6_T7_P12ihipStream_tbENKUlT_T0_E_clISt17integral_constantIbLb1EESZ_EEDaSU_SV_EUlSU_E_NS1_11comp_targetILNS1_3genE4ELNS1_11target_archE910ELNS1_3gpuE8ELNS1_3repE0EEENS1_30default_config_static_selectorELNS0_4arch9wavefront6targetE1EEEvT1_
	.p2align	8
	.type	_ZN7rocprim17ROCPRIM_400000_NS6detail17trampoline_kernelINS0_14default_configENS1_27scan_by_key_config_selectorIiiEEZZNS1_16scan_by_key_implILNS1_25lookback_scan_determinismE0ELb0ES3_N6thrust23THRUST_200600_302600_NS6detail15normal_iteratorINS9_10device_ptrIiEEEESE_SE_iNS9_4plusIvEE19head_flag_predicateIiEiEE10hipError_tPvRmT2_T3_T4_T5_mT6_T7_P12ihipStream_tbENKUlT_T0_E_clISt17integral_constantIbLb1EESZ_EEDaSU_SV_EUlSU_E_NS1_11comp_targetILNS1_3genE4ELNS1_11target_archE910ELNS1_3gpuE8ELNS1_3repE0EEENS1_30default_config_static_selectorELNS0_4arch9wavefront6targetE1EEEvT1_,@function
_ZN7rocprim17ROCPRIM_400000_NS6detail17trampoline_kernelINS0_14default_configENS1_27scan_by_key_config_selectorIiiEEZZNS1_16scan_by_key_implILNS1_25lookback_scan_determinismE0ELb0ES3_N6thrust23THRUST_200600_302600_NS6detail15normal_iteratorINS9_10device_ptrIiEEEESE_SE_iNS9_4plusIvEE19head_flag_predicateIiEiEE10hipError_tPvRmT2_T3_T4_T5_mT6_T7_P12ihipStream_tbENKUlT_T0_E_clISt17integral_constantIbLb1EESZ_EEDaSU_SV_EUlSU_E_NS1_11comp_targetILNS1_3genE4ELNS1_11target_archE910ELNS1_3gpuE8ELNS1_3repE0EEENS1_30default_config_static_selectorELNS0_4arch9wavefront6targetE1EEEvT1_: ; @_ZN7rocprim17ROCPRIM_400000_NS6detail17trampoline_kernelINS0_14default_configENS1_27scan_by_key_config_selectorIiiEEZZNS1_16scan_by_key_implILNS1_25lookback_scan_determinismE0ELb0ES3_N6thrust23THRUST_200600_302600_NS6detail15normal_iteratorINS9_10device_ptrIiEEEESE_SE_iNS9_4plusIvEE19head_flag_predicateIiEiEE10hipError_tPvRmT2_T3_T4_T5_mT6_T7_P12ihipStream_tbENKUlT_T0_E_clISt17integral_constantIbLb1EESZ_EEDaSU_SV_EUlSU_E_NS1_11comp_targetILNS1_3genE4ELNS1_11target_archE910ELNS1_3gpuE8ELNS1_3repE0EEENS1_30default_config_static_selectorELNS0_4arch9wavefront6targetE1EEEvT1_
; %bb.0:
	s_load_dwordx4 s[48:51], s[4:5], 0x28
	s_load_dwordx2 s[56:57], s[4:5], 0x38
	v_cmp_ne_u32_e64 s[36:37], 0, v0
	v_cmp_eq_u32_e64 s[0:1], 0, v0
	s_and_saveexec_b64 s[2:3], s[0:1]
	s_cbranch_execz .LBB57_4
; %bb.1:
	s_mov_b64 s[8:9], exec
	v_mbcnt_lo_u32_b32 v1, s8, 0
	v_mbcnt_hi_u32_b32 v1, s9, v1
	v_cmp_eq_u32_e32 vcc, 0, v1
                                        ; implicit-def: $vgpr2
	s_and_saveexec_b64 s[6:7], vcc
	s_cbranch_execz .LBB57_3
; %bb.2:
	s_load_dwordx2 s[10:11], s[4:5], 0x68
	s_bcnt1_i32_b64 s8, s[8:9]
	v_mov_b32_e32 v2, 0
	v_mov_b32_e32 v3, s8
	s_waitcnt lgkmcnt(0)
	global_atomic_add v2, v2, v3, s[10:11] glc
.LBB57_3:
	s_or_b64 exec, exec, s[6:7]
	s_waitcnt vmcnt(0)
	v_readfirstlane_b32 s6, v2
	v_add_u32_e32 v1, s6, v1
	v_mov_b32_e32 v2, 0
	ds_write_b32 v2, v1
.LBB57_4:
	s_or_b64 exec, exec, s[2:3]
	s_load_dwordx8 s[40:47], s[4:5], 0x0
	s_load_dword s2, s[4:5], 0x40
	s_load_dwordx4 s[52:55], s[4:5], 0x48
	v_mov_b32_e32 v1, 0
	s_waitcnt lgkmcnt(0)
	s_barrier
	ds_read_b32 v1, v1
	s_lshl_b64 s[38:39], s[42:43], 2
	s_add_u32 s4, s40, s38
	s_addc_u32 s5, s41, s39
	s_add_u32 s6, s44, s38
	s_mul_i32 s3, s57, s2
	s_mul_hi_u32 s8, s56, s2
	s_waitcnt lgkmcnt(0)
	v_readfirstlane_b32 s51, v1
	s_addc_u32 s7, s45, s39
	s_add_i32 s8, s8, s3
	s_mul_i32 s9, s56, s2
	s_mov_b32 s3, 0
	s_mul_i32 s2, s51, 0xe00
	s_lshl_b64 s[40:41], s[2:3], 2
	s_add_u32 s34, s4, s40
	s_addc_u32 s35, s5, s41
	s_add_u32 s44, s6, s40
	s_addc_u32 s45, s7, s41
	v_mov_b32_e32 v3, s8
	v_add_co_u32_e32 v2, vcc, s9, v1
	s_add_u32 s4, s52, -1
	v_addc_co_u32_e32 v3, vcc, 0, v3, vcc
	s_addc_u32 s5, s53, -1
	v_cmp_le_u64_e64 s[2:3], s[4:5], v[2:3]
	s_mov_b64 s[12:13], -1
	s_and_b64 vcc, exec, s[2:3]
	s_mul_i32 s33, s4, 0xfffff200
	s_barrier
	s_barrier
	s_cbranch_vccz .LBB57_76
; %bb.5:
	v_pk_mov_b32 v[2:3], s[34:35], s[34:35] op_sel:[0,1]
	flat_load_dword v1, v[2:3]
	s_add_i32 s52, s33, s50
	v_cmp_gt_u32_e32 vcc, s52, v0
	s_waitcnt vmcnt(0) lgkmcnt(0)
	v_mov_b32_e32 v13, v1
	s_and_saveexec_b64 s[6:7], vcc
	s_cbranch_execz .LBB57_7
; %bb.6:
	v_lshlrev_b32_e32 v2, 2, v0
	v_mov_b32_e32 v3, s35
	v_add_co_u32_e64 v2, s[4:5], s34, v2
	v_addc_co_u32_e64 v3, s[4:5], 0, v3, s[4:5]
	flat_load_dword v13, v[2:3]
.LBB57_7:
	s_or_b64 exec, exec, s[6:7]
	v_or_b32_e32 v2, 0x100, v0
	v_cmp_gt_u32_e64 s[6:7], s52, v2
	v_mov_b32_e32 v14, v1
	s_and_saveexec_b64 s[8:9], s[6:7]
	s_cbranch_execz .LBB57_9
; %bb.8:
	v_lshlrev_b32_e32 v2, 2, v0
	v_mov_b32_e32 v3, s35
	v_add_co_u32_e64 v2, s[4:5], s34, v2
	v_addc_co_u32_e64 v3, s[4:5], 0, v3, s[4:5]
	flat_load_dword v14, v[2:3] offset:1024
.LBB57_9:
	s_or_b64 exec, exec, s[8:9]
	v_or_b32_e32 v2, 0x200, v0
	v_cmp_gt_u32_e64 s[8:9], s52, v2
	v_mov_b32_e32 v15, v1
	s_and_saveexec_b64 s[10:11], s[8:9]
	s_cbranch_execz .LBB57_11
; %bb.10:
	v_lshlrev_b32_e32 v2, 2, v0
	v_mov_b32_e32 v3, s35
	v_add_co_u32_e64 v2, s[4:5], s34, v2
	v_addc_co_u32_e64 v3, s[4:5], 0, v3, s[4:5]
	flat_load_dword v15, v[2:3] offset:2048
.LBB57_11:
	;; [unrolled: 13-line block ×3, first 2 shown]
	s_or_b64 exec, exec, s[12:13]
	v_or_b32_e32 v2, 0x400, v0
	v_cmp_gt_u32_e64 s[12:13], s52, v2
	v_mov_b32_e32 v17, v1
	s_and_saveexec_b64 s[14:15], s[12:13]
	s_cbranch_execz .LBB57_15
; %bb.14:
	v_lshlrev_b32_e32 v3, 2, v2
	v_mov_b32_e32 v5, s35
	v_add_co_u32_e64 v4, s[4:5], s34, v3
	v_addc_co_u32_e64 v5, s[4:5], 0, v5, s[4:5]
	flat_load_dword v17, v[4:5]
.LBB57_15:
	s_or_b64 exec, exec, s[14:15]
	v_or_b32_e32 v3, 0x500, v0
	v_cmp_gt_u32_e64 s[14:15], s52, v3
	v_mov_b32_e32 v18, v1
	s_and_saveexec_b64 s[16:17], s[14:15]
	s_cbranch_execz .LBB57_17
; %bb.16:
	v_lshlrev_b32_e32 v4, 2, v3
	v_mov_b32_e32 v5, s35
	v_add_co_u32_e64 v4, s[4:5], s34, v4
	v_addc_co_u32_e64 v5, s[4:5], 0, v5, s[4:5]
	flat_load_dword v18, v[4:5]
.LBB57_17:
	s_or_b64 exec, exec, s[16:17]
	v_or_b32_e32 v4, 0x600, v0
	v_cmp_gt_u32_e64 s[16:17], s52, v4
	v_mov_b32_e32 v19, v1
	s_and_saveexec_b64 s[18:19], s[16:17]
	s_cbranch_execz .LBB57_19
; %bb.18:
	v_lshlrev_b32_e32 v5, 2, v4
	v_mov_b32_e32 v7, s35
	v_add_co_u32_e64 v6, s[4:5], s34, v5
	v_addc_co_u32_e64 v7, s[4:5], 0, v7, s[4:5]
	flat_load_dword v19, v[6:7]
.LBB57_19:
	s_or_b64 exec, exec, s[18:19]
	v_or_b32_e32 v5, 0x700, v0
	v_cmp_gt_u32_e64 s[18:19], s52, v5
	v_mov_b32_e32 v20, v1
	s_and_saveexec_b64 s[20:21], s[18:19]
	s_cbranch_execz .LBB57_21
; %bb.20:
	v_lshlrev_b32_e32 v6, 2, v5
	v_mov_b32_e32 v7, s35
	v_add_co_u32_e64 v6, s[4:5], s34, v6
	v_addc_co_u32_e64 v7, s[4:5], 0, v7, s[4:5]
	flat_load_dword v20, v[6:7]
.LBB57_21:
	s_or_b64 exec, exec, s[20:21]
	v_or_b32_e32 v6, 0x800, v0
	v_cmp_gt_u32_e64 s[20:21], s52, v6
	v_mov_b32_e32 v21, v1
	s_and_saveexec_b64 s[22:23], s[20:21]
	s_cbranch_execz .LBB57_23
; %bb.22:
	v_lshlrev_b32_e32 v7, 2, v6
	v_mov_b32_e32 v9, s35
	v_add_co_u32_e64 v8, s[4:5], s34, v7
	v_addc_co_u32_e64 v9, s[4:5], 0, v9, s[4:5]
	flat_load_dword v21, v[8:9]
.LBB57_23:
	s_or_b64 exec, exec, s[22:23]
	v_or_b32_e32 v7, 0x900, v0
	v_cmp_gt_u32_e64 s[22:23], s52, v7
	v_mov_b32_e32 v22, v1
	s_and_saveexec_b64 s[24:25], s[22:23]
	s_cbranch_execz .LBB57_25
; %bb.24:
	v_lshlrev_b32_e32 v8, 2, v7
	v_mov_b32_e32 v9, s35
	v_add_co_u32_e64 v8, s[4:5], s34, v8
	v_addc_co_u32_e64 v9, s[4:5], 0, v9, s[4:5]
	flat_load_dword v22, v[8:9]
.LBB57_25:
	s_or_b64 exec, exec, s[24:25]
	v_or_b32_e32 v8, 0xa00, v0
	v_cmp_gt_u32_e64 s[24:25], s52, v8
	v_mov_b32_e32 v23, v1
	s_and_saveexec_b64 s[26:27], s[24:25]
	s_cbranch_execz .LBB57_27
; %bb.26:
	v_lshlrev_b32_e32 v9, 2, v8
	v_mov_b32_e32 v11, s35
	v_add_co_u32_e64 v10, s[4:5], s34, v9
	v_addc_co_u32_e64 v11, s[4:5], 0, v11, s[4:5]
	flat_load_dword v23, v[10:11]
.LBB57_27:
	s_or_b64 exec, exec, s[26:27]
	v_or_b32_e32 v9, 0xb00, v0
	v_cmp_gt_u32_e64 s[26:27], s52, v9
	v_mov_b32_e32 v24, v1
	s_and_saveexec_b64 s[28:29], s[26:27]
	s_cbranch_execz .LBB57_29
; %bb.28:
	v_lshlrev_b32_e32 v10, 2, v9
	v_mov_b32_e32 v11, s35
	v_add_co_u32_e64 v10, s[4:5], s34, v10
	v_addc_co_u32_e64 v11, s[4:5], 0, v11, s[4:5]
	flat_load_dword v24, v[10:11]
.LBB57_29:
	s_or_b64 exec, exec, s[28:29]
	v_or_b32_e32 v10, 0xc00, v0
	v_cmp_gt_u32_e64 s[28:29], s52, v10
	v_mov_b32_e32 v25, v1
	s_and_saveexec_b64 s[30:31], s[28:29]
	s_cbranch_execz .LBB57_31
; %bb.30:
	v_lshlrev_b32_e32 v11, 2, v10
	v_mov_b32_e32 v12, s35
	v_add_co_u32_e64 v26, s[4:5], s34, v11
	v_addc_co_u32_e64 v27, s[4:5], 0, v12, s[4:5]
	flat_load_dword v25, v[26:27]
.LBB57_31:
	s_or_b64 exec, exec, s[30:31]
	v_or_b32_e32 v11, 0xd00, v0
	v_cmp_gt_u32_e64 s[30:31], s52, v11
	s_and_saveexec_b64 s[42:43], s[30:31]
	s_cbranch_execz .LBB57_33
; %bb.32:
	v_lshlrev_b32_e32 v1, 2, v11
	v_mov_b32_e32 v12, s35
	v_add_co_u32_e64 v26, s[4:5], s34, v1
	v_addc_co_u32_e64 v27, s[4:5], 0, v12, s[4:5]
	flat_load_dword v1, v[26:27]
.LBB57_33:
	s_or_b64 exec, exec, s[42:43]
	v_lshlrev_b32_e32 v12, 2, v0
	s_waitcnt vmcnt(0) lgkmcnt(0)
	ds_write2st64_b32 v12, v13, v14 offset1:4
	ds_write2st64_b32 v12, v15, v16 offset0:8 offset1:12
	ds_write2st64_b32 v12, v17, v18 offset0:16 offset1:20
	;; [unrolled: 1-line block ×6, first 2 shown]
	v_mad_u32_u24 v1, v0, 52, v12
	s_waitcnt lgkmcnt(0)
	s_barrier
	ds_read2_b64 v[26:29], v1 offset0:4 offset1:5
	ds_read_b64 v[42:43], v1 offset:48
	ds_read2_b64 v[34:37], v1 offset1:1
	ds_read2_b64 v[30:33], v1 offset0:2 offset1:3
	s_movk_i32 s4, 0xffcc
	v_mad_i32_i24 v13, v0, s4, v1
	s_waitcnt lgkmcnt(2)
	ds_write_b32 v13, v43 offset:14336
	s_waitcnt lgkmcnt(0)
	s_barrier
	s_barrier
	s_waitcnt lgkmcnt(0)
                                        ; implicit-def: $vgpr13
	s_and_saveexec_b64 s[4:5], vcc
	s_cbranch_execz .LBB57_113
; %bb.34:
	v_mov_b32_e32 v13, s45
	v_add_co_u32_e32 v14, vcc, s44, v12
	v_addc_co_u32_e32 v15, vcc, 0, v13, vcc
	flat_load_dword v13, v[14:15]
	s_or_b64 exec, exec, s[4:5]
                                        ; implicit-def: $vgpr14
	s_and_saveexec_b64 s[4:5], s[6:7]
	s_cbranch_execnz .LBB57_114
.LBB57_35:
	s_or_b64 exec, exec, s[4:5]
                                        ; implicit-def: $vgpr15
	s_and_saveexec_b64 s[4:5], s[8:9]
	s_cbranch_execz .LBB57_115
.LBB57_36:
	v_mov_b32_e32 v15, s45
	v_add_co_u32_e32 v16, vcc, s44, v12
	v_addc_co_u32_e32 v17, vcc, 0, v15, vcc
	flat_load_dword v15, v[16:17] offset:2048
	s_or_b64 exec, exec, s[4:5]
                                        ; implicit-def: $vgpr16
	s_and_saveexec_b64 s[4:5], s[10:11]
	s_cbranch_execnz .LBB57_116
.LBB57_37:
	s_or_b64 exec, exec, s[4:5]
                                        ; implicit-def: $vgpr17
	s_and_saveexec_b64 s[4:5], s[12:13]
	s_cbranch_execz .LBB57_117
.LBB57_38:
	v_lshlrev_b32_e32 v2, 2, v2
	v_mov_b32_e32 v17, s45
	v_add_co_u32_e32 v18, vcc, s44, v2
	v_addc_co_u32_e32 v19, vcc, 0, v17, vcc
	flat_load_dword v17, v[18:19]
	s_or_b64 exec, exec, s[4:5]
                                        ; implicit-def: $vgpr2
	s_and_saveexec_b64 s[4:5], s[14:15]
	s_cbranch_execnz .LBB57_118
.LBB57_39:
	s_or_b64 exec, exec, s[4:5]
                                        ; implicit-def: $vgpr3
	s_and_saveexec_b64 s[4:5], s[16:17]
	s_cbranch_execz .LBB57_119
.LBB57_40:
	v_lshlrev_b32_e32 v3, 2, v4
	v_mov_b32_e32 v4, s45
	v_add_co_u32_e32 v18, vcc, s44, v3
	v_addc_co_u32_e32 v19, vcc, 0, v4, vcc
	flat_load_dword v3, v[18:19]
	s_or_b64 exec, exec, s[4:5]
                                        ; implicit-def: $vgpr4
	s_and_saveexec_b64 s[4:5], s[18:19]
	s_cbranch_execnz .LBB57_120
.LBB57_41:
	s_or_b64 exec, exec, s[4:5]
                                        ; implicit-def: $vgpr5
	s_and_saveexec_b64 s[4:5], s[20:21]
	s_cbranch_execz .LBB57_121
.LBB57_42:
	v_lshlrev_b32_e32 v5, 2, v6
	v_mov_b32_e32 v6, s45
	v_add_co_u32_e32 v18, vcc, s44, v5
	v_addc_co_u32_e32 v19, vcc, 0, v6, vcc
	flat_load_dword v5, v[18:19]
	s_or_b64 exec, exec, s[4:5]
                                        ; implicit-def: $vgpr6
	s_and_saveexec_b64 s[4:5], s[22:23]
	s_cbranch_execnz .LBB57_122
.LBB57_43:
	s_or_b64 exec, exec, s[4:5]
                                        ; implicit-def: $vgpr7
	s_and_saveexec_b64 s[4:5], s[24:25]
	s_cbranch_execz .LBB57_123
.LBB57_44:
	v_lshlrev_b32_e32 v7, 2, v8
	v_mov_b32_e32 v8, s45
	v_add_co_u32_e32 v18, vcc, s44, v7
	v_addc_co_u32_e32 v19, vcc, 0, v8, vcc
	flat_load_dword v7, v[18:19]
	s_or_b64 exec, exec, s[4:5]
                                        ; implicit-def: $vgpr8
	s_and_saveexec_b64 s[4:5], s[26:27]
	s_cbranch_execnz .LBB57_124
.LBB57_45:
	s_or_b64 exec, exec, s[4:5]
                                        ; implicit-def: $vgpr9
	s_and_saveexec_b64 s[4:5], s[28:29]
	s_cbranch_execz .LBB57_47
.LBB57_46:
	v_lshlrev_b32_e32 v9, 2, v10
	v_mov_b32_e32 v10, s45
	v_add_co_u32_e32 v18, vcc, s44, v9
	v_addc_co_u32_e32 v19, vcc, 0, v10, vcc
	flat_load_dword v9, v[18:19]
.LBB57_47:
	s_or_b64 exec, exec, s[4:5]
	v_mul_u32_u24_e32 v44, 14, v0
                                        ; implicit-def: $vgpr10
	s_and_saveexec_b64 s[4:5], s[30:31]
	s_cbranch_execz .LBB57_49
; %bb.48:
	v_lshlrev_b32_e32 v10, 2, v11
	v_mov_b32_e32 v11, s45
	v_add_co_u32_e32 v10, vcc, s44, v10
	v_addc_co_u32_e32 v11, vcc, 0, v11, vcc
	flat_load_dword v10, v[10:11]
.LBB57_49:
	s_or_b64 exec, exec, s[4:5]
	s_mov_b32 s4, 0
	s_mov_b32 s5, s4
	s_waitcnt vmcnt(0) lgkmcnt(0)
	ds_write2st64_b32 v12, v13, v14 offset1:4
	ds_write2st64_b32 v12, v15, v16 offset0:8 offset1:12
	ds_write2st64_b32 v12, v17, v2 offset0:16 offset1:20
	;; [unrolled: 1-line block ×6, first 2 shown]
	s_mov_b32 s6, s4
	s_mov_b32 s7, s4
	;; [unrolled: 1-line block ×6, first 2 shown]
	v_pk_mov_b32 v[2:3], s[4:5], s[4:5] op_sel:[0,1]
	v_pk_mov_b32 v[8:9], s[10:11], s[10:11] op_sel:[0,1]
	;; [unrolled: 1-line block ×6, first 2 shown]
	v_cmp_gt_u32_e32 vcc, s52, v44
	s_mov_b64 s[12:13], 0
	v_pk_mov_b32 v[38:39], 0, 0
	s_mov_b64 s[16:17], 0
	v_pk_mov_b32 v[14:15], v[6:7], v[6:7] op_sel:[0,1]
	v_pk_mov_b32 v[12:13], v[4:5], v[4:5] op_sel:[0,1]
	;; [unrolled: 1-line block ×6, first 2 shown]
	s_waitcnt lgkmcnt(0)
	s_barrier
	s_waitcnt lgkmcnt(0)
                                        ; implicit-def: $vgpr45
	s_and_saveexec_b64 s[14:15], vcc
	s_cbranch_execz .LBB57_75
; %bb.50:
	v_or_b32_e32 v2, 1, v44
	ds_read_b32 v38, v1
	v_cmp_ne_u32_e32 vcc, 0, v34
	v_cndmask_b32_e64 v39, 0, 1, vcc
	v_cmp_gt_u32_e32 vcc, s52, v2
	v_pk_mov_b32 v[2:3], s[4:5], s[4:5] op_sel:[0,1]
	v_pk_mov_b32 v[8:9], s[10:11], s[10:11] op_sel:[0,1]
	;; [unrolled: 1-line block ×6, first 2 shown]
	s_mov_b64 s[18:19], 0
	v_pk_mov_b32 v[14:15], v[6:7], v[6:7] op_sel:[0,1]
	v_pk_mov_b32 v[12:13], v[4:5], v[4:5] op_sel:[0,1]
	;; [unrolled: 1-line block ×6, first 2 shown]
                                        ; implicit-def: $vgpr45
	s_and_saveexec_b64 s[16:17], vcc
	s_cbranch_execz .LBB57_74
; %bb.51:
	ds_read2_b32 v[40:41], v1 offset0:1 offset1:2
	s_mov_b32 s10, s4
	s_mov_b32 s11, s4
	;; [unrolled: 1-line block ×7, first 2 shown]
	v_pk_mov_b32 v[16:17], s[10:11], s[10:11] op_sel:[0,1]
	v_add_u32_e32 v2, 2, v44
	v_cmp_ne_u32_e32 vcc, 0, v35
	v_mov_b32_e32 v6, 0
	v_pk_mov_b32 v[14:15], s[8:9], s[8:9] op_sel:[0,1]
	v_pk_mov_b32 v[12:13], s[6:7], s[6:7] op_sel:[0,1]
	;; [unrolled: 1-line block ×4, first 2 shown]
	v_cndmask_b32_e64 v3, 0, 1, vcc
	v_cmp_gt_u32_e32 vcc, s52, v2
	s_waitcnt lgkmcnt(0)
	v_mov_b32_e32 v2, v40
	v_mov_b32_e32 v4, v6
	;; [unrolled: 1-line block ×6, first 2 shown]
	s_mov_b64 s[20:21], 0
	v_pk_mov_b32 v[22:23], v[14:15], v[14:15] op_sel:[0,1]
	v_pk_mov_b32 v[20:21], v[12:13], v[12:13] op_sel:[0,1]
	;; [unrolled: 1-line block ×3, first 2 shown]
                                        ; implicit-def: $vgpr45
	s_and_saveexec_b64 s[18:19], vcc
	s_cbranch_execz .LBB57_73
; %bb.52:
	v_pk_mov_b32 v[16:17], s[10:11], s[10:11] op_sel:[0,1]
	v_add_u32_e32 v2, 3, v44
	v_cmp_ne_u32_e32 vcc, 0, v36
	v_pk_mov_b32 v[14:15], s[8:9], s[8:9] op_sel:[0,1]
	v_pk_mov_b32 v[12:13], s[6:7], s[6:7] op_sel:[0,1]
	;; [unrolled: 1-line block ×4, first 2 shown]
	v_cndmask_b32_e64 v5, 0, 1, vcc
	v_cmp_gt_u32_e32 vcc, s52, v2
	v_mov_b32_e32 v2, v40
	v_mov_b32_e32 v4, v41
	;; [unrolled: 1-line block ×5, first 2 shown]
	s_mov_b64 s[22:23], 0
	v_pk_mov_b32 v[22:23], v[14:15], v[14:15] op_sel:[0,1]
	v_pk_mov_b32 v[20:21], v[12:13], v[12:13] op_sel:[0,1]
	;; [unrolled: 1-line block ×3, first 2 shown]
                                        ; implicit-def: $vgpr45
	s_and_saveexec_b64 s[20:21], vcc
	s_cbranch_execz .LBB57_72
; %bb.53:
	ds_read2_b32 v[34:35], v1 offset0:3 offset1:4
	s_mov_b32 s10, s4
	s_mov_b32 s11, s4
	;; [unrolled: 1-line block ×7, first 2 shown]
	v_pk_mov_b32 v[16:17], s[10:11], s[10:11] op_sel:[0,1]
	v_add_u32_e32 v6, 4, v44
	v_cmp_ne_u32_e32 vcc, 0, v37
	v_pk_mov_b32 v[14:15], s[8:9], s[8:9] op_sel:[0,1]
	v_pk_mov_b32 v[12:13], s[6:7], s[6:7] op_sel:[0,1]
	;; [unrolled: 1-line block ×4, first 2 shown]
	v_cndmask_b32_e64 v7, 0, 1, vcc
	v_cmp_gt_u32_e32 vcc, s52, v6
	s_waitcnt lgkmcnt(0)
	v_mov_b32_e32 v6, v34
	v_mov_b32_e32 v8, s4
	;; [unrolled: 1-line block ×3, first 2 shown]
	s_mov_b64 s[24:25], 0
	v_pk_mov_b32 v[22:23], v[14:15], v[14:15] op_sel:[0,1]
	v_pk_mov_b32 v[20:21], v[12:13], v[12:13] op_sel:[0,1]
	;; [unrolled: 1-line block ×3, first 2 shown]
                                        ; implicit-def: $vgpr45
	s_and_saveexec_b64 s[22:23], vcc
	s_cbranch_execz .LBB57_71
; %bb.54:
	v_pk_mov_b32 v[16:17], s[10:11], s[10:11] op_sel:[0,1]
	v_add_u32_e32 v8, 5, v44
	v_cmp_ne_u32_e32 vcc, 0, v30
	v_pk_mov_b32 v[14:15], s[8:9], s[8:9] op_sel:[0,1]
	v_pk_mov_b32 v[12:13], s[6:7], s[6:7] op_sel:[0,1]
	;; [unrolled: 1-line block ×4, first 2 shown]
	v_cndmask_b32_e64 v9, 0, 1, vcc
	v_cmp_gt_u32_e32 vcc, s52, v8
	v_mov_b32_e32 v8, v35
	s_mov_b64 s[26:27], 0
	v_pk_mov_b32 v[22:23], v[14:15], v[14:15] op_sel:[0,1]
	v_pk_mov_b32 v[20:21], v[12:13], v[12:13] op_sel:[0,1]
	;; [unrolled: 1-line block ×3, first 2 shown]
                                        ; implicit-def: $vgpr45
	s_and_saveexec_b64 s[24:25], vcc
	s_cbranch_execz .LBB57_70
; %bb.55:
	ds_read2_b32 v[34:35], v1 offset0:5 offset1:6
	s_mov_b32 s10, s4
	s_mov_b32 s11, s4
	v_add_u32_e32 v10, 6, v44
	v_cmp_ne_u32_e32 vcc, 0, v31
	v_mov_b32_e32 v14, 0
	s_mov_b32 s5, s4
	s_mov_b32 s6, s4
	;; [unrolled: 1-line block ×5, first 2 shown]
	v_pk_mov_b32 v[24:25], s[10:11], s[10:11] op_sel:[0,1]
	v_cndmask_b32_e64 v11, 0, 1, vcc
	v_cmp_gt_u32_e32 vcc, s52, v10
	s_waitcnt lgkmcnt(0)
	v_mov_b32_e32 v10, v34
	v_mov_b32_e32 v12, v14
	;; [unrolled: 1-line block ×6, first 2 shown]
	s_mov_b64 s[28:29], 0
	v_pk_mov_b32 v[22:23], s[8:9], s[8:9] op_sel:[0,1]
	v_pk_mov_b32 v[20:21], s[6:7], s[6:7] op_sel:[0,1]
	;; [unrolled: 1-line block ×3, first 2 shown]
                                        ; implicit-def: $vgpr45
	s_and_saveexec_b64 s[26:27], vcc
	s_cbranch_execz .LBB57_69
; %bb.56:
	v_add_u32_e32 v10, 7, v44
	v_cmp_ne_u32_e32 vcc, 0, v32
	v_pk_mov_b32 v[24:25], s[10:11], s[10:11] op_sel:[0,1]
	v_cndmask_b32_e64 v13, 0, 1, vcc
	v_cmp_gt_u32_e32 vcc, s52, v10
	v_mov_b32_e32 v10, v34
	v_mov_b32_e32 v12, v35
	;; [unrolled: 1-line block ×5, first 2 shown]
	s_mov_b64 s[30:31], 0
	v_pk_mov_b32 v[22:23], s[8:9], s[8:9] op_sel:[0,1]
	v_pk_mov_b32 v[20:21], s[6:7], s[6:7] op_sel:[0,1]
	;; [unrolled: 1-line block ×3, first 2 shown]
                                        ; implicit-def: $vgpr45
	s_and_saveexec_b64 s[28:29], vcc
	s_cbranch_execz .LBB57_68
; %bb.57:
	ds_read2_b32 v[30:31], v1 offset0:7 offset1:8
	s_mov_b32 s10, s4
	s_mov_b32 s11, s4
	v_add_u32_e32 v14, 8, v44
	v_cmp_ne_u32_e32 vcc, 0, v33
	s_mov_b32 s5, s4
	s_mov_b32 s6, s4
	;; [unrolled: 1-line block ×5, first 2 shown]
	v_pk_mov_b32 v[24:25], s[10:11], s[10:11] op_sel:[0,1]
	v_cndmask_b32_e64 v15, 0, 1, vcc
	v_cmp_gt_u32_e32 vcc, s52, v14
	s_waitcnt lgkmcnt(0)
	v_mov_b32_e32 v14, v30
	v_mov_b32_e32 v16, s4
	;; [unrolled: 1-line block ×3, first 2 shown]
	s_mov_b64 s[42:43], 0
	v_pk_mov_b32 v[22:23], s[8:9], s[8:9] op_sel:[0,1]
	v_pk_mov_b32 v[20:21], s[6:7], s[6:7] op_sel:[0,1]
	;; [unrolled: 1-line block ×3, first 2 shown]
                                        ; implicit-def: $vgpr45
	s_and_saveexec_b64 s[30:31], vcc
	s_cbranch_execz .LBB57_67
; %bb.58:
	v_add_u32_e32 v16, 9, v44
	v_cmp_ne_u32_e32 vcc, 0, v26
	v_pk_mov_b32 v[24:25], s[10:11], s[10:11] op_sel:[0,1]
	v_cndmask_b32_e64 v17, 0, 1, vcc
	v_cmp_gt_u32_e32 vcc, s52, v16
	v_mov_b32_e32 v16, v31
	v_pk_mov_b32 v[22:23], s[8:9], s[8:9] op_sel:[0,1]
	v_pk_mov_b32 v[20:21], s[6:7], s[6:7] op_sel:[0,1]
	;; [unrolled: 1-line block ×3, first 2 shown]
                                        ; implicit-def: $vgpr45
	s_and_saveexec_b64 s[4:5], vcc
	s_cbranch_execz .LBB57_66
; %bb.59:
	ds_read2_b32 v[30:31], v1 offset0:9 offset1:10
	v_add_u32_e32 v18, 10, v44
	v_cmp_ne_u32_e32 vcc, 0, v27
	v_mov_b32_e32 v22, 0
	v_cndmask_b32_e64 v19, 0, 1, vcc
	v_cmp_gt_u32_e32 vcc, s52, v18
	s_waitcnt lgkmcnt(0)
	v_mov_b32_e32 v18, v30
	v_mov_b32_e32 v20, v22
	;; [unrolled: 1-line block ×6, first 2 shown]
	s_mov_b64 s[8:9], 0
                                        ; implicit-def: $vgpr45
	s_and_saveexec_b64 s[6:7], vcc
	s_cbranch_execz .LBB57_65
; %bb.60:
	v_add_u32_e32 v18, 11, v44
	v_cmp_ne_u32_e32 vcc, 0, v28
	v_cndmask_b32_e64 v21, 0, 1, vcc
	v_cmp_gt_u32_e32 vcc, s52, v18
	v_mov_b32_e32 v18, v30
	v_mov_b32_e32 v20, v31
	;; [unrolled: 1-line block ×5, first 2 shown]
	s_mov_b64 s[10:11], 0
                                        ; implicit-def: $vgpr45
	s_and_saveexec_b64 s[8:9], vcc
	s_cbranch_execz .LBB57_64
; %bb.61:
	ds_read2_b32 v[26:27], v1 offset0:11 offset1:12
	s_mov_b32 s10, 0
	v_add_u32_e32 v22, 12, v44
	v_cmp_ne_u32_e32 vcc, 0, v29
	v_cndmask_b32_e64 v23, 0, 1, vcc
	v_cmp_gt_u32_e32 vcc, s52, v22
	s_waitcnt lgkmcnt(0)
	v_mov_b32_e32 v22, v26
	v_mov_b32_e32 v24, s10
	;; [unrolled: 1-line block ×3, first 2 shown]
	s_mov_b64 s[10:11], 0
                                        ; implicit-def: $vgpr45
	s_and_saveexec_b64 s[42:43], vcc
	s_xor_b64 s[42:43], exec, s[42:43]
	s_cbranch_execz .LBB57_63
; %bb.62:
	ds_read_b32 v45, v1 offset:52
	v_add_u32_e32 v1, 13, v44
	v_cmp_ne_u32_e32 vcc, 0, v42
	v_cndmask_b32_e64 v25, 0, 1, vcc
	v_cmp_gt_u32_e32 vcc, s52, v1
	v_mov_b32_e32 v24, v27
	s_and_b64 s[10:11], vcc, exec
.LBB57_63:
	s_or_b64 exec, exec, s[42:43]
	s_and_b64 s[10:11], s[10:11], exec
.LBB57_64:
	s_or_b64 exec, exec, s[8:9]
	s_and_b64 s[8:9], s[10:11], exec
.LBB57_65:
	s_or_b64 exec, exec, s[6:7]
	s_and_b64 s[42:43], s[8:9], exec
.LBB57_66:
	s_or_b64 exec, exec, s[4:5]
	s_and_b64 s[42:43], s[42:43], exec
.LBB57_67:
	s_or_b64 exec, exec, s[30:31]
	s_and_b64 s[30:31], s[42:43], exec
.LBB57_68:
	s_or_b64 exec, exec, s[28:29]
	s_and_b64 s[28:29], s[30:31], exec
.LBB57_69:
	s_or_b64 exec, exec, s[26:27]
	s_and_b64 s[26:27], s[28:29], exec
.LBB57_70:
	s_or_b64 exec, exec, s[24:25]
	s_and_b64 s[24:25], s[26:27], exec
.LBB57_71:
	s_or_b64 exec, exec, s[22:23]
	s_and_b64 s[22:23], s[24:25], exec
.LBB57_72:
	s_or_b64 exec, exec, s[20:21]
	s_and_b64 s[20:21], s[22:23], exec
.LBB57_73:
	s_or_b64 exec, exec, s[18:19]
	s_and_b64 s[18:19], s[20:21], exec
.LBB57_74:
	s_or_b64 exec, exec, s[16:17]
	s_and_b64 s[16:17], s[18:19], exec
.LBB57_75:
	s_or_b64 exec, exec, s[14:15]
	s_and_b64 vcc, exec, s[12:13]
	v_lshlrev_b32_e32 v50, 2, v0
	s_cbranch_vccnz .LBB57_77
	s_branch .LBB57_78
.LBB57_76:
	s_mov_b64 s[16:17], 0
                                        ; implicit-def: $vgpr2_vgpr3_vgpr4_vgpr5_vgpr6_vgpr7_vgpr8_vgpr9
                                        ; implicit-def: $vgpr10_vgpr11_vgpr12_vgpr13_vgpr14_vgpr15_vgpr16_vgpr17
                                        ; implicit-def: $vgpr18_vgpr19_vgpr20_vgpr21_vgpr22_vgpr23_vgpr24_vgpr25
                                        ; implicit-def: $vgpr43
                                        ; implicit-def: $vgpr45
                                        ; implicit-def: $vgpr38_vgpr39
	s_and_b64 vcc, exec, s[12:13]
	v_lshlrev_b32_e32 v50, 2, v0
	s_cbranch_vccz .LBB57_78
.LBB57_77:
	v_mov_b32_e32 v1, s35
	v_add_co_u32_e32 v2, vcc, s34, v50
	v_addc_co_u32_e32 v3, vcc, 0, v1, vcc
	v_add_co_u32_e32 v4, vcc, 0x1000, v2
	v_addc_co_u32_e32 v5, vcc, 0, v3, vcc
	flat_load_dword v1, v[2:3]
	flat_load_dword v10, v[2:3] offset:1024
	flat_load_dword v11, v[2:3] offset:2048
	;; [unrolled: 1-line block ×3, first 2 shown]
	flat_load_dword v13, v[4:5]
	flat_load_dword v14, v[4:5] offset:1024
	flat_load_dword v15, v[4:5] offset:2048
	;; [unrolled: 1-line block ×3, first 2 shown]
	v_add_co_u32_e32 v4, vcc, 0x2000, v2
	v_addc_co_u32_e32 v5, vcc, 0, v3, vcc
	v_add_co_u32_e32 v2, vcc, 0x3000, v2
	v_addc_co_u32_e32 v3, vcc, 0, v3, vcc
	flat_load_dword v17, v[4:5]
	flat_load_dword v18, v[4:5] offset:1024
	flat_load_dword v19, v[4:5] offset:2048
	;; [unrolled: 1-line block ×3, first 2 shown]
	flat_load_dword v21, v[2:3]
	flat_load_dword v22, v[2:3] offset:1024
	v_mov_b32_e32 v3, s45
	v_add_co_u32_e32 v2, vcc, s44, v50
	s_movk_i32 s4, 0x1000
	v_addc_co_u32_e32 v3, vcc, 0, v3, vcc
	v_add_co_u32_e32 v4, vcc, s4, v2
	s_movk_i32 s5, 0x2000
	v_addc_co_u32_e32 v5, vcc, 0, v3, vcc
	v_add_co_u32_e32 v6, vcc, s5, v2
	s_movk_i32 s6, 0x3000
	v_mad_u32_u24 v36, v0, 52, v50
	s_movk_i32 s7, 0xffcc
	v_addc_co_u32_e32 v7, vcc, 0, v3, vcc
	v_mad_i32_i24 v26, v0, s7, v36
	v_add_co_u32_e32 v8, vcc, s6, v2
	v_addc_co_u32_e32 v9, vcc, 0, v3, vcc
	s_or_b64 s[16:17], s[16:17], exec
                                        ; implicit-def: $sgpr12_sgpr13
	s_waitcnt vmcnt(0) lgkmcnt(0)
	ds_write2st64_b32 v50, v1, v10 offset1:4
	ds_write2st64_b32 v50, v11, v12 offset0:8 offset1:12
	ds_write2st64_b32 v50, v13, v14 offset0:16 offset1:20
	;; [unrolled: 1-line block ×6, first 2 shown]
	s_waitcnt lgkmcnt(0)
	s_barrier
	ds_read2_b32 v[42:43], v36 offset1:13
	ds_read2_b32 v[18:19], v36 offset0:9 offset1:10
	ds_read2_b32 v[20:21], v36 offset0:11 offset1:12
	;; [unrolled: 1-line block ×6, first 2 shown]
	s_waitcnt lgkmcnt(6)
	ds_write_b32 v26, v43 offset:14336
	s_waitcnt lgkmcnt(0)
	s_barrier
	s_barrier
	flat_load_dword v1, v[2:3]
	flat_load_dword v14, v[2:3] offset:1024
	flat_load_dword v16, v[2:3] offset:2048
	flat_load_dword v26, v[2:3] offset:3072
	flat_load_dword v27, v[4:5]
	flat_load_dword v28, v[4:5] offset:1024
	flat_load_dword v29, v[4:5] offset:2048
	flat_load_dword v30, v[4:5] offset:3072
	;; [unrolled: 4-line block ×3, first 2 shown]
	flat_load_dword v35, v[8:9]
	flat_load_dword v37, v[8:9] offset:1024
	v_cmp_ne_u32_e32 vcc, 0, v42
	v_cndmask_b32_e64 v39, 0, 1, vcc
	v_cmp_ne_u32_e32 vcc, 0, v11
	v_cndmask_b32_e64 v17, 0, 1, vcc
	v_cmp_ne_u32_e32 vcc, 0, v10
	v_cndmask_b32_e64 v15, 0, 1, vcc
	v_cmp_ne_u32_e32 vcc, 0, v13
	v_cndmask_b32_e64 v13, 0, 1, vcc
	v_cmp_ne_u32_e32 vcc, 0, v12
	v_cndmask_b32_e64 v11, 0, 1, vcc
	v_cmp_ne_u32_e32 vcc, 0, v25
	v_cndmask_b32_e64 v9, 0, 1, vcc
	v_cmp_ne_u32_e32 vcc, 0, v24
	v_cndmask_b32_e64 v7, 0, 1, vcc
	v_cmp_ne_u32_e32 vcc, 0, v23
	v_cndmask_b32_e64 v5, 0, 1, vcc
	v_cmp_ne_u32_e32 vcc, 0, v22
	v_cndmask_b32_e64 v3, 0, 1, vcc
	v_cmp_ne_u32_e32 vcc, 0, v21
	v_cndmask_b32_e64 v25, 0, 1, vcc
	v_cmp_ne_u32_e32 vcc, 0, v20
	v_cndmask_b32_e64 v23, 0, 1, vcc
	v_cmp_ne_u32_e32 vcc, 0, v19
	v_cndmask_b32_e64 v21, 0, 1, vcc
	v_cmp_ne_u32_e32 vcc, 0, v18
	v_cndmask_b32_e64 v19, 0, 1, vcc
	s_waitcnt vmcnt(0) lgkmcnt(0)
	ds_write2st64_b32 v50, v1, v14 offset1:4
	ds_write2st64_b32 v50, v16, v26 offset0:8 offset1:12
	ds_write2st64_b32 v50, v27, v28 offset0:16 offset1:20
	;; [unrolled: 1-line block ×6, first 2 shown]
	s_waitcnt lgkmcnt(0)
	s_barrier
	ds_read2_b32 v[26:27], v36 offset0:7 offset1:8
	ds_read2_b32 v[28:29], v36 offset0:5 offset1:6
	;; [unrolled: 1-line block ×4, first 2 shown]
	ds_read2_b32 v[44:45], v36 offset1:13
	ds_read2_b32 v[34:35], v36 offset0:11 offset1:12
	ds_read2_b32 v[36:37], v36 offset0:9 offset1:10
	s_waitcnt lgkmcnt(5)
	v_mov_b32_e32 v10, v28
	s_waitcnt lgkmcnt(4)
	v_mov_b32_e32 v6, v30
	;; [unrolled: 2-line block ×4, first 2 shown]
	v_mov_b32_e32 v4, v33
	v_mov_b32_e32 v8, v31
	;; [unrolled: 1-line block ×5, first 2 shown]
	s_waitcnt lgkmcnt(0)
	v_mov_b32_e32 v18, v36
	v_mov_b32_e32 v20, v37
	;; [unrolled: 1-line block ×4, first 2 shown]
.LBB57_78:
	v_pk_mov_b32 v[40:41], s[12:13], s[12:13] op_sel:[0,1]
	s_and_saveexec_b64 s[4:5], s[16:17]
	s_cbranch_execz .LBB57_80
; %bb.79:
	v_cmp_ne_u32_e32 vcc, 0, v43
	v_cndmask_b32_e64 v41, 0, 1, vcc
	s_waitcnt lgkmcnt(0)
	v_mov_b32_e32 v40, v45
.LBB57_80:
	s_or_b64 exec, exec, s[4:5]
	s_mov_b32 s4, 0
	s_cmp_lg_u32 s51, 0
	v_mbcnt_lo_u32_b32 v52, -1, 0
	v_lshrrev_b32_e32 v1, 6, v0
	v_or_b32_e32 v51, 63, v0
	s_waitcnt lgkmcnt(0)
	s_barrier
	s_cbranch_scc0 .LBB57_125
; %bb.81:
	s_mov_b32 s5, 1
	v_cmp_gt_u64_e64 s[6:7], s[4:5], v[2:3]
	v_cndmask_b32_e64 v27, 0, v38, s[6:7]
	v_add_u32_e32 v27, v27, v2
	v_cmp_gt_u64_e64 s[8:9], s[4:5], v[4:5]
	v_cndmask_b32_e64 v27, 0, v27, s[8:9]
	v_add_u32_e32 v27, v27, v4
	;; [unrolled: 3-line block ×13, first 2 shown]
	v_or3_b32 v27, v41, v25, v23
	v_or3_b32 v27, v27, v21, v19
	;; [unrolled: 1-line block ×6, first 2 shown]
	v_mov_b32_e32 v26, 0
	v_and_b32_e32 v27, 1, v27
	v_cmp_eq_u64_e32 vcc, 0, v[26:27]
	v_cndmask_b32_e32 v26, 1, v39, vcc
	v_mbcnt_hi_u32_b32 v46, -1, v52
	v_mov_b32_dpp v29, v28 row_shr:1 row_mask:0xf bank_mask:0xf
	v_mov_b32_dpp v30, v26 row_shr:1 row_mask:0xf bank_mask:0xf
	v_cmp_eq_u32_e32 vcc, 0, v26
	v_and_b32_e32 v31, 1, v26
	v_and_b32_e32 v27, 15, v46
	v_cndmask_b32_e32 v29, 0, v29, vcc
	v_and_b32_e32 v30, 1, v30
	v_cmp_eq_u32_e32 vcc, 1, v31
	v_cndmask_b32_e64 v30, v30, 1, vcc
	v_cmp_eq_u32_e32 vcc, 0, v27
	v_cndmask_b32_e32 v26, v30, v26, vcc
	v_and_b32_e32 v31, 1, v26
	v_cmp_eq_u32_e64 s[4:5], 1, v31
	v_mov_b32_dpp v30, v26 row_shr:2 row_mask:0xf bank_mask:0xf
	v_and_b32_e32 v30, 1, v30
	v_cndmask_b32_e64 v30, v30, 1, s[4:5]
	v_cmp_lt_u32_e64 s[4:5], 1, v27
	v_cndmask_b32_e64 v29, v29, 0, vcc
	v_cmp_eq_u32_e32 vcc, 0, v26
	v_cndmask_b32_e64 v26, v26, v30, s[4:5]
	v_add_u32_e32 v28, v29, v28
	v_and_b32_e32 v31, 1, v26
	v_mov_b32_dpp v30, v26 row_shr:4 row_mask:0xf bank_mask:0xf
	v_mov_b32_dpp v29, v28 row_shr:2 row_mask:0xf bank_mask:0xf
	s_and_b64 vcc, s[4:5], vcc
	v_and_b32_e32 v30, 1, v30
	v_cmp_eq_u32_e64 s[4:5], 1, v31
	v_cndmask_b32_e32 v29, 0, v29, vcc
	v_cndmask_b32_e64 v30, v30, 1, s[4:5]
	v_cmp_lt_u32_e64 s[4:5], 3, v27
	v_add_u32_e32 v28, v29, v28
	v_cmp_eq_u32_e32 vcc, 0, v26
	v_cndmask_b32_e64 v26, v26, v30, s[4:5]
	v_mov_b32_dpp v29, v28 row_shr:4 row_mask:0xf bank_mask:0xf
	s_and_b64 vcc, s[4:5], vcc
	v_mov_b32_dpp v30, v26 row_shr:8 row_mask:0xf bank_mask:0xf
	v_and_b32_e32 v31, 1, v26
	v_cndmask_b32_e32 v29, 0, v29, vcc
	v_and_b32_e32 v30, 1, v30
	v_cmp_eq_u32_e64 s[4:5], 1, v31
	v_add_u32_e32 v28, v29, v28
	v_cmp_eq_u32_e32 vcc, 0, v26
	v_cndmask_b32_e64 v30, v30, 1, s[4:5]
	v_cmp_lt_u32_e64 s[4:5], 7, v27
	v_mov_b32_dpp v29, v28 row_shr:8 row_mask:0xf bank_mask:0xf
	s_and_b64 vcc, s[4:5], vcc
	v_cndmask_b32_e32 v27, 0, v29, vcc
	v_cndmask_b32_e64 v26, v26, v30, s[4:5]
	v_add_u32_e32 v27, v27, v28
	v_cmp_eq_u32_e32 vcc, 0, v26
	v_mov_b32_dpp v29, v26 row_bcast:15 row_mask:0xf bank_mask:0xf
	v_mov_b32_dpp v28, v27 row_bcast:15 row_mask:0xf bank_mask:0xf
	v_and_b32_e32 v32, 1, v26
	v_and_b32_e32 v31, 16, v46
	v_cndmask_b32_e32 v28, 0, v28, vcc
	v_and_b32_e32 v29, 1, v29
	v_cmp_eq_u32_e32 vcc, 1, v32
	v_bfe_i32 v30, v46, 4, 1
	v_cndmask_b32_e64 v29, v29, 1, vcc
	v_cmp_eq_u32_e32 vcc, 0, v31
	v_and_b32_e32 v28, v30, v28
	v_cndmask_b32_e32 v26, v29, v26, vcc
	v_add_u32_e32 v27, v28, v27
	v_and_b32_e32 v30, 1, v26
	v_mov_b32_dpp v28, v26 row_bcast:31 row_mask:0xf bank_mask:0xf
	v_and_b32_e32 v28, 1, v28
	v_cmp_eq_u32_e64 s[4:5], 1, v30
	v_cmp_eq_u32_e32 vcc, 0, v26
	v_cndmask_b32_e64 v28, v28, 1, s[4:5]
	v_cmp_lt_u32_e64 s[4:5], 31, v46
	v_mov_b32_dpp v29, v27 row_bcast:31 row_mask:0xf bank_mask:0xf
	s_and_b64 vcc, s[4:5], vcc
	v_cndmask_b32_e64 v28, v26, v28, s[4:5]
	v_cndmask_b32_e32 v26, 0, v29, vcc
	v_add_u32_e32 v29, v26, v27
	v_cmp_eq_u32_e32 vcc, v51, v0
	s_and_saveexec_b64 s[4:5], vcc
	s_cbranch_execz .LBB57_83
; %bb.82:
	v_lshlrev_b32_e32 v26, 3, v1
	ds_write_b32 v26, v29
	ds_write_b8 v26, v28 offset:4
.LBB57_83:
	s_or_b64 exec, exec, s[4:5]
	v_cmp_gt_u32_e32 vcc, 4, v0
	s_waitcnt lgkmcnt(0)
	s_barrier
	s_and_saveexec_b64 s[4:5], vcc
	s_cbranch_execz .LBB57_87
; %bb.84:
	v_lshlrev_b32_e32 v30, 3, v0
	ds_read_b64 v[26:27], v30
	v_and_b32_e32 v31, 3, v46
	v_cmp_ne_u32_e32 vcc, 0, v31
	s_waitcnt lgkmcnt(0)
	v_mov_b32_dpp v32, v26 row_shr:1 row_mask:0xf bank_mask:0xf
	v_mov_b32_dpp v34, v27 row_shr:1 row_mask:0xf bank_mask:0xf
	v_mov_b32_e32 v33, v27
	s_and_saveexec_b64 s[34:35], vcc
	s_cbranch_execz .LBB57_86
; %bb.85:
	v_and_b32_e32 v33, 1, v27
	v_and_b32_e32 v34, 1, v34
	v_cmp_eq_u32_e32 vcc, 1, v33
	v_mov_b32_e32 v33, 0
	v_cndmask_b32_e64 v34, v34, 1, vcc
	v_cmp_eq_u16_sdwa vcc, v27, v33 src0_sel:BYTE_0 src1_sel:DWORD
	v_cndmask_b32_e32 v32, 0, v32, vcc
	v_add_u32_e32 v26, v32, v26
	v_and_b32_e32 v32, 0xffff, v34
	s_movk_i32 s42, 0xff00
	v_and_or_b32 v33, v27, s42, v32
	v_mov_b32_e32 v27, v34
.LBB57_86:
	s_or_b64 exec, exec, s[34:35]
	v_mov_b32_dpp v33, v33 row_shr:2 row_mask:0xf bank_mask:0xf
	v_and_b32_e32 v34, 1, v27
	v_and_b32_e32 v33, 1, v33
	v_cmp_eq_u32_e32 vcc, 1, v34
	v_mov_b32_e32 v34, 0
	v_cndmask_b32_e64 v33, v33, 1, vcc
	v_cmp_eq_u16_sdwa s[34:35], v27, v34 src0_sel:BYTE_0 src1_sel:DWORD
	v_cmp_lt_u32_e32 vcc, 1, v31
	v_mov_b32_dpp v32, v26 row_shr:2 row_mask:0xf bank_mask:0xf
	v_cndmask_b32_e32 v27, v27, v33, vcc
	s_and_b64 vcc, vcc, s[34:35]
	v_cndmask_b32_e32 v31, 0, v32, vcc
	v_add_u32_e32 v26, v31, v26
	ds_write_b32 v30, v26
	ds_write_b8 v30, v27 offset:4
.LBB57_87:
	s_or_b64 exec, exec, s[4:5]
	v_cmp_gt_u32_e32 vcc, 64, v0
	v_cmp_lt_u32_e64 s[4:5], 63, v0
	v_mov_b32_e32 v42, 0
	v_mov_b32_e32 v43, 0
	s_waitcnt lgkmcnt(0)
	s_barrier
	s_and_saveexec_b64 s[34:35], s[4:5]
	s_cbranch_execz .LBB57_89
; %bb.88:
	v_lshl_add_u32 v26, v1, 3, -8
	ds_read_b32 v42, v26
	ds_read_u8 v43, v26 offset:4
	v_and_b32_e32 v27, 1, v28
	v_cmp_eq_u32_e64 s[4:5], 0, v28
	s_waitcnt lgkmcnt(1)
	v_cndmask_b32_e64 v26, 0, v42, s[4:5]
	v_cmp_eq_u32_e64 s[4:5], 1, v27
	v_add_u32_e32 v29, v26, v29
	s_waitcnt lgkmcnt(0)
	v_cndmask_b32_e64 v28, v43, 1, s[4:5]
.LBB57_89:
	s_or_b64 exec, exec, s[34:35]
	v_add_u32_e32 v26, -1, v46
	v_and_b32_e32 v27, 64, v46
	v_cmp_lt_i32_e64 s[4:5], v26, v27
	v_cndmask_b32_e64 v26, v26, v46, s[4:5]
	v_lshlrev_b32_e32 v26, 2, v26
	ds_bpermute_b32 v44, v26, v29
	ds_bpermute_b32 v45, v26, v28
	v_cmp_eq_u32_e64 s[34:35], 0, v46
	s_and_saveexec_b64 s[42:43], vcc
	s_cbranch_execz .LBB57_112
; %bb.90:
	v_mov_b32_e32 v29, 0
	ds_read_b64 v[26:27], v29 offset:24
	s_waitcnt lgkmcnt(0)
	v_readfirstlane_b32 s58, v27
	s_and_saveexec_b64 s[4:5], s[34:35]
	s_cbranch_execz .LBB57_92
; %bb.91:
	s_add_i32 s44, s51, 64
	s_mov_b32 s45, 0
	s_lshl_b64 s[52:53], s[44:45], 4
	s_add_u32 s52, s48, s52
	s_addc_u32 s53, s49, s53
	s_and_b32 s61, s58, 0xff000000
	s_mov_b32 s60, s45
	s_and_b32 s63, s58, 0xff0000
	s_mov_b32 s62, s45
	s_or_b64 s[60:61], s[62:63], s[60:61]
	s_and_b32 s63, s58, 0xff00
	s_or_b64 s[60:61], s[60:61], s[62:63]
	s_and_b32 s63, s58, 0xff
	s_or_b64 s[44:45], s[60:61], s[62:63]
	v_mov_b32_e32 v27, s45
	v_mov_b32_e32 v28, 1
	v_pk_mov_b32 v[30:31], s[52:53], s[52:53] op_sel:[0,1]
	;;#ASMSTART
	global_store_dwordx4 v[30:31], v[26:29] off	
s_waitcnt vmcnt(0)
	;;#ASMEND
.LBB57_92:
	s_or_b64 exec, exec, s[4:5]
	v_xad_u32 v34, v46, -1, s51
	v_add_u32_e32 v28, 64, v34
	v_lshlrev_b64 v[30:31], 4, v[28:29]
	v_mov_b32_e32 v27, s49
	v_add_co_u32_e32 v36, vcc, s48, v30
	v_addc_co_u32_e32 v37, vcc, v27, v31, vcc
	;;#ASMSTART
	global_load_dwordx4 v[30:33], v[36:37] off glc	
s_waitcnt vmcnt(0)
	;;#ASMEND
	v_and_b32_e32 v27, 0xff0000, v30
	v_or_b32_sdwa v27, v30, v27 dst_sel:DWORD dst_unused:UNUSED_PAD src0_sel:WORD_0 src1_sel:DWORD
	v_and_b32_e32 v28, 0xff000000, v30
	v_and_b32_e32 v30, 0xff, v31
	v_or3_b32 v31, 0, 0, v30
	v_or3_b32 v30, v27, v28, 0
	v_cmp_eq_u16_sdwa s[44:45], v32, v29 src0_sel:BYTE_0 src1_sel:DWORD
	s_and_saveexec_b64 s[4:5], s[44:45]
	s_cbranch_execz .LBB57_98
; %bb.93:
	s_mov_b32 s52, 1
	s_mov_b64 s[44:45], 0
	v_mov_b32_e32 v27, 0
.LBB57_94:                              ; =>This Loop Header: Depth=1
                                        ;     Child Loop BB57_95 Depth 2
	s_max_u32 s53, s52, 1
.LBB57_95:                              ;   Parent Loop BB57_94 Depth=1
                                        ; =>  This Inner Loop Header: Depth=2
	s_add_i32 s53, s53, -1
	s_cmp_eq_u32 s53, 0
	s_sleep 1
	s_cbranch_scc0 .LBB57_95
; %bb.96:                               ;   in Loop: Header=BB57_94 Depth=1
	s_cmp_lt_u32 s52, 32
	s_cselect_b64 s[60:61], -1, 0
	s_cmp_lg_u64 s[60:61], 0
	s_addc_u32 s52, s52, 0
	;;#ASMSTART
	global_load_dwordx4 v[30:33], v[36:37] off glc	
s_waitcnt vmcnt(0)
	;;#ASMEND
	v_cmp_ne_u16_sdwa s[60:61], v32, v27 src0_sel:BYTE_0 src1_sel:DWORD
	s_or_b64 s[44:45], s[60:61], s[44:45]
	s_andn2_b64 exec, exec, s[44:45]
	s_cbranch_execnz .LBB57_94
; %bb.97:
	s_or_b64 exec, exec, s[44:45]
	v_and_b32_e32 v31, 0xff, v31
.LBB57_98:
	s_or_b64 exec, exec, s[4:5]
	v_mov_b32_e32 v27, 2
	v_cmp_eq_u16_sdwa s[4:5], v32, v27 src0_sel:BYTE_0 src1_sel:DWORD
	v_lshlrev_b64 v[28:29], v46, -1
	v_and_b32_e32 v33, s5, v29
	v_or_b32_e32 v33, 0x80000000, v33
	v_and_b32_e32 v35, s4, v28
	v_ffbl_b32_e32 v33, v33
	v_and_b32_e32 v47, 63, v46
	v_add_u32_e32 v33, 32, v33
	v_ffbl_b32_e32 v35, v35
	v_cmp_ne_u32_e32 vcc, 63, v47
	v_min_u32_e32 v33, v35, v33
	v_addc_co_u32_e32 v35, vcc, 0, v46, vcc
	v_lshlrev_b32_e32 v48, 2, v35
	ds_bpermute_b32 v35, v48, v31
	ds_bpermute_b32 v36, v48, v30
	s_mov_b32 s44, 0
	v_and_b32_e32 v37, 1, v31
	s_mov_b32 s45, 1
	s_waitcnt lgkmcnt(1)
	v_and_b32_e32 v35, 1, v35
	v_cmp_eq_u32_e32 vcc, 1, v37
	v_cndmask_b32_e64 v35, v35, 1, vcc
	v_cmp_gt_u64_e32 vcc, s[44:45], v[30:31]
	v_cmp_lt_u32_e64 s[4:5], v47, v33
	s_and_b64 vcc, s[4:5], vcc
	v_and_b32_e32 v37, 0xffff, v35
	v_cndmask_b32_e64 v54, v31, v35, s[4:5]
	s_waitcnt lgkmcnt(0)
	v_cndmask_b32_e32 v35, 0, v36, vcc
	v_cmp_gt_u32_e32 vcc, 62, v47
	v_cndmask_b32_e64 v36, 0, 1, vcc
	v_lshlrev_b32_e32 v36, 1, v36
	v_cndmask_b32_e64 v31, v31, v37, s[4:5]
	v_add_lshl_u32 v49, v36, v46, 2
	ds_bpermute_b32 v36, v49, v31
	v_add_u32_e32 v30, v35, v30
	ds_bpermute_b32 v37, v49, v30
	v_and_b32_e32 v35, 1, v54
	v_cmp_eq_u32_e32 vcc, 1, v35
	s_waitcnt lgkmcnt(1)
	v_and_b32_e32 v36, 1, v36
	v_mov_b32_e32 v35, 0
	v_add_u32_e32 v53, 2, v47
	v_cndmask_b32_e64 v36, v36, 1, vcc
	v_cmp_eq_u16_sdwa vcc, v54, v35 src0_sel:BYTE_0 src1_sel:DWORD
	v_and_b32_e32 v55, 0xffff, v36
	s_waitcnt lgkmcnt(0)
	v_cndmask_b32_e32 v37, 0, v37, vcc
	v_cmp_gt_u32_e32 vcc, v53, v33
	v_cndmask_b32_e32 v36, v36, v54, vcc
	v_cndmask_b32_e64 v37, v37, 0, vcc
	v_cndmask_b32_e32 v31, v55, v31, vcc
	v_cmp_gt_u32_e32 vcc, 60, v47
	v_cndmask_b32_e64 v54, 0, 1, vcc
	v_lshlrev_b32_e32 v54, 2, v54
	v_add_lshl_u32 v54, v54, v46, 2
	ds_bpermute_b32 v56, v54, v31
	v_add_u32_e32 v30, v37, v30
	ds_bpermute_b32 v37, v54, v30
	v_and_b32_e32 v57, 1, v36
	v_cmp_eq_u32_e32 vcc, 1, v57
	s_waitcnt lgkmcnt(1)
	v_and_b32_e32 v56, 1, v56
	v_add_u32_e32 v55, 4, v47
	v_cndmask_b32_e64 v56, v56, 1, vcc
	v_cmp_eq_u16_sdwa vcc, v36, v35 src0_sel:BYTE_0 src1_sel:DWORD
	v_and_b32_e32 v57, 0xffff, v56
	s_waitcnt lgkmcnt(0)
	v_cndmask_b32_e32 v37, 0, v37, vcc
	v_cmp_gt_u32_e32 vcc, v55, v33
	v_cndmask_b32_e32 v36, v56, v36, vcc
	v_cndmask_b32_e64 v37, v37, 0, vcc
	v_cndmask_b32_e32 v31, v57, v31, vcc
	v_cmp_gt_u32_e32 vcc, 56, v47
	v_cndmask_b32_e64 v56, 0, 1, vcc
	v_lshlrev_b32_e32 v56, 3, v56
	v_add_lshl_u32 v56, v56, v46, 2
	ds_bpermute_b32 v58, v56, v31
	v_add_u32_e32 v30, v37, v30
	ds_bpermute_b32 v37, v56, v30
	v_and_b32_e32 v59, 1, v36
	v_cmp_eq_u32_e32 vcc, 1, v59
	s_waitcnt lgkmcnt(1)
	v_and_b32_e32 v58, 1, v58
	;; [unrolled: 21-line block ×4, first 2 shown]
	v_add_u32_e32 v62, 32, v47
	v_cndmask_b32_e64 v31, v31, 1, vcc
	v_cmp_eq_u16_sdwa vcc, v36, v35 src0_sel:BYTE_0 src1_sel:DWORD
	s_waitcnt lgkmcnt(0)
	v_cndmask_b32_e32 v37, 0, v37, vcc
	v_cmp_gt_u32_e32 vcc, v62, v33
	v_cndmask_b32_e64 v33, v37, 0, vcc
	v_cndmask_b32_e32 v31, v31, v36, vcc
	v_add_u32_e32 v30, v33, v30
	s_branch .LBB57_100
.LBB57_99:                              ;   in Loop: Header=BB57_100 Depth=1
	s_or_b64 exec, exec, s[4:5]
	v_cmp_eq_u16_sdwa s[4:5], v32, v27 src0_sel:BYTE_0 src1_sel:DWORD
	v_and_b32_e32 v33, s5, v29
	ds_bpermute_b32 v37, v48, v31
	v_or_b32_e32 v33, 0x80000000, v33
	v_and_b32_e32 v36, s4, v28
	v_ffbl_b32_e32 v33, v33
	v_add_u32_e32 v33, 32, v33
	v_ffbl_b32_e32 v36, v36
	v_min_u32_e32 v33, v36, v33
	ds_bpermute_b32 v36, v48, v30
	v_and_b32_e32 v63, 1, v31
	s_waitcnt lgkmcnt(1)
	v_and_b32_e32 v37, 1, v37
	v_cmp_eq_u32_e32 vcc, 1, v63
	v_cndmask_b32_e64 v37, v37, 1, vcc
	v_cmp_gt_u64_e32 vcc, s[44:45], v[30:31]
	v_and_b32_e32 v63, 0xffff, v37
	v_cmp_lt_u32_e64 s[4:5], v47, v33
	v_cndmask_b32_e64 v37, v31, v37, s[4:5]
	v_cndmask_b32_e64 v31, v31, v63, s[4:5]
	s_and_b64 vcc, s[4:5], vcc
	ds_bpermute_b32 v63, v49, v31
	s_waitcnt lgkmcnt(1)
	v_cndmask_b32_e32 v36, 0, v36, vcc
	v_add_u32_e32 v30, v36, v30
	ds_bpermute_b32 v36, v49, v30
	v_and_b32_e32 v64, 1, v37
	s_waitcnt lgkmcnt(1)
	v_and_b32_e32 v63, 1, v63
	v_cmp_eq_u32_e32 vcc, 1, v64
	v_cndmask_b32_e64 v63, v63, 1, vcc
	v_cmp_eq_u16_sdwa vcc, v37, v35 src0_sel:BYTE_0 src1_sel:DWORD
	v_and_b32_e32 v64, 0xffff, v63
	s_waitcnt lgkmcnt(0)
	v_cndmask_b32_e32 v36, 0, v36, vcc
	v_cmp_gt_u32_e32 vcc, v53, v33
	v_cndmask_b32_e32 v31, v64, v31, vcc
	v_cndmask_b32_e32 v37, v63, v37, vcc
	ds_bpermute_b32 v63, v54, v31
	v_cndmask_b32_e64 v36, v36, 0, vcc
	v_add_u32_e32 v30, v36, v30
	ds_bpermute_b32 v36, v54, v30
	v_and_b32_e32 v64, 1, v37
	s_waitcnt lgkmcnt(1)
	v_and_b32_e32 v63, 1, v63
	v_cmp_eq_u32_e32 vcc, 1, v64
	v_cndmask_b32_e64 v63, v63, 1, vcc
	v_cmp_eq_u16_sdwa vcc, v37, v35 src0_sel:BYTE_0 src1_sel:DWORD
	v_and_b32_e32 v64, 0xffff, v63
	s_waitcnt lgkmcnt(0)
	v_cndmask_b32_e32 v36, 0, v36, vcc
	v_cmp_gt_u32_e32 vcc, v55, v33
	v_cndmask_b32_e32 v31, v64, v31, vcc
	v_cndmask_b32_e32 v37, v63, v37, vcc
	ds_bpermute_b32 v63, v56, v31
	v_cndmask_b32_e64 v36, v36, 0, vcc
	;; [unrolled: 16-line block ×3, first 2 shown]
	v_add_u32_e32 v30, v36, v30
	ds_bpermute_b32 v36, v58, v30
	v_and_b32_e32 v64, 1, v37
	s_waitcnt lgkmcnt(1)
	v_and_b32_e32 v63, 1, v63
	v_cmp_eq_u32_e32 vcc, 1, v64
	v_cndmask_b32_e64 v63, v63, 1, vcc
	v_cmp_eq_u16_sdwa vcc, v37, v35 src0_sel:BYTE_0 src1_sel:DWORD
	v_and_b32_e32 v64, 0xffff, v63
	s_waitcnt lgkmcnt(0)
	v_cndmask_b32_e32 v36, 0, v36, vcc
	v_cmp_gt_u32_e32 vcc, v59, v33
	v_cndmask_b32_e64 v36, v36, 0, vcc
	v_cndmask_b32_e32 v31, v64, v31, vcc
	ds_bpermute_b32 v31, v61, v31
	v_add_u32_e32 v30, v36, v30
	ds_bpermute_b32 v36, v61, v30
	v_cndmask_b32_e32 v37, v63, v37, vcc
	v_and_b32_e32 v63, 1, v37
	v_cmp_eq_u32_e32 vcc, 1, v63
	s_waitcnt lgkmcnt(1)
	v_cndmask_b32_e64 v31, v31, 1, vcc
	v_cmp_eq_u16_sdwa vcc, v37, v35 src0_sel:BYTE_0 src1_sel:DWORD
	s_waitcnt lgkmcnt(0)
	v_cndmask_b32_e32 v36, 0, v36, vcc
	v_cmp_gt_u32_e32 vcc, v62, v33
	v_cndmask_b32_e64 v33, v36, 0, vcc
	v_cndmask_b32_e32 v31, v31, v37, vcc
	v_add_u32_e32 v30, v33, v30
	v_cmp_eq_u16_sdwa vcc, v46, v35 src0_sel:BYTE_0 src1_sel:DWORD
	v_and_b32_e32 v33, 1, v46
	v_cndmask_b32_e32 v30, 0, v30, vcc
	v_and_b32_e32 v31, 1, v31
	v_cmp_eq_u32_e32 vcc, 1, v33
	v_subrev_u32_e32 v34, 64, v34
	v_add_u32_e32 v30, v30, v60
	v_cndmask_b32_e64 v31, v31, 1, vcc
.LBB57_100:                             ; =>This Loop Header: Depth=1
                                        ;     Child Loop BB57_103 Depth 2
                                        ;       Child Loop BB57_104 Depth 3
	v_cmp_ne_u16_sdwa s[4:5], v32, v27 src0_sel:BYTE_0 src1_sel:DWORD
	v_mov_b32_e32 v46, v31
	v_cndmask_b32_e64 v31, 0, 1, s[4:5]
	;;#ASMSTART
	;;#ASMEND
	v_cmp_ne_u32_e32 vcc, 0, v31
	s_cmp_lg_u64 vcc, exec
	v_mov_b32_e32 v60, v30
	s_cbranch_scc1 .LBB57_107
; %bb.101:                              ;   in Loop: Header=BB57_100 Depth=1
	v_lshlrev_b64 v[30:31], 4, v[34:35]
	v_mov_b32_e32 v32, s49
	v_add_co_u32_e32 v36, vcc, s48, v30
	v_addc_co_u32_e32 v37, vcc, v32, v31, vcc
	;;#ASMSTART
	global_load_dwordx4 v[30:33], v[36:37] off glc	
s_waitcnt vmcnt(0)
	;;#ASMEND
	v_and_b32_e32 v33, 0xff0000, v30
	v_or_b32_sdwa v33, v30, v33 dst_sel:DWORD dst_unused:UNUSED_PAD src0_sel:WORD_0 src1_sel:DWORD
	v_and_b32_e32 v30, 0xff000000, v30
	v_and_b32_e32 v31, 0xff, v31
	v_or3_b32 v31, 0, 0, v31
	v_or3_b32 v30, v33, v30, 0
	v_cmp_eq_u16_sdwa s[52:53], v32, v35 src0_sel:BYTE_0 src1_sel:DWORD
	s_and_saveexec_b64 s[4:5], s[52:53]
	s_cbranch_execz .LBB57_99
; %bb.102:                              ;   in Loop: Header=BB57_100 Depth=1
	s_mov_b32 s59, 1
	s_mov_b64 s[52:53], 0
.LBB57_103:                             ;   Parent Loop BB57_100 Depth=1
                                        ; =>  This Loop Header: Depth=2
                                        ;       Child Loop BB57_104 Depth 3
	s_max_u32 s60, s59, 1
.LBB57_104:                             ;   Parent Loop BB57_100 Depth=1
                                        ;     Parent Loop BB57_103 Depth=2
                                        ; =>    This Inner Loop Header: Depth=3
	s_add_i32 s60, s60, -1
	s_cmp_eq_u32 s60, 0
	s_sleep 1
	s_cbranch_scc0 .LBB57_104
; %bb.105:                              ;   in Loop: Header=BB57_103 Depth=2
	s_cmp_lt_u32 s59, 32
	s_cselect_b64 s[60:61], -1, 0
	s_cmp_lg_u64 s[60:61], 0
	s_addc_u32 s59, s59, 0
	;;#ASMSTART
	global_load_dwordx4 v[30:33], v[36:37] off glc	
s_waitcnt vmcnt(0)
	;;#ASMEND
	v_cmp_ne_u16_sdwa s[60:61], v32, v35 src0_sel:BYTE_0 src1_sel:DWORD
	s_or_b64 s[52:53], s[60:61], s[52:53]
	s_andn2_b64 exec, exec, s[52:53]
	s_cbranch_execnz .LBB57_103
; %bb.106:                              ;   in Loop: Header=BB57_100 Depth=1
	s_or_b64 exec, exec, s[52:53]
	v_and_b32_e32 v31, 0xff, v31
	s_branch .LBB57_99
.LBB57_107:                             ;   in Loop: Header=BB57_100 Depth=1
                                        ; implicit-def: $vgpr31
                                        ; implicit-def: $vgpr30
                                        ; implicit-def: $vgpr32
	s_cbranch_execz .LBB57_100
; %bb.108:
	s_and_saveexec_b64 s[4:5], s[34:35]
	s_cbranch_execz .LBB57_110
; %bb.109:
	s_and_b32 s44, s58, 0xff
	s_cmp_eq_u32 s44, 0
	s_cselect_b64 vcc, -1, 0
	s_bitcmp1_b32 s58, 0
	s_mov_b32 s45, 0
	s_cselect_b64 s[52:53], -1, 0
	s_add_i32 s44, s51, 64
	s_lshl_b64 s[44:45], s[44:45], 4
	v_cndmask_b32_e32 v27, 0, v60, vcc
	s_add_u32 s44, s48, s44
	v_add_u32_e32 v26, v27, v26
	v_and_b32_e32 v27, 1, v46
	s_addc_u32 s45, s49, s45
	v_mov_b32_e32 v29, 0
	v_cndmask_b32_e64 v27, v27, 1, s[52:53]
	v_mov_b32_e32 v28, 2
	v_pk_mov_b32 v[30:31], s[44:45], s[44:45] op_sel:[0,1]
	;;#ASMSTART
	global_store_dwordx4 v[30:31], v[26:29] off	
s_waitcnt vmcnt(0)
	;;#ASMEND
.LBB57_110:
	s_or_b64 exec, exec, s[4:5]
	s_and_b64 exec, exec, s[0:1]
	s_cbranch_execz .LBB57_112
; %bb.111:
	v_mov_b32_e32 v26, 0
	ds_write_b32 v26, v60 offset:24
	ds_write_b8 v26, v46 offset:28
.LBB57_112:
	s_or_b64 exec, exec, s[42:43]
	s_mov_b32 s4, 0
	v_mov_b32_e32 v28, 0
	s_mov_b32 s5, 1
	s_waitcnt lgkmcnt(0)
	v_cndmask_b32_e64 v26, v45, v43, s[34:35]
	v_cndmask_b32_e64 v27, v44, v42, s[34:35]
	s_barrier
	ds_read_b32 v29, v28 offset:24
	v_cmp_gt_u64_e32 vcc, s[4:5], v[38:39]
	v_and_b32_e32 v30, 1, v39
	v_cndmask_b32_e32 v27, 0, v27, vcc
	v_and_b32_e32 v26, 1, v26
	v_cmp_eq_u32_e32 vcc, 1, v30
	v_cndmask_b32_e64 v26, v26, 1, vcc
	v_cndmask_b32_e64 v26, v26, v39, s[0:1]
	v_cmp_eq_u16_sdwa vcc, v26, v28 src0_sel:BYTE_0 src1_sel:DWORD
	v_cndmask_b32_e64 v27, v27, 0, s[0:1]
	s_waitcnt lgkmcnt(0)
	v_cndmask_b32_e32 v26, 0, v29, vcc
	v_add3_u32 v26, v27, v38, v26
	v_cndmask_b32_e64 v27, 0, v26, s[6:7]
	v_add_u32_e32 v27, v27, v2
	v_cndmask_b32_e64 v28, 0, v27, s[8:9]
	v_add_u32_e32 v42, v28, v4
	;; [unrolled: 2-line block ×13, first 2 shown]
	s_branch .LBB57_141
.LBB57_113:
	s_or_b64 exec, exec, s[4:5]
                                        ; implicit-def: $vgpr14
	s_and_saveexec_b64 s[4:5], s[6:7]
	s_cbranch_execz .LBB57_35
.LBB57_114:
	v_mov_b32_e32 v15, s45
	v_add_co_u32_e32 v14, vcc, s44, v12
	v_addc_co_u32_e32 v15, vcc, 0, v15, vcc
	flat_load_dword v14, v[14:15] offset:1024
	s_or_b64 exec, exec, s[4:5]
                                        ; implicit-def: $vgpr15
	s_and_saveexec_b64 s[4:5], s[8:9]
	s_cbranch_execnz .LBB57_36
.LBB57_115:
	s_or_b64 exec, exec, s[4:5]
                                        ; implicit-def: $vgpr16
	s_and_saveexec_b64 s[4:5], s[10:11]
	s_cbranch_execz .LBB57_37
.LBB57_116:
	v_mov_b32_e32 v17, s45
	v_add_co_u32_e32 v16, vcc, s44, v12
	v_addc_co_u32_e32 v17, vcc, 0, v17, vcc
	flat_load_dword v16, v[16:17] offset:3072
	s_or_b64 exec, exec, s[4:5]
                                        ; implicit-def: $vgpr17
	s_and_saveexec_b64 s[4:5], s[12:13]
	s_cbranch_execnz .LBB57_38
.LBB57_117:
	s_or_b64 exec, exec, s[4:5]
                                        ; implicit-def: $vgpr2
	s_and_saveexec_b64 s[4:5], s[14:15]
	s_cbranch_execz .LBB57_39
.LBB57_118:
	v_lshlrev_b32_e32 v2, 2, v3
	v_mov_b32_e32 v3, s45
	v_add_co_u32_e32 v2, vcc, s44, v2
	v_addc_co_u32_e32 v3, vcc, 0, v3, vcc
	flat_load_dword v2, v[2:3]
	s_or_b64 exec, exec, s[4:5]
                                        ; implicit-def: $vgpr3
	s_and_saveexec_b64 s[4:5], s[16:17]
	s_cbranch_execnz .LBB57_40
.LBB57_119:
	s_or_b64 exec, exec, s[4:5]
                                        ; implicit-def: $vgpr4
	s_and_saveexec_b64 s[4:5], s[18:19]
	s_cbranch_execz .LBB57_41
.LBB57_120:
	v_lshlrev_b32_e32 v4, 2, v5
	v_mov_b32_e32 v5, s45
	v_add_co_u32_e32 v4, vcc, s44, v4
	v_addc_co_u32_e32 v5, vcc, 0, v5, vcc
	flat_load_dword v4, v[4:5]
	s_or_b64 exec, exec, s[4:5]
                                        ; implicit-def: $vgpr5
	s_and_saveexec_b64 s[4:5], s[20:21]
	s_cbranch_execnz .LBB57_42
.LBB57_121:
	s_or_b64 exec, exec, s[4:5]
                                        ; implicit-def: $vgpr6
	s_and_saveexec_b64 s[4:5], s[22:23]
	s_cbranch_execz .LBB57_43
.LBB57_122:
	v_lshlrev_b32_e32 v6, 2, v7
	v_mov_b32_e32 v7, s45
	v_add_co_u32_e32 v6, vcc, s44, v6
	v_addc_co_u32_e32 v7, vcc, 0, v7, vcc
	flat_load_dword v6, v[6:7]
	s_or_b64 exec, exec, s[4:5]
                                        ; implicit-def: $vgpr7
	s_and_saveexec_b64 s[4:5], s[24:25]
	s_cbranch_execnz .LBB57_44
.LBB57_123:
	s_or_b64 exec, exec, s[4:5]
                                        ; implicit-def: $vgpr8
	s_and_saveexec_b64 s[4:5], s[26:27]
	s_cbranch_execz .LBB57_45
.LBB57_124:
	v_lshlrev_b32_e32 v8, 2, v9
	v_mov_b32_e32 v9, s45
	v_add_co_u32_e32 v8, vcc, s44, v8
	v_addc_co_u32_e32 v9, vcc, 0, v9, vcc
	flat_load_dword v8, v[8:9]
	s_or_b64 exec, exec, s[4:5]
                                        ; implicit-def: $vgpr9
	s_and_saveexec_b64 s[4:5], s[28:29]
	s_cbranch_execz .LBB57_47
	s_branch .LBB57_46
.LBB57_125:
                                        ; implicit-def: $vgpr49
                                        ; implicit-def: $vgpr47
                                        ; implicit-def: $vgpr45
                                        ; implicit-def: $vgpr43
                                        ; implicit-def: $vgpr34_vgpr35_vgpr36_vgpr37
                                        ; implicit-def: $vgpr30_vgpr31_vgpr32_vgpr33
                                        ; implicit-def: $vgpr26_vgpr27_vgpr28_vgpr29
	s_cbranch_execz .LBB57_141
; %bb.126:
	s_cmp_lg_u64 s[56:57], 0
	s_cselect_b32 s9, s55, 0
	s_cselect_b32 s8, s54, 0
	s_cmp_lg_u64 s[8:9], 0
	s_cselect_b64 s[6:7], -1, 0
	s_mov_b32 s4, 0
	s_and_b64 s[10:11], s[0:1], s[6:7]
	s_and_saveexec_b64 s[6:7], s[10:11]
	s_cbranch_execz .LBB57_128
; %bb.127:
	v_mov_b32_e32 v26, 0
	global_load_dword v28, v26, s[8:9]
	global_load_ubyte v29, v26, s[8:9] offset:4
	s_mov_b32 s5, 1
	v_and_b32_e32 v27, 1, v39
	v_cmp_gt_u64_e32 vcc, s[4:5], v[38:39]
	s_waitcnt vmcnt(1)
	v_cndmask_b32_e32 v28, 0, v28, vcc
	s_waitcnt vmcnt(0)
	v_and_b32_e32 v29, 1, v29
	v_cmp_eq_u64_e32 vcc, 0, v[26:27]
	v_add_u32_e32 v38, v28, v38
	v_cndmask_b32_e32 v39, 1, v29, vcc
.LBB57_128:
	s_or_b64 exec, exec, s[6:7]
	s_mov_b32 s5, 1
	v_cmp_gt_u64_e32 vcc, s[4:5], v[2:3]
	v_cndmask_b32_e32 v26, 0, v38, vcc
	v_add_u32_e32 v27, v26, v2
	v_cmp_gt_u64_e64 s[6:7], s[4:5], v[4:5]
	v_cndmask_b32_e64 v26, 0, v27, s[6:7]
	v_add_u32_e32 v42, v26, v4
	v_cmp_gt_u64_e64 s[8:9], s[4:5], v[6:7]
	v_cndmask_b32_e64 v26, 0, v42, s[8:9]
	;; [unrolled: 3-line block ×6, first 2 shown]
	v_add_u32_e32 v45, v26, v14
	v_cmp_gt_u64_e64 s[18:19], s[4:5], v[16:17]
	v_mov_b32_e32 v28, 0
	v_cndmask_b32_e64 v26, 0, v45, s[18:19]
	v_or3_b32 v7, v23, v15, v7
	v_add_u32_e32 v34, v26, v16
	v_cmp_gt_u64_e64 s[20:21], s[4:5], v[18:19]
	v_or3_b32 v9, v25, v17, v9
	v_and_b32_e32 v55, 1, v7
	v_mov_b32_e32 v54, v28
	v_cndmask_b32_e64 v26, 0, v34, s[20:21]
	v_or3_b32 v3, v19, v11, v3
	v_and_b32_e32 v37, 1, v9
	v_mov_b32_e32 v36, v28
	v_cmp_ne_u64_e64 s[30:31], 0, v[54:55]
	v_add_u32_e32 v35, v26, v18
	v_cmp_gt_u64_e64 s[22:23], s[4:5], v[20:21]
	v_or3_b32 v5, v21, v13, v5
	v_and_b32_e32 v29, 1, v3
	v_cndmask_b32_e64 v3, 0, 1, s[30:31]
	v_cmp_ne_u64_e64 s[30:31], 0, v[36:37]
	v_cndmask_b32_e64 v26, 0, v35, s[22:23]
	v_and_b32_e32 v33, 1, v5
	v_mov_b32_e32 v32, v28
	v_cndmask_b32_e64 v5, 0, 1, s[30:31]
	v_add_u32_e32 v46, v26, v20
	v_cmp_gt_u64_e64 s[24:25], s[4:5], v[22:23]
	v_lshlrev_b16_e32 v3, 2, v3
	v_lshlrev_b16_e32 v5, 3, v5
	v_cmp_ne_u64_e64 s[30:31], 0, v[32:33]
	v_cndmask_b32_e64 v26, 0, v46, s[24:25]
	v_or_b32_e32 v3, v5, v3
	v_cndmask_b32_e64 v5, 0, 1, s[30:31]
	v_cmp_ne_u64_e64 s[30:31], 0, v[28:29]
	v_add_u32_e32 v47, v26, v22
	v_cmp_gt_u64_e64 s[26:27], s[4:5], v[24:25]
	v_lshlrev_b16_e32 v5, 1, v5
	v_cndmask_b32_e64 v7, 0, 1, s[30:31]
	v_cndmask_b32_e64 v26, 0, v47, s[26:27]
	v_or_b32_e32 v5, v7, v5
	v_add_u32_e32 v48, v26, v24
	v_cmp_gt_u64_e64 s[28:29], s[4:5], v[40:41]
	v_and_b32_e32 v5, 3, v5
	v_cndmask_b32_e64 v26, 0, v48, s[28:29]
	v_or_b32_e32 v3, v5, v3
	v_add_u32_e32 v49, v26, v40
	v_and_b32_e32 v26, 1, v41
	v_and_b32_e32 v3, 15, v3
	v_cmp_eq_u32_e64 s[4:5], 1, v26
	v_cmp_ne_u16_e64 s[30:31], 0, v3
	s_or_b64 s[4:5], s[4:5], s[30:31]
	v_cndmask_b32_e64 v5, v39, 1, s[4:5]
	v_mbcnt_hi_u32_b32 v3, -1, v52
	v_mov_b32_dpp v9, v49 row_shr:1 row_mask:0xf bank_mask:0xf
	v_mov_b32_dpp v11, v5 row_shr:1 row_mask:0xf bank_mask:0xf
	v_cmp_eq_u32_e64 s[4:5], 0, v5
	v_and_b32_e32 v13, 1, v5
	v_and_b32_e32 v7, 15, v3
	v_cndmask_b32_e64 v9, 0, v9, s[4:5]
	v_and_b32_e32 v11, 1, v11
	v_cmp_eq_u32_e64 s[4:5], 1, v13
	v_cndmask_b32_e64 v11, v11, 1, s[4:5]
	v_cmp_eq_u32_e64 s[4:5], 0, v7
	v_cndmask_b32_e64 v5, v11, v5, s[4:5]
	v_and_b32_e32 v15, 1, v5
	v_cmp_eq_u32_e64 s[30:31], 1, v15
	v_mov_b32_dpp v13, v5 row_shr:2 row_mask:0xf bank_mask:0xf
	v_and_b32_e32 v13, 1, v13
	v_cndmask_b32_e64 v13, v13, 1, s[30:31]
	v_cmp_lt_u32_e64 s[30:31], 1, v7
	v_cndmask_b32_e64 v9, v9, 0, s[4:5]
	v_cmp_eq_u32_e64 s[4:5], 0, v5
	v_cndmask_b32_e64 v5, v5, v13, s[30:31]
	v_add_u32_e32 v9, v49, v9
	v_and_b32_e32 v15, 1, v5
	v_mov_b32_dpp v13, v5 row_shr:4 row_mask:0xf bank_mask:0xf
	v_mov_b32_dpp v11, v9 row_shr:2 row_mask:0xf bank_mask:0xf
	s_and_b64 s[4:5], s[30:31], s[4:5]
	v_and_b32_e32 v13, 1, v13
	v_cmp_eq_u32_e64 s[30:31], 1, v15
	v_cndmask_b32_e64 v11, 0, v11, s[4:5]
	v_cndmask_b32_e64 v13, v13, 1, s[30:31]
	v_cmp_lt_u32_e64 s[30:31], 3, v7
	v_add_u32_e32 v9, v9, v11
	v_cmp_eq_u32_e64 s[4:5], 0, v5
	v_cndmask_b32_e64 v5, v5, v13, s[30:31]
	v_mov_b32_dpp v11, v9 row_shr:4 row_mask:0xf bank_mask:0xf
	s_and_b64 s[4:5], s[30:31], s[4:5]
	v_mov_b32_dpp v13, v5 row_shr:8 row_mask:0xf bank_mask:0xf
	v_and_b32_e32 v15, 1, v5
	v_cndmask_b32_e64 v11, 0, v11, s[4:5]
	v_and_b32_e32 v13, 1, v13
	v_cmp_eq_u32_e64 s[30:31], 1, v15
	v_add_u32_e32 v9, v9, v11
	v_cmp_eq_u32_e64 s[4:5], 0, v5
	v_cndmask_b32_e64 v13, v13, 1, s[30:31]
	v_cmp_lt_u32_e64 s[30:31], 7, v7
	v_mov_b32_dpp v11, v9 row_shr:8 row_mask:0xf bank_mask:0xf
	s_and_b64 s[4:5], s[30:31], s[4:5]
	v_cndmask_b32_e64 v7, 0, v11, s[4:5]
	v_cndmask_b32_e64 v5, v5, v13, s[30:31]
	v_add_u32_e32 v7, v9, v7
	v_cmp_eq_u32_e64 s[4:5], 0, v5
	v_mov_b32_dpp v11, v5 row_bcast:15 row_mask:0xf bank_mask:0xf
	v_mov_b32_dpp v9, v7 row_bcast:15 row_mask:0xf bank_mask:0xf
	v_and_b32_e32 v17, 1, v5
	v_and_b32_e32 v15, 16, v3
	v_cndmask_b32_e64 v9, 0, v9, s[4:5]
	v_and_b32_e32 v11, 1, v11
	v_cmp_eq_u32_e64 s[4:5], 1, v17
	v_bfe_i32 v13, v3, 4, 1
	v_cndmask_b32_e64 v11, v11, 1, s[4:5]
	v_cmp_eq_u32_e64 s[4:5], 0, v15
	v_and_b32_e32 v9, v13, v9
	v_cndmask_b32_e64 v5, v11, v5, s[4:5]
	v_add_u32_e32 v9, v7, v9
	v_and_b32_e32 v13, 1, v5
	v_mov_b32_dpp v7, v5 row_bcast:31 row_mask:0xf bank_mask:0xf
	v_and_b32_e32 v7, 1, v7
	v_cmp_eq_u32_e64 s[30:31], 1, v13
	v_cmp_eq_u32_e64 s[4:5], 0, v5
	v_cndmask_b32_e64 v7, v7, 1, s[30:31]
	v_cmp_lt_u32_e64 s[30:31], 31, v3
	v_mov_b32_dpp v11, v9 row_bcast:31 row_mask:0xf bank_mask:0xf
	s_and_b64 s[4:5], s[30:31], s[4:5]
	v_cndmask_b32_e64 v7, v5, v7, s[30:31]
	v_cndmask_b32_e64 v5, 0, v11, s[4:5]
	v_add_u32_e32 v5, v9, v5
	v_cmp_eq_u32_e64 s[4:5], v51, v0
	s_and_saveexec_b64 s[30:31], s[4:5]
	s_cbranch_execz .LBB57_130
; %bb.129:
	v_lshlrev_b32_e32 v9, 3, v1
	ds_write_b32 v9, v5
	ds_write_b8 v9, v7 offset:4
.LBB57_130:
	s_or_b64 exec, exec, s[30:31]
	v_cmp_gt_u32_e64 s[4:5], 4, v0
	s_waitcnt lgkmcnt(0)
	s_barrier
	s_and_saveexec_b64 s[30:31], s[4:5]
	s_cbranch_execz .LBB57_134
; %bb.131:
	v_lshlrev_b32_e32 v9, 3, v0
	ds_read_b64 v[28:29], v9
	v_and_b32_e32 v11, 3, v3
	v_cmp_ne_u32_e64 s[4:5], 0, v11
	s_waitcnt lgkmcnt(0)
	v_mov_b32_dpp v13, v28 row_shr:1 row_mask:0xf bank_mask:0xf
	v_mov_b32_dpp v17, v29 row_shr:1 row_mask:0xf bank_mask:0xf
	v_mov_b32_e32 v15, v29
	s_and_saveexec_b64 s[34:35], s[4:5]
	s_cbranch_execz .LBB57_133
; %bb.132:
	v_and_b32_e32 v15, 1, v29
	v_and_b32_e32 v17, 1, v17
	v_cmp_eq_u32_e64 s[4:5], 1, v15
	v_mov_b32_e32 v15, 0
	v_cndmask_b32_e64 v17, v17, 1, s[4:5]
	v_cmp_eq_u16_sdwa s[4:5], v29, v15 src0_sel:BYTE_0 src1_sel:DWORD
	v_cndmask_b32_e64 v13, 0, v13, s[4:5]
	v_add_u32_e32 v28, v13, v28
	v_and_b32_e32 v13, 0xffff, v17
	s_movk_i32 s4, 0xff00
	v_and_or_b32 v15, v29, s4, v13
	v_mov_b32_e32 v29, v17
.LBB57_133:
	s_or_b64 exec, exec, s[34:35]
	v_mov_b32_dpp v15, v15 row_shr:2 row_mask:0xf bank_mask:0xf
	v_and_b32_e32 v17, 1, v29
	v_and_b32_e32 v15, 1, v15
	v_cmp_eq_u32_e64 s[4:5], 1, v17
	v_mov_b32_e32 v17, 0
	v_cndmask_b32_e64 v15, v15, 1, s[4:5]
	v_cmp_eq_u16_sdwa s[34:35], v29, v17 src0_sel:BYTE_0 src1_sel:DWORD
	v_cmp_lt_u32_e64 s[4:5], 1, v11
	v_mov_b32_dpp v13, v28 row_shr:2 row_mask:0xf bank_mask:0xf
	v_cndmask_b32_e64 v11, v29, v15, s[4:5]
	s_and_b64 s[4:5], s[4:5], s[34:35]
	v_cndmask_b32_e64 v13, 0, v13, s[4:5]
	v_add_u32_e32 v13, v13, v28
	ds_write_b32 v9, v13
	ds_write_b8 v9, v11 offset:4
.LBB57_134:
	s_or_b64 exec, exec, s[30:31]
	v_cmp_lt_u32_e64 s[4:5], 63, v0
	v_mov_b32_e32 v9, 0
	s_waitcnt lgkmcnt(0)
	s_barrier
	s_and_saveexec_b64 s[30:31], s[4:5]
	s_cbranch_execz .LBB57_136
; %bb.135:
	v_lshl_add_u32 v1, v1, 3, -8
	ds_read_b32 v9, v1
	v_cmp_eq_u32_e64 s[4:5], 0, v7
	s_waitcnt lgkmcnt(0)
	v_cndmask_b32_e64 v1, 0, v9, s[4:5]
	v_add_u32_e32 v5, v1, v5
.LBB57_136:
	s_or_b64 exec, exec, s[30:31]
	v_add_u32_e32 v1, -1, v3
	v_and_b32_e32 v7, 64, v3
	v_cmp_lt_i32_e64 s[4:5], v1, v7
	v_cndmask_b32_e64 v1, v1, v3, s[4:5]
	v_lshlrev_b32_e32 v1, 2, v1
	ds_bpermute_b32 v1, v1, v5
	s_and_saveexec_b64 s[30:31], s[36:37]
	s_cbranch_execz .LBB57_138
; %bb.137:
	v_and_b32_e32 v27, 0xff, v39
	v_mov_b32_e32 v26, 0
	v_cmp_eq_u32_e64 s[4:5], 0, v3
	s_waitcnt lgkmcnt(0)
	v_cndmask_b32_e64 v1, v1, v9, s[4:5]
	v_cmp_eq_u64_e64 s[4:5], 0, v[26:27]
	v_cndmask_b32_e64 v1, 0, v1, s[4:5]
	v_add_u32_e32 v38, v1, v38
	v_cndmask_b32_e32 v1, 0, v38, vcc
	v_add_u32_e32 v27, v1, v2
	v_cndmask_b32_e64 v1, 0, v27, s[6:7]
	v_add_u32_e32 v42, v1, v4
	v_cndmask_b32_e64 v1, 0, v42, s[8:9]
	;; [unrolled: 2-line block ×12, first 2 shown]
	v_add_u32_e32 v49, v1, v40
	;;#ASMSTART
	;;#ASMEND
.LBB57_138:
	s_or_b64 exec, exec, s[30:31]
	s_and_saveexec_b64 s[4:5], s[0:1]
	s_cbranch_execz .LBB57_140
; %bb.139:
	v_mov_b32_e32 v5, 0
	ds_read_b32 v2, v5 offset:24
	ds_read_u8 v3, v5 offset:28
	s_add_u32 s0, s48, 0x400
	s_addc_u32 s1, s49, 0
	v_mov_b32_e32 v4, 2
	v_pk_mov_b32 v[6:7], s[0:1], s[0:1] op_sel:[0,1]
	s_waitcnt lgkmcnt(0)
	;;#ASMSTART
	global_store_dwordx4 v[6:7], v[2:5] off	
s_waitcnt vmcnt(0)
	;;#ASMEND
.LBB57_140:
	s_or_b64 exec, exec, s[4:5]
	v_mov_b32_e32 v26, v38
.LBB57_141:
	s_add_u32 s0, s46, s38
	s_addc_u32 s1, s47, s39
	s_add_u32 s4, s0, s40
	s_waitcnt lgkmcnt(0)
	v_mul_u32_u24_e32 v1, 14, v0
	s_addc_u32 s5, s1, s41
	s_and_b64 vcc, exec, s[2:3]
	v_lshlrev_b32_e32 v2, 2, v1
	s_cbranch_vccz .LBB57_169
; %bb.142:
	s_movk_i32 s0, 0xffcc
	v_mad_i32_i24 v3, v0, s0, v2
	s_barrier
	ds_write2_b64 v2, v[26:27], v[42:43] offset1:1
	ds_write2_b64 v2, v[30:31], v[44:45] offset0:2 offset1:3
	ds_write2_b64 v2, v[34:35], v[46:47] offset0:4 offset1:5
	ds_write_b64 v2, v[48:49] offset:48
	s_waitcnt lgkmcnt(0)
	s_barrier
	ds_read2st64_b32 v[16:17], v3 offset0:4 offset1:8
	ds_read2st64_b32 v[14:15], v3 offset0:12 offset1:16
	;; [unrolled: 1-line block ×6, first 2 shown]
	ds_read_b32 v3, v3 offset:13312
	v_mov_b32_e32 v7, s5
	v_add_co_u32_e32 v6, vcc, s4, v50
	s_add_i32 s33, s33, s50
	v_addc_co_u32_e32 v7, vcc, 0, v7, vcc
	v_mov_b32_e32 v1, 0
	v_cmp_gt_u32_e32 vcc, s33, v0
	s_and_saveexec_b64 s[0:1], vcc
	s_cbranch_execz .LBB57_144
; %bb.143:
	v_mul_i32_i24_e32 v18, 0xffffffcc, v0
	v_add_u32_e32 v18, v2, v18
	ds_read_b32 v18, v18
	s_waitcnt lgkmcnt(0)
	flat_store_dword v[6:7], v18
.LBB57_144:
	s_or_b64 exec, exec, s[0:1]
	v_or_b32_e32 v18, 0x100, v0
	v_cmp_gt_u32_e32 vcc, s33, v18
	s_and_saveexec_b64 s[0:1], vcc
	s_cbranch_execz .LBB57_146
; %bb.145:
	s_waitcnt lgkmcnt(0)
	flat_store_dword v[6:7], v16 offset:1024
.LBB57_146:
	s_or_b64 exec, exec, s[0:1]
	s_waitcnt lgkmcnt(0)
	v_or_b32_e32 v16, 0x200, v0
	v_cmp_gt_u32_e32 vcc, s33, v16
	s_and_saveexec_b64 s[0:1], vcc
	s_cbranch_execz .LBB57_148
; %bb.147:
	flat_store_dword v[6:7], v17 offset:2048
.LBB57_148:
	s_or_b64 exec, exec, s[0:1]
	v_or_b32_e32 v16, 0x300, v0
	v_cmp_gt_u32_e32 vcc, s33, v16
	s_and_saveexec_b64 s[0:1], vcc
	s_cbranch_execz .LBB57_150
; %bb.149:
	flat_store_dword v[6:7], v14 offset:3072
.LBB57_150:
	s_or_b64 exec, exec, s[0:1]
	v_or_b32_e32 v14, 0x400, v0
	v_cmp_gt_u32_e32 vcc, s33, v14
	s_and_saveexec_b64 s[0:1], vcc
	s_cbranch_execz .LBB57_152
; %bb.151:
	v_add_co_u32_e32 v16, vcc, 0x1000, v6
	v_addc_co_u32_e32 v17, vcc, 0, v7, vcc
	flat_store_dword v[16:17], v15
.LBB57_152:
	s_or_b64 exec, exec, s[0:1]
	v_or_b32_e32 v14, 0x500, v0
	v_cmp_gt_u32_e32 vcc, s33, v14
	s_and_saveexec_b64 s[0:1], vcc
	s_cbranch_execz .LBB57_154
; %bb.153:
	v_add_co_u32_e32 v14, vcc, 0x1000, v6
	v_addc_co_u32_e32 v15, vcc, 0, v7, vcc
	flat_store_dword v[14:15], v12 offset:1024
.LBB57_154:
	s_or_b64 exec, exec, s[0:1]
	v_or_b32_e32 v12, 0x600, v0
	v_cmp_gt_u32_e32 vcc, s33, v12
	s_and_saveexec_b64 s[0:1], vcc
	s_cbranch_execz .LBB57_156
; %bb.155:
	v_add_co_u32_e32 v14, vcc, 0x1000, v6
	v_addc_co_u32_e32 v15, vcc, 0, v7, vcc
	flat_store_dword v[14:15], v13 offset:2048
.LBB57_156:
	;; [unrolled: 10-line block ×3, first 2 shown]
	s_or_b64 exec, exec, s[0:1]
	v_or_b32_e32 v10, 0x800, v0
	v_cmp_gt_u32_e32 vcc, s33, v10
	s_and_saveexec_b64 s[0:1], vcc
	s_cbranch_execz .LBB57_160
; %bb.159:
	v_add_co_u32_e32 v12, vcc, 0x2000, v6
	v_addc_co_u32_e32 v13, vcc, 0, v7, vcc
	flat_store_dword v[12:13], v11
.LBB57_160:
	s_or_b64 exec, exec, s[0:1]
	v_or_b32_e32 v10, 0x900, v0
	v_cmp_gt_u32_e32 vcc, s33, v10
	s_and_saveexec_b64 s[0:1], vcc
	s_cbranch_execz .LBB57_162
; %bb.161:
	v_add_co_u32_e32 v10, vcc, 0x2000, v6
	v_addc_co_u32_e32 v11, vcc, 0, v7, vcc
	flat_store_dword v[10:11], v8 offset:1024
.LBB57_162:
	s_or_b64 exec, exec, s[0:1]
	v_or_b32_e32 v8, 0xa00, v0
	v_cmp_gt_u32_e32 vcc, s33, v8
	s_and_saveexec_b64 s[0:1], vcc
	s_cbranch_execz .LBB57_164
; %bb.163:
	v_add_co_u32_e32 v10, vcc, 0x2000, v6
	v_addc_co_u32_e32 v11, vcc, 0, v7, vcc
	flat_store_dword v[10:11], v9 offset:2048
.LBB57_164:
	;; [unrolled: 10-line block ×3, first 2 shown]
	s_or_b64 exec, exec, s[0:1]
	v_or_b32_e32 v4, 0xc00, v0
	v_cmp_gt_u32_e32 vcc, s33, v4
	s_and_saveexec_b64 s[0:1], vcc
	s_cbranch_execz .LBB57_168
; %bb.167:
	v_add_co_u32_e32 v6, vcc, 0x3000, v6
	v_addc_co_u32_e32 v7, vcc, 0, v7, vcc
	flat_store_dword v[6:7], v5
.LBB57_168:
	s_or_b64 exec, exec, s[0:1]
	v_or_b32_e32 v4, 0xd00, v0
	v_cmp_gt_u32_e64 s[0:1], s33, v4
	s_branch .LBB57_171
.LBB57_169:
	s_mov_b64 s[0:1], 0
                                        ; implicit-def: $vgpr3
	s_cbranch_execz .LBB57_171
; %bb.170:
	s_movk_i32 s2, 0xffcc
	s_waitcnt lgkmcnt(0)
	s_barrier
	ds_write2_b64 v2, v[26:27], v[42:43] offset1:1
	ds_write2_b64 v2, v[30:31], v[44:45] offset0:2 offset1:3
	ds_write2_b64 v2, v[34:35], v[46:47] offset0:4 offset1:5
	ds_write_b64 v2, v[48:49] offset:48
	v_mad_i32_i24 v2, v0, s2, v2
	v_mov_b32_e32 v17, s5
	v_add_co_u32_e32 v16, vcc, s4, v50
	s_waitcnt lgkmcnt(0)
	s_barrier
	ds_read2st64_b32 v[4:5], v2 offset1:4
	ds_read2st64_b32 v[6:7], v2 offset0:8 offset1:12
	ds_read2st64_b32 v[8:9], v2 offset0:16 offset1:20
	;; [unrolled: 1-line block ×6, first 2 shown]
	v_addc_co_u32_e32 v17, vcc, 0, v17, vcc
	s_movk_i32 s2, 0x1000
	s_waitcnt lgkmcnt(0)
	flat_store_dword v[16:17], v4
	flat_store_dword v[16:17], v5 offset:1024
	flat_store_dword v[16:17], v6 offset:2048
	;; [unrolled: 1-line block ×3, first 2 shown]
	v_add_co_u32_e32 v4, vcc, s2, v16
	v_addc_co_u32_e32 v5, vcc, 0, v17, vcc
	flat_store_dword v[4:5], v8
	flat_store_dword v[4:5], v9 offset:1024
	flat_store_dword v[4:5], v10 offset:2048
	;; [unrolled: 1-line block ×3, first 2 shown]
	v_add_co_u32_e32 v4, vcc, 0x2000, v16
	v_addc_co_u32_e32 v5, vcc, 0, v17, vcc
	flat_store_dword v[4:5], v12
	flat_store_dword v[4:5], v13 offset:1024
	flat_store_dword v[4:5], v14 offset:2048
	;; [unrolled: 1-line block ×3, first 2 shown]
	v_add_co_u32_e32 v4, vcc, 0x3000, v16
	v_mov_b32_e32 v1, 0
	v_addc_co_u32_e32 v5, vcc, 0, v17, vcc
	s_or_b64 s[0:1], s[0:1], exec
	flat_store_dword v[4:5], v2
.LBB57_171:
	s_and_saveexec_b64 s[2:3], s[0:1]
	s_cbranch_execz .LBB57_173
; %bb.172:
	v_lshlrev_b64 v[0:1], 2, v[0:1]
	v_mov_b32_e32 v2, s5
	v_add_co_u32_e32 v0, vcc, s4, v0
	v_addc_co_u32_e32 v1, vcc, v2, v1, vcc
	v_add_co_u32_e32 v0, vcc, 0x3000, v0
	v_addc_co_u32_e32 v1, vcc, 0, v1, vcc
	flat_store_dword v[0:1], v3 offset:1024
	s_endpgm
.LBB57_173:
	s_endpgm
	.section	.rodata,"a",@progbits
	.p2align	6, 0x0
	.amdhsa_kernel _ZN7rocprim17ROCPRIM_400000_NS6detail17trampoline_kernelINS0_14default_configENS1_27scan_by_key_config_selectorIiiEEZZNS1_16scan_by_key_implILNS1_25lookback_scan_determinismE0ELb0ES3_N6thrust23THRUST_200600_302600_NS6detail15normal_iteratorINS9_10device_ptrIiEEEESE_SE_iNS9_4plusIvEE19head_flag_predicateIiEiEE10hipError_tPvRmT2_T3_T4_T5_mT6_T7_P12ihipStream_tbENKUlT_T0_E_clISt17integral_constantIbLb1EESZ_EEDaSU_SV_EUlSU_E_NS1_11comp_targetILNS1_3genE4ELNS1_11target_archE910ELNS1_3gpuE8ELNS1_3repE0EEENS1_30default_config_static_selectorELNS0_4arch9wavefront6targetE1EEEvT1_
		.amdhsa_group_segment_fixed_size 16384
		.amdhsa_private_segment_fixed_size 0
		.amdhsa_kernarg_size 112
		.amdhsa_user_sgpr_count 6
		.amdhsa_user_sgpr_private_segment_buffer 1
		.amdhsa_user_sgpr_dispatch_ptr 0
		.amdhsa_user_sgpr_queue_ptr 0
		.amdhsa_user_sgpr_kernarg_segment_ptr 1
		.amdhsa_user_sgpr_dispatch_id 0
		.amdhsa_user_sgpr_flat_scratch_init 0
		.amdhsa_user_sgpr_kernarg_preload_length 0
		.amdhsa_user_sgpr_kernarg_preload_offset 0
		.amdhsa_user_sgpr_private_segment_size 0
		.amdhsa_uses_dynamic_stack 0
		.amdhsa_system_sgpr_private_segment_wavefront_offset 0
		.amdhsa_system_sgpr_workgroup_id_x 1
		.amdhsa_system_sgpr_workgroup_id_y 0
		.amdhsa_system_sgpr_workgroup_id_z 0
		.amdhsa_system_sgpr_workgroup_info 0
		.amdhsa_system_vgpr_workitem_id 0
		.amdhsa_next_free_vgpr 65
		.amdhsa_next_free_sgpr 64
		.amdhsa_accum_offset 68
		.amdhsa_reserve_vcc 1
		.amdhsa_reserve_flat_scratch 0
		.amdhsa_float_round_mode_32 0
		.amdhsa_float_round_mode_16_64 0
		.amdhsa_float_denorm_mode_32 3
		.amdhsa_float_denorm_mode_16_64 3
		.amdhsa_dx10_clamp 1
		.amdhsa_ieee_mode 1
		.amdhsa_fp16_overflow 0
		.amdhsa_tg_split 0
		.amdhsa_exception_fp_ieee_invalid_op 0
		.amdhsa_exception_fp_denorm_src 0
		.amdhsa_exception_fp_ieee_div_zero 0
		.amdhsa_exception_fp_ieee_overflow 0
		.amdhsa_exception_fp_ieee_underflow 0
		.amdhsa_exception_fp_ieee_inexact 0
		.amdhsa_exception_int_div_zero 0
	.end_amdhsa_kernel
	.section	.text._ZN7rocprim17ROCPRIM_400000_NS6detail17trampoline_kernelINS0_14default_configENS1_27scan_by_key_config_selectorIiiEEZZNS1_16scan_by_key_implILNS1_25lookback_scan_determinismE0ELb0ES3_N6thrust23THRUST_200600_302600_NS6detail15normal_iteratorINS9_10device_ptrIiEEEESE_SE_iNS9_4plusIvEE19head_flag_predicateIiEiEE10hipError_tPvRmT2_T3_T4_T5_mT6_T7_P12ihipStream_tbENKUlT_T0_E_clISt17integral_constantIbLb1EESZ_EEDaSU_SV_EUlSU_E_NS1_11comp_targetILNS1_3genE4ELNS1_11target_archE910ELNS1_3gpuE8ELNS1_3repE0EEENS1_30default_config_static_selectorELNS0_4arch9wavefront6targetE1EEEvT1_,"axG",@progbits,_ZN7rocprim17ROCPRIM_400000_NS6detail17trampoline_kernelINS0_14default_configENS1_27scan_by_key_config_selectorIiiEEZZNS1_16scan_by_key_implILNS1_25lookback_scan_determinismE0ELb0ES3_N6thrust23THRUST_200600_302600_NS6detail15normal_iteratorINS9_10device_ptrIiEEEESE_SE_iNS9_4plusIvEE19head_flag_predicateIiEiEE10hipError_tPvRmT2_T3_T4_T5_mT6_T7_P12ihipStream_tbENKUlT_T0_E_clISt17integral_constantIbLb1EESZ_EEDaSU_SV_EUlSU_E_NS1_11comp_targetILNS1_3genE4ELNS1_11target_archE910ELNS1_3gpuE8ELNS1_3repE0EEENS1_30default_config_static_selectorELNS0_4arch9wavefront6targetE1EEEvT1_,comdat
.Lfunc_end57:
	.size	_ZN7rocprim17ROCPRIM_400000_NS6detail17trampoline_kernelINS0_14default_configENS1_27scan_by_key_config_selectorIiiEEZZNS1_16scan_by_key_implILNS1_25lookback_scan_determinismE0ELb0ES3_N6thrust23THRUST_200600_302600_NS6detail15normal_iteratorINS9_10device_ptrIiEEEESE_SE_iNS9_4plusIvEE19head_flag_predicateIiEiEE10hipError_tPvRmT2_T3_T4_T5_mT6_T7_P12ihipStream_tbENKUlT_T0_E_clISt17integral_constantIbLb1EESZ_EEDaSU_SV_EUlSU_E_NS1_11comp_targetILNS1_3genE4ELNS1_11target_archE910ELNS1_3gpuE8ELNS1_3repE0EEENS1_30default_config_static_selectorELNS0_4arch9wavefront6targetE1EEEvT1_, .Lfunc_end57-_ZN7rocprim17ROCPRIM_400000_NS6detail17trampoline_kernelINS0_14default_configENS1_27scan_by_key_config_selectorIiiEEZZNS1_16scan_by_key_implILNS1_25lookback_scan_determinismE0ELb0ES3_N6thrust23THRUST_200600_302600_NS6detail15normal_iteratorINS9_10device_ptrIiEEEESE_SE_iNS9_4plusIvEE19head_flag_predicateIiEiEE10hipError_tPvRmT2_T3_T4_T5_mT6_T7_P12ihipStream_tbENKUlT_T0_E_clISt17integral_constantIbLb1EESZ_EEDaSU_SV_EUlSU_E_NS1_11comp_targetILNS1_3genE4ELNS1_11target_archE910ELNS1_3gpuE8ELNS1_3repE0EEENS1_30default_config_static_selectorELNS0_4arch9wavefront6targetE1EEEvT1_
                                        ; -- End function
	.section	.AMDGPU.csdata,"",@progbits
; Kernel info:
; codeLenInByte = 10956
; NumSgprs: 68
; NumVgprs: 65
; NumAgprs: 0
; TotalNumVgprs: 65
; ScratchSize: 0
; MemoryBound: 0
; FloatMode: 240
; IeeeMode: 1
; LDSByteSize: 16384 bytes/workgroup (compile time only)
; SGPRBlocks: 8
; VGPRBlocks: 8
; NumSGPRsForWavesPerEU: 68
; NumVGPRsForWavesPerEU: 65
; AccumOffset: 68
; Occupancy: 4
; WaveLimiterHint : 1
; COMPUTE_PGM_RSRC2:SCRATCH_EN: 0
; COMPUTE_PGM_RSRC2:USER_SGPR: 6
; COMPUTE_PGM_RSRC2:TRAP_HANDLER: 0
; COMPUTE_PGM_RSRC2:TGID_X_EN: 1
; COMPUTE_PGM_RSRC2:TGID_Y_EN: 0
; COMPUTE_PGM_RSRC2:TGID_Z_EN: 0
; COMPUTE_PGM_RSRC2:TIDIG_COMP_CNT: 0
; COMPUTE_PGM_RSRC3_GFX90A:ACCUM_OFFSET: 16
; COMPUTE_PGM_RSRC3_GFX90A:TG_SPLIT: 0
	.section	.text._ZN7rocprim17ROCPRIM_400000_NS6detail17trampoline_kernelINS0_14default_configENS1_27scan_by_key_config_selectorIiiEEZZNS1_16scan_by_key_implILNS1_25lookback_scan_determinismE0ELb0ES3_N6thrust23THRUST_200600_302600_NS6detail15normal_iteratorINS9_10device_ptrIiEEEESE_SE_iNS9_4plusIvEE19head_flag_predicateIiEiEE10hipError_tPvRmT2_T3_T4_T5_mT6_T7_P12ihipStream_tbENKUlT_T0_E_clISt17integral_constantIbLb1EESZ_EEDaSU_SV_EUlSU_E_NS1_11comp_targetILNS1_3genE3ELNS1_11target_archE908ELNS1_3gpuE7ELNS1_3repE0EEENS1_30default_config_static_selectorELNS0_4arch9wavefront6targetE1EEEvT1_,"axG",@progbits,_ZN7rocprim17ROCPRIM_400000_NS6detail17trampoline_kernelINS0_14default_configENS1_27scan_by_key_config_selectorIiiEEZZNS1_16scan_by_key_implILNS1_25lookback_scan_determinismE0ELb0ES3_N6thrust23THRUST_200600_302600_NS6detail15normal_iteratorINS9_10device_ptrIiEEEESE_SE_iNS9_4plusIvEE19head_flag_predicateIiEiEE10hipError_tPvRmT2_T3_T4_T5_mT6_T7_P12ihipStream_tbENKUlT_T0_E_clISt17integral_constantIbLb1EESZ_EEDaSU_SV_EUlSU_E_NS1_11comp_targetILNS1_3genE3ELNS1_11target_archE908ELNS1_3gpuE7ELNS1_3repE0EEENS1_30default_config_static_selectorELNS0_4arch9wavefront6targetE1EEEvT1_,comdat
	.protected	_ZN7rocprim17ROCPRIM_400000_NS6detail17trampoline_kernelINS0_14default_configENS1_27scan_by_key_config_selectorIiiEEZZNS1_16scan_by_key_implILNS1_25lookback_scan_determinismE0ELb0ES3_N6thrust23THRUST_200600_302600_NS6detail15normal_iteratorINS9_10device_ptrIiEEEESE_SE_iNS9_4plusIvEE19head_flag_predicateIiEiEE10hipError_tPvRmT2_T3_T4_T5_mT6_T7_P12ihipStream_tbENKUlT_T0_E_clISt17integral_constantIbLb1EESZ_EEDaSU_SV_EUlSU_E_NS1_11comp_targetILNS1_3genE3ELNS1_11target_archE908ELNS1_3gpuE7ELNS1_3repE0EEENS1_30default_config_static_selectorELNS0_4arch9wavefront6targetE1EEEvT1_ ; -- Begin function _ZN7rocprim17ROCPRIM_400000_NS6detail17trampoline_kernelINS0_14default_configENS1_27scan_by_key_config_selectorIiiEEZZNS1_16scan_by_key_implILNS1_25lookback_scan_determinismE0ELb0ES3_N6thrust23THRUST_200600_302600_NS6detail15normal_iteratorINS9_10device_ptrIiEEEESE_SE_iNS9_4plusIvEE19head_flag_predicateIiEiEE10hipError_tPvRmT2_T3_T4_T5_mT6_T7_P12ihipStream_tbENKUlT_T0_E_clISt17integral_constantIbLb1EESZ_EEDaSU_SV_EUlSU_E_NS1_11comp_targetILNS1_3genE3ELNS1_11target_archE908ELNS1_3gpuE7ELNS1_3repE0EEENS1_30default_config_static_selectorELNS0_4arch9wavefront6targetE1EEEvT1_
	.globl	_ZN7rocprim17ROCPRIM_400000_NS6detail17trampoline_kernelINS0_14default_configENS1_27scan_by_key_config_selectorIiiEEZZNS1_16scan_by_key_implILNS1_25lookback_scan_determinismE0ELb0ES3_N6thrust23THRUST_200600_302600_NS6detail15normal_iteratorINS9_10device_ptrIiEEEESE_SE_iNS9_4plusIvEE19head_flag_predicateIiEiEE10hipError_tPvRmT2_T3_T4_T5_mT6_T7_P12ihipStream_tbENKUlT_T0_E_clISt17integral_constantIbLb1EESZ_EEDaSU_SV_EUlSU_E_NS1_11comp_targetILNS1_3genE3ELNS1_11target_archE908ELNS1_3gpuE7ELNS1_3repE0EEENS1_30default_config_static_selectorELNS0_4arch9wavefront6targetE1EEEvT1_
	.p2align	8
	.type	_ZN7rocprim17ROCPRIM_400000_NS6detail17trampoline_kernelINS0_14default_configENS1_27scan_by_key_config_selectorIiiEEZZNS1_16scan_by_key_implILNS1_25lookback_scan_determinismE0ELb0ES3_N6thrust23THRUST_200600_302600_NS6detail15normal_iteratorINS9_10device_ptrIiEEEESE_SE_iNS9_4plusIvEE19head_flag_predicateIiEiEE10hipError_tPvRmT2_T3_T4_T5_mT6_T7_P12ihipStream_tbENKUlT_T0_E_clISt17integral_constantIbLb1EESZ_EEDaSU_SV_EUlSU_E_NS1_11comp_targetILNS1_3genE3ELNS1_11target_archE908ELNS1_3gpuE7ELNS1_3repE0EEENS1_30default_config_static_selectorELNS0_4arch9wavefront6targetE1EEEvT1_,@function
_ZN7rocprim17ROCPRIM_400000_NS6detail17trampoline_kernelINS0_14default_configENS1_27scan_by_key_config_selectorIiiEEZZNS1_16scan_by_key_implILNS1_25lookback_scan_determinismE0ELb0ES3_N6thrust23THRUST_200600_302600_NS6detail15normal_iteratorINS9_10device_ptrIiEEEESE_SE_iNS9_4plusIvEE19head_flag_predicateIiEiEE10hipError_tPvRmT2_T3_T4_T5_mT6_T7_P12ihipStream_tbENKUlT_T0_E_clISt17integral_constantIbLb1EESZ_EEDaSU_SV_EUlSU_E_NS1_11comp_targetILNS1_3genE3ELNS1_11target_archE908ELNS1_3gpuE7ELNS1_3repE0EEENS1_30default_config_static_selectorELNS0_4arch9wavefront6targetE1EEEvT1_: ; @_ZN7rocprim17ROCPRIM_400000_NS6detail17trampoline_kernelINS0_14default_configENS1_27scan_by_key_config_selectorIiiEEZZNS1_16scan_by_key_implILNS1_25lookback_scan_determinismE0ELb0ES3_N6thrust23THRUST_200600_302600_NS6detail15normal_iteratorINS9_10device_ptrIiEEEESE_SE_iNS9_4plusIvEE19head_flag_predicateIiEiEE10hipError_tPvRmT2_T3_T4_T5_mT6_T7_P12ihipStream_tbENKUlT_T0_E_clISt17integral_constantIbLb1EESZ_EEDaSU_SV_EUlSU_E_NS1_11comp_targetILNS1_3genE3ELNS1_11target_archE908ELNS1_3gpuE7ELNS1_3repE0EEENS1_30default_config_static_selectorELNS0_4arch9wavefront6targetE1EEEvT1_
; %bb.0:
	.section	.rodata,"a",@progbits
	.p2align	6, 0x0
	.amdhsa_kernel _ZN7rocprim17ROCPRIM_400000_NS6detail17trampoline_kernelINS0_14default_configENS1_27scan_by_key_config_selectorIiiEEZZNS1_16scan_by_key_implILNS1_25lookback_scan_determinismE0ELb0ES3_N6thrust23THRUST_200600_302600_NS6detail15normal_iteratorINS9_10device_ptrIiEEEESE_SE_iNS9_4plusIvEE19head_flag_predicateIiEiEE10hipError_tPvRmT2_T3_T4_T5_mT6_T7_P12ihipStream_tbENKUlT_T0_E_clISt17integral_constantIbLb1EESZ_EEDaSU_SV_EUlSU_E_NS1_11comp_targetILNS1_3genE3ELNS1_11target_archE908ELNS1_3gpuE7ELNS1_3repE0EEENS1_30default_config_static_selectorELNS0_4arch9wavefront6targetE1EEEvT1_
		.amdhsa_group_segment_fixed_size 0
		.amdhsa_private_segment_fixed_size 0
		.amdhsa_kernarg_size 112
		.amdhsa_user_sgpr_count 6
		.amdhsa_user_sgpr_private_segment_buffer 1
		.amdhsa_user_sgpr_dispatch_ptr 0
		.amdhsa_user_sgpr_queue_ptr 0
		.amdhsa_user_sgpr_kernarg_segment_ptr 1
		.amdhsa_user_sgpr_dispatch_id 0
		.amdhsa_user_sgpr_flat_scratch_init 0
		.amdhsa_user_sgpr_kernarg_preload_length 0
		.amdhsa_user_sgpr_kernarg_preload_offset 0
		.amdhsa_user_sgpr_private_segment_size 0
		.amdhsa_uses_dynamic_stack 0
		.amdhsa_system_sgpr_private_segment_wavefront_offset 0
		.amdhsa_system_sgpr_workgroup_id_x 1
		.amdhsa_system_sgpr_workgroup_id_y 0
		.amdhsa_system_sgpr_workgroup_id_z 0
		.amdhsa_system_sgpr_workgroup_info 0
		.amdhsa_system_vgpr_workitem_id 0
		.amdhsa_next_free_vgpr 1
		.amdhsa_next_free_sgpr 0
		.amdhsa_accum_offset 4
		.amdhsa_reserve_vcc 0
		.amdhsa_reserve_flat_scratch 0
		.amdhsa_float_round_mode_32 0
		.amdhsa_float_round_mode_16_64 0
		.amdhsa_float_denorm_mode_32 3
		.amdhsa_float_denorm_mode_16_64 3
		.amdhsa_dx10_clamp 1
		.amdhsa_ieee_mode 1
		.amdhsa_fp16_overflow 0
		.amdhsa_tg_split 0
		.amdhsa_exception_fp_ieee_invalid_op 0
		.amdhsa_exception_fp_denorm_src 0
		.amdhsa_exception_fp_ieee_div_zero 0
		.amdhsa_exception_fp_ieee_overflow 0
		.amdhsa_exception_fp_ieee_underflow 0
		.amdhsa_exception_fp_ieee_inexact 0
		.amdhsa_exception_int_div_zero 0
	.end_amdhsa_kernel
	.section	.text._ZN7rocprim17ROCPRIM_400000_NS6detail17trampoline_kernelINS0_14default_configENS1_27scan_by_key_config_selectorIiiEEZZNS1_16scan_by_key_implILNS1_25lookback_scan_determinismE0ELb0ES3_N6thrust23THRUST_200600_302600_NS6detail15normal_iteratorINS9_10device_ptrIiEEEESE_SE_iNS9_4plusIvEE19head_flag_predicateIiEiEE10hipError_tPvRmT2_T3_T4_T5_mT6_T7_P12ihipStream_tbENKUlT_T0_E_clISt17integral_constantIbLb1EESZ_EEDaSU_SV_EUlSU_E_NS1_11comp_targetILNS1_3genE3ELNS1_11target_archE908ELNS1_3gpuE7ELNS1_3repE0EEENS1_30default_config_static_selectorELNS0_4arch9wavefront6targetE1EEEvT1_,"axG",@progbits,_ZN7rocprim17ROCPRIM_400000_NS6detail17trampoline_kernelINS0_14default_configENS1_27scan_by_key_config_selectorIiiEEZZNS1_16scan_by_key_implILNS1_25lookback_scan_determinismE0ELb0ES3_N6thrust23THRUST_200600_302600_NS6detail15normal_iteratorINS9_10device_ptrIiEEEESE_SE_iNS9_4plusIvEE19head_flag_predicateIiEiEE10hipError_tPvRmT2_T3_T4_T5_mT6_T7_P12ihipStream_tbENKUlT_T0_E_clISt17integral_constantIbLb1EESZ_EEDaSU_SV_EUlSU_E_NS1_11comp_targetILNS1_3genE3ELNS1_11target_archE908ELNS1_3gpuE7ELNS1_3repE0EEENS1_30default_config_static_selectorELNS0_4arch9wavefront6targetE1EEEvT1_,comdat
.Lfunc_end58:
	.size	_ZN7rocprim17ROCPRIM_400000_NS6detail17trampoline_kernelINS0_14default_configENS1_27scan_by_key_config_selectorIiiEEZZNS1_16scan_by_key_implILNS1_25lookback_scan_determinismE0ELb0ES3_N6thrust23THRUST_200600_302600_NS6detail15normal_iteratorINS9_10device_ptrIiEEEESE_SE_iNS9_4plusIvEE19head_flag_predicateIiEiEE10hipError_tPvRmT2_T3_T4_T5_mT6_T7_P12ihipStream_tbENKUlT_T0_E_clISt17integral_constantIbLb1EESZ_EEDaSU_SV_EUlSU_E_NS1_11comp_targetILNS1_3genE3ELNS1_11target_archE908ELNS1_3gpuE7ELNS1_3repE0EEENS1_30default_config_static_selectorELNS0_4arch9wavefront6targetE1EEEvT1_, .Lfunc_end58-_ZN7rocprim17ROCPRIM_400000_NS6detail17trampoline_kernelINS0_14default_configENS1_27scan_by_key_config_selectorIiiEEZZNS1_16scan_by_key_implILNS1_25lookback_scan_determinismE0ELb0ES3_N6thrust23THRUST_200600_302600_NS6detail15normal_iteratorINS9_10device_ptrIiEEEESE_SE_iNS9_4plusIvEE19head_flag_predicateIiEiEE10hipError_tPvRmT2_T3_T4_T5_mT6_T7_P12ihipStream_tbENKUlT_T0_E_clISt17integral_constantIbLb1EESZ_EEDaSU_SV_EUlSU_E_NS1_11comp_targetILNS1_3genE3ELNS1_11target_archE908ELNS1_3gpuE7ELNS1_3repE0EEENS1_30default_config_static_selectorELNS0_4arch9wavefront6targetE1EEEvT1_
                                        ; -- End function
	.section	.AMDGPU.csdata,"",@progbits
; Kernel info:
; codeLenInByte = 0
; NumSgprs: 4
; NumVgprs: 0
; NumAgprs: 0
; TotalNumVgprs: 0
; ScratchSize: 0
; MemoryBound: 0
; FloatMode: 240
; IeeeMode: 1
; LDSByteSize: 0 bytes/workgroup (compile time only)
; SGPRBlocks: 0
; VGPRBlocks: 0
; NumSGPRsForWavesPerEU: 4
; NumVGPRsForWavesPerEU: 1
; AccumOffset: 4
; Occupancy: 8
; WaveLimiterHint : 0
; COMPUTE_PGM_RSRC2:SCRATCH_EN: 0
; COMPUTE_PGM_RSRC2:USER_SGPR: 6
; COMPUTE_PGM_RSRC2:TRAP_HANDLER: 0
; COMPUTE_PGM_RSRC2:TGID_X_EN: 1
; COMPUTE_PGM_RSRC2:TGID_Y_EN: 0
; COMPUTE_PGM_RSRC2:TGID_Z_EN: 0
; COMPUTE_PGM_RSRC2:TIDIG_COMP_CNT: 0
; COMPUTE_PGM_RSRC3_GFX90A:ACCUM_OFFSET: 0
; COMPUTE_PGM_RSRC3_GFX90A:TG_SPLIT: 0
	.section	.text._ZN7rocprim17ROCPRIM_400000_NS6detail17trampoline_kernelINS0_14default_configENS1_27scan_by_key_config_selectorIiiEEZZNS1_16scan_by_key_implILNS1_25lookback_scan_determinismE0ELb0ES3_N6thrust23THRUST_200600_302600_NS6detail15normal_iteratorINS9_10device_ptrIiEEEESE_SE_iNS9_4plusIvEE19head_flag_predicateIiEiEE10hipError_tPvRmT2_T3_T4_T5_mT6_T7_P12ihipStream_tbENKUlT_T0_E_clISt17integral_constantIbLb1EESZ_EEDaSU_SV_EUlSU_E_NS1_11comp_targetILNS1_3genE2ELNS1_11target_archE906ELNS1_3gpuE6ELNS1_3repE0EEENS1_30default_config_static_selectorELNS0_4arch9wavefront6targetE1EEEvT1_,"axG",@progbits,_ZN7rocprim17ROCPRIM_400000_NS6detail17trampoline_kernelINS0_14default_configENS1_27scan_by_key_config_selectorIiiEEZZNS1_16scan_by_key_implILNS1_25lookback_scan_determinismE0ELb0ES3_N6thrust23THRUST_200600_302600_NS6detail15normal_iteratorINS9_10device_ptrIiEEEESE_SE_iNS9_4plusIvEE19head_flag_predicateIiEiEE10hipError_tPvRmT2_T3_T4_T5_mT6_T7_P12ihipStream_tbENKUlT_T0_E_clISt17integral_constantIbLb1EESZ_EEDaSU_SV_EUlSU_E_NS1_11comp_targetILNS1_3genE2ELNS1_11target_archE906ELNS1_3gpuE6ELNS1_3repE0EEENS1_30default_config_static_selectorELNS0_4arch9wavefront6targetE1EEEvT1_,comdat
	.protected	_ZN7rocprim17ROCPRIM_400000_NS6detail17trampoline_kernelINS0_14default_configENS1_27scan_by_key_config_selectorIiiEEZZNS1_16scan_by_key_implILNS1_25lookback_scan_determinismE0ELb0ES3_N6thrust23THRUST_200600_302600_NS6detail15normal_iteratorINS9_10device_ptrIiEEEESE_SE_iNS9_4plusIvEE19head_flag_predicateIiEiEE10hipError_tPvRmT2_T3_T4_T5_mT6_T7_P12ihipStream_tbENKUlT_T0_E_clISt17integral_constantIbLb1EESZ_EEDaSU_SV_EUlSU_E_NS1_11comp_targetILNS1_3genE2ELNS1_11target_archE906ELNS1_3gpuE6ELNS1_3repE0EEENS1_30default_config_static_selectorELNS0_4arch9wavefront6targetE1EEEvT1_ ; -- Begin function _ZN7rocprim17ROCPRIM_400000_NS6detail17trampoline_kernelINS0_14default_configENS1_27scan_by_key_config_selectorIiiEEZZNS1_16scan_by_key_implILNS1_25lookback_scan_determinismE0ELb0ES3_N6thrust23THRUST_200600_302600_NS6detail15normal_iteratorINS9_10device_ptrIiEEEESE_SE_iNS9_4plusIvEE19head_flag_predicateIiEiEE10hipError_tPvRmT2_T3_T4_T5_mT6_T7_P12ihipStream_tbENKUlT_T0_E_clISt17integral_constantIbLb1EESZ_EEDaSU_SV_EUlSU_E_NS1_11comp_targetILNS1_3genE2ELNS1_11target_archE906ELNS1_3gpuE6ELNS1_3repE0EEENS1_30default_config_static_selectorELNS0_4arch9wavefront6targetE1EEEvT1_
	.globl	_ZN7rocprim17ROCPRIM_400000_NS6detail17trampoline_kernelINS0_14default_configENS1_27scan_by_key_config_selectorIiiEEZZNS1_16scan_by_key_implILNS1_25lookback_scan_determinismE0ELb0ES3_N6thrust23THRUST_200600_302600_NS6detail15normal_iteratorINS9_10device_ptrIiEEEESE_SE_iNS9_4plusIvEE19head_flag_predicateIiEiEE10hipError_tPvRmT2_T3_T4_T5_mT6_T7_P12ihipStream_tbENKUlT_T0_E_clISt17integral_constantIbLb1EESZ_EEDaSU_SV_EUlSU_E_NS1_11comp_targetILNS1_3genE2ELNS1_11target_archE906ELNS1_3gpuE6ELNS1_3repE0EEENS1_30default_config_static_selectorELNS0_4arch9wavefront6targetE1EEEvT1_
	.p2align	8
	.type	_ZN7rocprim17ROCPRIM_400000_NS6detail17trampoline_kernelINS0_14default_configENS1_27scan_by_key_config_selectorIiiEEZZNS1_16scan_by_key_implILNS1_25lookback_scan_determinismE0ELb0ES3_N6thrust23THRUST_200600_302600_NS6detail15normal_iteratorINS9_10device_ptrIiEEEESE_SE_iNS9_4plusIvEE19head_flag_predicateIiEiEE10hipError_tPvRmT2_T3_T4_T5_mT6_T7_P12ihipStream_tbENKUlT_T0_E_clISt17integral_constantIbLb1EESZ_EEDaSU_SV_EUlSU_E_NS1_11comp_targetILNS1_3genE2ELNS1_11target_archE906ELNS1_3gpuE6ELNS1_3repE0EEENS1_30default_config_static_selectorELNS0_4arch9wavefront6targetE1EEEvT1_,@function
_ZN7rocprim17ROCPRIM_400000_NS6detail17trampoline_kernelINS0_14default_configENS1_27scan_by_key_config_selectorIiiEEZZNS1_16scan_by_key_implILNS1_25lookback_scan_determinismE0ELb0ES3_N6thrust23THRUST_200600_302600_NS6detail15normal_iteratorINS9_10device_ptrIiEEEESE_SE_iNS9_4plusIvEE19head_flag_predicateIiEiEE10hipError_tPvRmT2_T3_T4_T5_mT6_T7_P12ihipStream_tbENKUlT_T0_E_clISt17integral_constantIbLb1EESZ_EEDaSU_SV_EUlSU_E_NS1_11comp_targetILNS1_3genE2ELNS1_11target_archE906ELNS1_3gpuE6ELNS1_3repE0EEENS1_30default_config_static_selectorELNS0_4arch9wavefront6targetE1EEEvT1_: ; @_ZN7rocprim17ROCPRIM_400000_NS6detail17trampoline_kernelINS0_14default_configENS1_27scan_by_key_config_selectorIiiEEZZNS1_16scan_by_key_implILNS1_25lookback_scan_determinismE0ELb0ES3_N6thrust23THRUST_200600_302600_NS6detail15normal_iteratorINS9_10device_ptrIiEEEESE_SE_iNS9_4plusIvEE19head_flag_predicateIiEiEE10hipError_tPvRmT2_T3_T4_T5_mT6_T7_P12ihipStream_tbENKUlT_T0_E_clISt17integral_constantIbLb1EESZ_EEDaSU_SV_EUlSU_E_NS1_11comp_targetILNS1_3genE2ELNS1_11target_archE906ELNS1_3gpuE6ELNS1_3repE0EEENS1_30default_config_static_selectorELNS0_4arch9wavefront6targetE1EEEvT1_
; %bb.0:
	.section	.rodata,"a",@progbits
	.p2align	6, 0x0
	.amdhsa_kernel _ZN7rocprim17ROCPRIM_400000_NS6detail17trampoline_kernelINS0_14default_configENS1_27scan_by_key_config_selectorIiiEEZZNS1_16scan_by_key_implILNS1_25lookback_scan_determinismE0ELb0ES3_N6thrust23THRUST_200600_302600_NS6detail15normal_iteratorINS9_10device_ptrIiEEEESE_SE_iNS9_4plusIvEE19head_flag_predicateIiEiEE10hipError_tPvRmT2_T3_T4_T5_mT6_T7_P12ihipStream_tbENKUlT_T0_E_clISt17integral_constantIbLb1EESZ_EEDaSU_SV_EUlSU_E_NS1_11comp_targetILNS1_3genE2ELNS1_11target_archE906ELNS1_3gpuE6ELNS1_3repE0EEENS1_30default_config_static_selectorELNS0_4arch9wavefront6targetE1EEEvT1_
		.amdhsa_group_segment_fixed_size 0
		.amdhsa_private_segment_fixed_size 0
		.amdhsa_kernarg_size 112
		.amdhsa_user_sgpr_count 6
		.amdhsa_user_sgpr_private_segment_buffer 1
		.amdhsa_user_sgpr_dispatch_ptr 0
		.amdhsa_user_sgpr_queue_ptr 0
		.amdhsa_user_sgpr_kernarg_segment_ptr 1
		.amdhsa_user_sgpr_dispatch_id 0
		.amdhsa_user_sgpr_flat_scratch_init 0
		.amdhsa_user_sgpr_kernarg_preload_length 0
		.amdhsa_user_sgpr_kernarg_preload_offset 0
		.amdhsa_user_sgpr_private_segment_size 0
		.amdhsa_uses_dynamic_stack 0
		.amdhsa_system_sgpr_private_segment_wavefront_offset 0
		.amdhsa_system_sgpr_workgroup_id_x 1
		.amdhsa_system_sgpr_workgroup_id_y 0
		.amdhsa_system_sgpr_workgroup_id_z 0
		.amdhsa_system_sgpr_workgroup_info 0
		.amdhsa_system_vgpr_workitem_id 0
		.amdhsa_next_free_vgpr 1
		.amdhsa_next_free_sgpr 0
		.amdhsa_accum_offset 4
		.amdhsa_reserve_vcc 0
		.amdhsa_reserve_flat_scratch 0
		.amdhsa_float_round_mode_32 0
		.amdhsa_float_round_mode_16_64 0
		.amdhsa_float_denorm_mode_32 3
		.amdhsa_float_denorm_mode_16_64 3
		.amdhsa_dx10_clamp 1
		.amdhsa_ieee_mode 1
		.amdhsa_fp16_overflow 0
		.amdhsa_tg_split 0
		.amdhsa_exception_fp_ieee_invalid_op 0
		.amdhsa_exception_fp_denorm_src 0
		.amdhsa_exception_fp_ieee_div_zero 0
		.amdhsa_exception_fp_ieee_overflow 0
		.amdhsa_exception_fp_ieee_underflow 0
		.amdhsa_exception_fp_ieee_inexact 0
		.amdhsa_exception_int_div_zero 0
	.end_amdhsa_kernel
	.section	.text._ZN7rocprim17ROCPRIM_400000_NS6detail17trampoline_kernelINS0_14default_configENS1_27scan_by_key_config_selectorIiiEEZZNS1_16scan_by_key_implILNS1_25lookback_scan_determinismE0ELb0ES3_N6thrust23THRUST_200600_302600_NS6detail15normal_iteratorINS9_10device_ptrIiEEEESE_SE_iNS9_4plusIvEE19head_flag_predicateIiEiEE10hipError_tPvRmT2_T3_T4_T5_mT6_T7_P12ihipStream_tbENKUlT_T0_E_clISt17integral_constantIbLb1EESZ_EEDaSU_SV_EUlSU_E_NS1_11comp_targetILNS1_3genE2ELNS1_11target_archE906ELNS1_3gpuE6ELNS1_3repE0EEENS1_30default_config_static_selectorELNS0_4arch9wavefront6targetE1EEEvT1_,"axG",@progbits,_ZN7rocprim17ROCPRIM_400000_NS6detail17trampoline_kernelINS0_14default_configENS1_27scan_by_key_config_selectorIiiEEZZNS1_16scan_by_key_implILNS1_25lookback_scan_determinismE0ELb0ES3_N6thrust23THRUST_200600_302600_NS6detail15normal_iteratorINS9_10device_ptrIiEEEESE_SE_iNS9_4plusIvEE19head_flag_predicateIiEiEE10hipError_tPvRmT2_T3_T4_T5_mT6_T7_P12ihipStream_tbENKUlT_T0_E_clISt17integral_constantIbLb1EESZ_EEDaSU_SV_EUlSU_E_NS1_11comp_targetILNS1_3genE2ELNS1_11target_archE906ELNS1_3gpuE6ELNS1_3repE0EEENS1_30default_config_static_selectorELNS0_4arch9wavefront6targetE1EEEvT1_,comdat
.Lfunc_end59:
	.size	_ZN7rocprim17ROCPRIM_400000_NS6detail17trampoline_kernelINS0_14default_configENS1_27scan_by_key_config_selectorIiiEEZZNS1_16scan_by_key_implILNS1_25lookback_scan_determinismE0ELb0ES3_N6thrust23THRUST_200600_302600_NS6detail15normal_iteratorINS9_10device_ptrIiEEEESE_SE_iNS9_4plusIvEE19head_flag_predicateIiEiEE10hipError_tPvRmT2_T3_T4_T5_mT6_T7_P12ihipStream_tbENKUlT_T0_E_clISt17integral_constantIbLb1EESZ_EEDaSU_SV_EUlSU_E_NS1_11comp_targetILNS1_3genE2ELNS1_11target_archE906ELNS1_3gpuE6ELNS1_3repE0EEENS1_30default_config_static_selectorELNS0_4arch9wavefront6targetE1EEEvT1_, .Lfunc_end59-_ZN7rocprim17ROCPRIM_400000_NS6detail17trampoline_kernelINS0_14default_configENS1_27scan_by_key_config_selectorIiiEEZZNS1_16scan_by_key_implILNS1_25lookback_scan_determinismE0ELb0ES3_N6thrust23THRUST_200600_302600_NS6detail15normal_iteratorINS9_10device_ptrIiEEEESE_SE_iNS9_4plusIvEE19head_flag_predicateIiEiEE10hipError_tPvRmT2_T3_T4_T5_mT6_T7_P12ihipStream_tbENKUlT_T0_E_clISt17integral_constantIbLb1EESZ_EEDaSU_SV_EUlSU_E_NS1_11comp_targetILNS1_3genE2ELNS1_11target_archE906ELNS1_3gpuE6ELNS1_3repE0EEENS1_30default_config_static_selectorELNS0_4arch9wavefront6targetE1EEEvT1_
                                        ; -- End function
	.section	.AMDGPU.csdata,"",@progbits
; Kernel info:
; codeLenInByte = 0
; NumSgprs: 4
; NumVgprs: 0
; NumAgprs: 0
; TotalNumVgprs: 0
; ScratchSize: 0
; MemoryBound: 0
; FloatMode: 240
; IeeeMode: 1
; LDSByteSize: 0 bytes/workgroup (compile time only)
; SGPRBlocks: 0
; VGPRBlocks: 0
; NumSGPRsForWavesPerEU: 4
; NumVGPRsForWavesPerEU: 1
; AccumOffset: 4
; Occupancy: 8
; WaveLimiterHint : 0
; COMPUTE_PGM_RSRC2:SCRATCH_EN: 0
; COMPUTE_PGM_RSRC2:USER_SGPR: 6
; COMPUTE_PGM_RSRC2:TRAP_HANDLER: 0
; COMPUTE_PGM_RSRC2:TGID_X_EN: 1
; COMPUTE_PGM_RSRC2:TGID_Y_EN: 0
; COMPUTE_PGM_RSRC2:TGID_Z_EN: 0
; COMPUTE_PGM_RSRC2:TIDIG_COMP_CNT: 0
; COMPUTE_PGM_RSRC3_GFX90A:ACCUM_OFFSET: 0
; COMPUTE_PGM_RSRC3_GFX90A:TG_SPLIT: 0
	.section	.text._ZN7rocprim17ROCPRIM_400000_NS6detail17trampoline_kernelINS0_14default_configENS1_27scan_by_key_config_selectorIiiEEZZNS1_16scan_by_key_implILNS1_25lookback_scan_determinismE0ELb0ES3_N6thrust23THRUST_200600_302600_NS6detail15normal_iteratorINS9_10device_ptrIiEEEESE_SE_iNS9_4plusIvEE19head_flag_predicateIiEiEE10hipError_tPvRmT2_T3_T4_T5_mT6_T7_P12ihipStream_tbENKUlT_T0_E_clISt17integral_constantIbLb1EESZ_EEDaSU_SV_EUlSU_E_NS1_11comp_targetILNS1_3genE10ELNS1_11target_archE1200ELNS1_3gpuE4ELNS1_3repE0EEENS1_30default_config_static_selectorELNS0_4arch9wavefront6targetE1EEEvT1_,"axG",@progbits,_ZN7rocprim17ROCPRIM_400000_NS6detail17trampoline_kernelINS0_14default_configENS1_27scan_by_key_config_selectorIiiEEZZNS1_16scan_by_key_implILNS1_25lookback_scan_determinismE0ELb0ES3_N6thrust23THRUST_200600_302600_NS6detail15normal_iteratorINS9_10device_ptrIiEEEESE_SE_iNS9_4plusIvEE19head_flag_predicateIiEiEE10hipError_tPvRmT2_T3_T4_T5_mT6_T7_P12ihipStream_tbENKUlT_T0_E_clISt17integral_constantIbLb1EESZ_EEDaSU_SV_EUlSU_E_NS1_11comp_targetILNS1_3genE10ELNS1_11target_archE1200ELNS1_3gpuE4ELNS1_3repE0EEENS1_30default_config_static_selectorELNS0_4arch9wavefront6targetE1EEEvT1_,comdat
	.protected	_ZN7rocprim17ROCPRIM_400000_NS6detail17trampoline_kernelINS0_14default_configENS1_27scan_by_key_config_selectorIiiEEZZNS1_16scan_by_key_implILNS1_25lookback_scan_determinismE0ELb0ES3_N6thrust23THRUST_200600_302600_NS6detail15normal_iteratorINS9_10device_ptrIiEEEESE_SE_iNS9_4plusIvEE19head_flag_predicateIiEiEE10hipError_tPvRmT2_T3_T4_T5_mT6_T7_P12ihipStream_tbENKUlT_T0_E_clISt17integral_constantIbLb1EESZ_EEDaSU_SV_EUlSU_E_NS1_11comp_targetILNS1_3genE10ELNS1_11target_archE1200ELNS1_3gpuE4ELNS1_3repE0EEENS1_30default_config_static_selectorELNS0_4arch9wavefront6targetE1EEEvT1_ ; -- Begin function _ZN7rocprim17ROCPRIM_400000_NS6detail17trampoline_kernelINS0_14default_configENS1_27scan_by_key_config_selectorIiiEEZZNS1_16scan_by_key_implILNS1_25lookback_scan_determinismE0ELb0ES3_N6thrust23THRUST_200600_302600_NS6detail15normal_iteratorINS9_10device_ptrIiEEEESE_SE_iNS9_4plusIvEE19head_flag_predicateIiEiEE10hipError_tPvRmT2_T3_T4_T5_mT6_T7_P12ihipStream_tbENKUlT_T0_E_clISt17integral_constantIbLb1EESZ_EEDaSU_SV_EUlSU_E_NS1_11comp_targetILNS1_3genE10ELNS1_11target_archE1200ELNS1_3gpuE4ELNS1_3repE0EEENS1_30default_config_static_selectorELNS0_4arch9wavefront6targetE1EEEvT1_
	.globl	_ZN7rocprim17ROCPRIM_400000_NS6detail17trampoline_kernelINS0_14default_configENS1_27scan_by_key_config_selectorIiiEEZZNS1_16scan_by_key_implILNS1_25lookback_scan_determinismE0ELb0ES3_N6thrust23THRUST_200600_302600_NS6detail15normal_iteratorINS9_10device_ptrIiEEEESE_SE_iNS9_4plusIvEE19head_flag_predicateIiEiEE10hipError_tPvRmT2_T3_T4_T5_mT6_T7_P12ihipStream_tbENKUlT_T0_E_clISt17integral_constantIbLb1EESZ_EEDaSU_SV_EUlSU_E_NS1_11comp_targetILNS1_3genE10ELNS1_11target_archE1200ELNS1_3gpuE4ELNS1_3repE0EEENS1_30default_config_static_selectorELNS0_4arch9wavefront6targetE1EEEvT1_
	.p2align	8
	.type	_ZN7rocprim17ROCPRIM_400000_NS6detail17trampoline_kernelINS0_14default_configENS1_27scan_by_key_config_selectorIiiEEZZNS1_16scan_by_key_implILNS1_25lookback_scan_determinismE0ELb0ES3_N6thrust23THRUST_200600_302600_NS6detail15normal_iteratorINS9_10device_ptrIiEEEESE_SE_iNS9_4plusIvEE19head_flag_predicateIiEiEE10hipError_tPvRmT2_T3_T4_T5_mT6_T7_P12ihipStream_tbENKUlT_T0_E_clISt17integral_constantIbLb1EESZ_EEDaSU_SV_EUlSU_E_NS1_11comp_targetILNS1_3genE10ELNS1_11target_archE1200ELNS1_3gpuE4ELNS1_3repE0EEENS1_30default_config_static_selectorELNS0_4arch9wavefront6targetE1EEEvT1_,@function
_ZN7rocprim17ROCPRIM_400000_NS6detail17trampoline_kernelINS0_14default_configENS1_27scan_by_key_config_selectorIiiEEZZNS1_16scan_by_key_implILNS1_25lookback_scan_determinismE0ELb0ES3_N6thrust23THRUST_200600_302600_NS6detail15normal_iteratorINS9_10device_ptrIiEEEESE_SE_iNS9_4plusIvEE19head_flag_predicateIiEiEE10hipError_tPvRmT2_T3_T4_T5_mT6_T7_P12ihipStream_tbENKUlT_T0_E_clISt17integral_constantIbLb1EESZ_EEDaSU_SV_EUlSU_E_NS1_11comp_targetILNS1_3genE10ELNS1_11target_archE1200ELNS1_3gpuE4ELNS1_3repE0EEENS1_30default_config_static_selectorELNS0_4arch9wavefront6targetE1EEEvT1_: ; @_ZN7rocprim17ROCPRIM_400000_NS6detail17trampoline_kernelINS0_14default_configENS1_27scan_by_key_config_selectorIiiEEZZNS1_16scan_by_key_implILNS1_25lookback_scan_determinismE0ELb0ES3_N6thrust23THRUST_200600_302600_NS6detail15normal_iteratorINS9_10device_ptrIiEEEESE_SE_iNS9_4plusIvEE19head_flag_predicateIiEiEE10hipError_tPvRmT2_T3_T4_T5_mT6_T7_P12ihipStream_tbENKUlT_T0_E_clISt17integral_constantIbLb1EESZ_EEDaSU_SV_EUlSU_E_NS1_11comp_targetILNS1_3genE10ELNS1_11target_archE1200ELNS1_3gpuE4ELNS1_3repE0EEENS1_30default_config_static_selectorELNS0_4arch9wavefront6targetE1EEEvT1_
; %bb.0:
	.section	.rodata,"a",@progbits
	.p2align	6, 0x0
	.amdhsa_kernel _ZN7rocprim17ROCPRIM_400000_NS6detail17trampoline_kernelINS0_14default_configENS1_27scan_by_key_config_selectorIiiEEZZNS1_16scan_by_key_implILNS1_25lookback_scan_determinismE0ELb0ES3_N6thrust23THRUST_200600_302600_NS6detail15normal_iteratorINS9_10device_ptrIiEEEESE_SE_iNS9_4plusIvEE19head_flag_predicateIiEiEE10hipError_tPvRmT2_T3_T4_T5_mT6_T7_P12ihipStream_tbENKUlT_T0_E_clISt17integral_constantIbLb1EESZ_EEDaSU_SV_EUlSU_E_NS1_11comp_targetILNS1_3genE10ELNS1_11target_archE1200ELNS1_3gpuE4ELNS1_3repE0EEENS1_30default_config_static_selectorELNS0_4arch9wavefront6targetE1EEEvT1_
		.amdhsa_group_segment_fixed_size 0
		.amdhsa_private_segment_fixed_size 0
		.amdhsa_kernarg_size 112
		.amdhsa_user_sgpr_count 6
		.amdhsa_user_sgpr_private_segment_buffer 1
		.amdhsa_user_sgpr_dispatch_ptr 0
		.amdhsa_user_sgpr_queue_ptr 0
		.amdhsa_user_sgpr_kernarg_segment_ptr 1
		.amdhsa_user_sgpr_dispatch_id 0
		.amdhsa_user_sgpr_flat_scratch_init 0
		.amdhsa_user_sgpr_kernarg_preload_length 0
		.amdhsa_user_sgpr_kernarg_preload_offset 0
		.amdhsa_user_sgpr_private_segment_size 0
		.amdhsa_uses_dynamic_stack 0
		.amdhsa_system_sgpr_private_segment_wavefront_offset 0
		.amdhsa_system_sgpr_workgroup_id_x 1
		.amdhsa_system_sgpr_workgroup_id_y 0
		.amdhsa_system_sgpr_workgroup_id_z 0
		.amdhsa_system_sgpr_workgroup_info 0
		.amdhsa_system_vgpr_workitem_id 0
		.amdhsa_next_free_vgpr 1
		.amdhsa_next_free_sgpr 0
		.amdhsa_accum_offset 4
		.amdhsa_reserve_vcc 0
		.amdhsa_reserve_flat_scratch 0
		.amdhsa_float_round_mode_32 0
		.amdhsa_float_round_mode_16_64 0
		.amdhsa_float_denorm_mode_32 3
		.amdhsa_float_denorm_mode_16_64 3
		.amdhsa_dx10_clamp 1
		.amdhsa_ieee_mode 1
		.amdhsa_fp16_overflow 0
		.amdhsa_tg_split 0
		.amdhsa_exception_fp_ieee_invalid_op 0
		.amdhsa_exception_fp_denorm_src 0
		.amdhsa_exception_fp_ieee_div_zero 0
		.amdhsa_exception_fp_ieee_overflow 0
		.amdhsa_exception_fp_ieee_underflow 0
		.amdhsa_exception_fp_ieee_inexact 0
		.amdhsa_exception_int_div_zero 0
	.end_amdhsa_kernel
	.section	.text._ZN7rocprim17ROCPRIM_400000_NS6detail17trampoline_kernelINS0_14default_configENS1_27scan_by_key_config_selectorIiiEEZZNS1_16scan_by_key_implILNS1_25lookback_scan_determinismE0ELb0ES3_N6thrust23THRUST_200600_302600_NS6detail15normal_iteratorINS9_10device_ptrIiEEEESE_SE_iNS9_4plusIvEE19head_flag_predicateIiEiEE10hipError_tPvRmT2_T3_T4_T5_mT6_T7_P12ihipStream_tbENKUlT_T0_E_clISt17integral_constantIbLb1EESZ_EEDaSU_SV_EUlSU_E_NS1_11comp_targetILNS1_3genE10ELNS1_11target_archE1200ELNS1_3gpuE4ELNS1_3repE0EEENS1_30default_config_static_selectorELNS0_4arch9wavefront6targetE1EEEvT1_,"axG",@progbits,_ZN7rocprim17ROCPRIM_400000_NS6detail17trampoline_kernelINS0_14default_configENS1_27scan_by_key_config_selectorIiiEEZZNS1_16scan_by_key_implILNS1_25lookback_scan_determinismE0ELb0ES3_N6thrust23THRUST_200600_302600_NS6detail15normal_iteratorINS9_10device_ptrIiEEEESE_SE_iNS9_4plusIvEE19head_flag_predicateIiEiEE10hipError_tPvRmT2_T3_T4_T5_mT6_T7_P12ihipStream_tbENKUlT_T0_E_clISt17integral_constantIbLb1EESZ_EEDaSU_SV_EUlSU_E_NS1_11comp_targetILNS1_3genE10ELNS1_11target_archE1200ELNS1_3gpuE4ELNS1_3repE0EEENS1_30default_config_static_selectorELNS0_4arch9wavefront6targetE1EEEvT1_,comdat
.Lfunc_end60:
	.size	_ZN7rocprim17ROCPRIM_400000_NS6detail17trampoline_kernelINS0_14default_configENS1_27scan_by_key_config_selectorIiiEEZZNS1_16scan_by_key_implILNS1_25lookback_scan_determinismE0ELb0ES3_N6thrust23THRUST_200600_302600_NS6detail15normal_iteratorINS9_10device_ptrIiEEEESE_SE_iNS9_4plusIvEE19head_flag_predicateIiEiEE10hipError_tPvRmT2_T3_T4_T5_mT6_T7_P12ihipStream_tbENKUlT_T0_E_clISt17integral_constantIbLb1EESZ_EEDaSU_SV_EUlSU_E_NS1_11comp_targetILNS1_3genE10ELNS1_11target_archE1200ELNS1_3gpuE4ELNS1_3repE0EEENS1_30default_config_static_selectorELNS0_4arch9wavefront6targetE1EEEvT1_, .Lfunc_end60-_ZN7rocprim17ROCPRIM_400000_NS6detail17trampoline_kernelINS0_14default_configENS1_27scan_by_key_config_selectorIiiEEZZNS1_16scan_by_key_implILNS1_25lookback_scan_determinismE0ELb0ES3_N6thrust23THRUST_200600_302600_NS6detail15normal_iteratorINS9_10device_ptrIiEEEESE_SE_iNS9_4plusIvEE19head_flag_predicateIiEiEE10hipError_tPvRmT2_T3_T4_T5_mT6_T7_P12ihipStream_tbENKUlT_T0_E_clISt17integral_constantIbLb1EESZ_EEDaSU_SV_EUlSU_E_NS1_11comp_targetILNS1_3genE10ELNS1_11target_archE1200ELNS1_3gpuE4ELNS1_3repE0EEENS1_30default_config_static_selectorELNS0_4arch9wavefront6targetE1EEEvT1_
                                        ; -- End function
	.section	.AMDGPU.csdata,"",@progbits
; Kernel info:
; codeLenInByte = 0
; NumSgprs: 4
; NumVgprs: 0
; NumAgprs: 0
; TotalNumVgprs: 0
; ScratchSize: 0
; MemoryBound: 0
; FloatMode: 240
; IeeeMode: 1
; LDSByteSize: 0 bytes/workgroup (compile time only)
; SGPRBlocks: 0
; VGPRBlocks: 0
; NumSGPRsForWavesPerEU: 4
; NumVGPRsForWavesPerEU: 1
; AccumOffset: 4
; Occupancy: 8
; WaveLimiterHint : 0
; COMPUTE_PGM_RSRC2:SCRATCH_EN: 0
; COMPUTE_PGM_RSRC2:USER_SGPR: 6
; COMPUTE_PGM_RSRC2:TRAP_HANDLER: 0
; COMPUTE_PGM_RSRC2:TGID_X_EN: 1
; COMPUTE_PGM_RSRC2:TGID_Y_EN: 0
; COMPUTE_PGM_RSRC2:TGID_Z_EN: 0
; COMPUTE_PGM_RSRC2:TIDIG_COMP_CNT: 0
; COMPUTE_PGM_RSRC3_GFX90A:ACCUM_OFFSET: 0
; COMPUTE_PGM_RSRC3_GFX90A:TG_SPLIT: 0
	.section	.text._ZN7rocprim17ROCPRIM_400000_NS6detail17trampoline_kernelINS0_14default_configENS1_27scan_by_key_config_selectorIiiEEZZNS1_16scan_by_key_implILNS1_25lookback_scan_determinismE0ELb0ES3_N6thrust23THRUST_200600_302600_NS6detail15normal_iteratorINS9_10device_ptrIiEEEESE_SE_iNS9_4plusIvEE19head_flag_predicateIiEiEE10hipError_tPvRmT2_T3_T4_T5_mT6_T7_P12ihipStream_tbENKUlT_T0_E_clISt17integral_constantIbLb1EESZ_EEDaSU_SV_EUlSU_E_NS1_11comp_targetILNS1_3genE9ELNS1_11target_archE1100ELNS1_3gpuE3ELNS1_3repE0EEENS1_30default_config_static_selectorELNS0_4arch9wavefront6targetE1EEEvT1_,"axG",@progbits,_ZN7rocprim17ROCPRIM_400000_NS6detail17trampoline_kernelINS0_14default_configENS1_27scan_by_key_config_selectorIiiEEZZNS1_16scan_by_key_implILNS1_25lookback_scan_determinismE0ELb0ES3_N6thrust23THRUST_200600_302600_NS6detail15normal_iteratorINS9_10device_ptrIiEEEESE_SE_iNS9_4plusIvEE19head_flag_predicateIiEiEE10hipError_tPvRmT2_T3_T4_T5_mT6_T7_P12ihipStream_tbENKUlT_T0_E_clISt17integral_constantIbLb1EESZ_EEDaSU_SV_EUlSU_E_NS1_11comp_targetILNS1_3genE9ELNS1_11target_archE1100ELNS1_3gpuE3ELNS1_3repE0EEENS1_30default_config_static_selectorELNS0_4arch9wavefront6targetE1EEEvT1_,comdat
	.protected	_ZN7rocprim17ROCPRIM_400000_NS6detail17trampoline_kernelINS0_14default_configENS1_27scan_by_key_config_selectorIiiEEZZNS1_16scan_by_key_implILNS1_25lookback_scan_determinismE0ELb0ES3_N6thrust23THRUST_200600_302600_NS6detail15normal_iteratorINS9_10device_ptrIiEEEESE_SE_iNS9_4plusIvEE19head_flag_predicateIiEiEE10hipError_tPvRmT2_T3_T4_T5_mT6_T7_P12ihipStream_tbENKUlT_T0_E_clISt17integral_constantIbLb1EESZ_EEDaSU_SV_EUlSU_E_NS1_11comp_targetILNS1_3genE9ELNS1_11target_archE1100ELNS1_3gpuE3ELNS1_3repE0EEENS1_30default_config_static_selectorELNS0_4arch9wavefront6targetE1EEEvT1_ ; -- Begin function _ZN7rocprim17ROCPRIM_400000_NS6detail17trampoline_kernelINS0_14default_configENS1_27scan_by_key_config_selectorIiiEEZZNS1_16scan_by_key_implILNS1_25lookback_scan_determinismE0ELb0ES3_N6thrust23THRUST_200600_302600_NS6detail15normal_iteratorINS9_10device_ptrIiEEEESE_SE_iNS9_4plusIvEE19head_flag_predicateIiEiEE10hipError_tPvRmT2_T3_T4_T5_mT6_T7_P12ihipStream_tbENKUlT_T0_E_clISt17integral_constantIbLb1EESZ_EEDaSU_SV_EUlSU_E_NS1_11comp_targetILNS1_3genE9ELNS1_11target_archE1100ELNS1_3gpuE3ELNS1_3repE0EEENS1_30default_config_static_selectorELNS0_4arch9wavefront6targetE1EEEvT1_
	.globl	_ZN7rocprim17ROCPRIM_400000_NS6detail17trampoline_kernelINS0_14default_configENS1_27scan_by_key_config_selectorIiiEEZZNS1_16scan_by_key_implILNS1_25lookback_scan_determinismE0ELb0ES3_N6thrust23THRUST_200600_302600_NS6detail15normal_iteratorINS9_10device_ptrIiEEEESE_SE_iNS9_4plusIvEE19head_flag_predicateIiEiEE10hipError_tPvRmT2_T3_T4_T5_mT6_T7_P12ihipStream_tbENKUlT_T0_E_clISt17integral_constantIbLb1EESZ_EEDaSU_SV_EUlSU_E_NS1_11comp_targetILNS1_3genE9ELNS1_11target_archE1100ELNS1_3gpuE3ELNS1_3repE0EEENS1_30default_config_static_selectorELNS0_4arch9wavefront6targetE1EEEvT1_
	.p2align	8
	.type	_ZN7rocprim17ROCPRIM_400000_NS6detail17trampoline_kernelINS0_14default_configENS1_27scan_by_key_config_selectorIiiEEZZNS1_16scan_by_key_implILNS1_25lookback_scan_determinismE0ELb0ES3_N6thrust23THRUST_200600_302600_NS6detail15normal_iteratorINS9_10device_ptrIiEEEESE_SE_iNS9_4plusIvEE19head_flag_predicateIiEiEE10hipError_tPvRmT2_T3_T4_T5_mT6_T7_P12ihipStream_tbENKUlT_T0_E_clISt17integral_constantIbLb1EESZ_EEDaSU_SV_EUlSU_E_NS1_11comp_targetILNS1_3genE9ELNS1_11target_archE1100ELNS1_3gpuE3ELNS1_3repE0EEENS1_30default_config_static_selectorELNS0_4arch9wavefront6targetE1EEEvT1_,@function
_ZN7rocprim17ROCPRIM_400000_NS6detail17trampoline_kernelINS0_14default_configENS1_27scan_by_key_config_selectorIiiEEZZNS1_16scan_by_key_implILNS1_25lookback_scan_determinismE0ELb0ES3_N6thrust23THRUST_200600_302600_NS6detail15normal_iteratorINS9_10device_ptrIiEEEESE_SE_iNS9_4plusIvEE19head_flag_predicateIiEiEE10hipError_tPvRmT2_T3_T4_T5_mT6_T7_P12ihipStream_tbENKUlT_T0_E_clISt17integral_constantIbLb1EESZ_EEDaSU_SV_EUlSU_E_NS1_11comp_targetILNS1_3genE9ELNS1_11target_archE1100ELNS1_3gpuE3ELNS1_3repE0EEENS1_30default_config_static_selectorELNS0_4arch9wavefront6targetE1EEEvT1_: ; @_ZN7rocprim17ROCPRIM_400000_NS6detail17trampoline_kernelINS0_14default_configENS1_27scan_by_key_config_selectorIiiEEZZNS1_16scan_by_key_implILNS1_25lookback_scan_determinismE0ELb0ES3_N6thrust23THRUST_200600_302600_NS6detail15normal_iteratorINS9_10device_ptrIiEEEESE_SE_iNS9_4plusIvEE19head_flag_predicateIiEiEE10hipError_tPvRmT2_T3_T4_T5_mT6_T7_P12ihipStream_tbENKUlT_T0_E_clISt17integral_constantIbLb1EESZ_EEDaSU_SV_EUlSU_E_NS1_11comp_targetILNS1_3genE9ELNS1_11target_archE1100ELNS1_3gpuE3ELNS1_3repE0EEENS1_30default_config_static_selectorELNS0_4arch9wavefront6targetE1EEEvT1_
; %bb.0:
	.section	.rodata,"a",@progbits
	.p2align	6, 0x0
	.amdhsa_kernel _ZN7rocprim17ROCPRIM_400000_NS6detail17trampoline_kernelINS0_14default_configENS1_27scan_by_key_config_selectorIiiEEZZNS1_16scan_by_key_implILNS1_25lookback_scan_determinismE0ELb0ES3_N6thrust23THRUST_200600_302600_NS6detail15normal_iteratorINS9_10device_ptrIiEEEESE_SE_iNS9_4plusIvEE19head_flag_predicateIiEiEE10hipError_tPvRmT2_T3_T4_T5_mT6_T7_P12ihipStream_tbENKUlT_T0_E_clISt17integral_constantIbLb1EESZ_EEDaSU_SV_EUlSU_E_NS1_11comp_targetILNS1_3genE9ELNS1_11target_archE1100ELNS1_3gpuE3ELNS1_3repE0EEENS1_30default_config_static_selectorELNS0_4arch9wavefront6targetE1EEEvT1_
		.amdhsa_group_segment_fixed_size 0
		.amdhsa_private_segment_fixed_size 0
		.amdhsa_kernarg_size 112
		.amdhsa_user_sgpr_count 6
		.amdhsa_user_sgpr_private_segment_buffer 1
		.amdhsa_user_sgpr_dispatch_ptr 0
		.amdhsa_user_sgpr_queue_ptr 0
		.amdhsa_user_sgpr_kernarg_segment_ptr 1
		.amdhsa_user_sgpr_dispatch_id 0
		.amdhsa_user_sgpr_flat_scratch_init 0
		.amdhsa_user_sgpr_kernarg_preload_length 0
		.amdhsa_user_sgpr_kernarg_preload_offset 0
		.amdhsa_user_sgpr_private_segment_size 0
		.amdhsa_uses_dynamic_stack 0
		.amdhsa_system_sgpr_private_segment_wavefront_offset 0
		.amdhsa_system_sgpr_workgroup_id_x 1
		.amdhsa_system_sgpr_workgroup_id_y 0
		.amdhsa_system_sgpr_workgroup_id_z 0
		.amdhsa_system_sgpr_workgroup_info 0
		.amdhsa_system_vgpr_workitem_id 0
		.amdhsa_next_free_vgpr 1
		.amdhsa_next_free_sgpr 0
		.amdhsa_accum_offset 4
		.amdhsa_reserve_vcc 0
		.amdhsa_reserve_flat_scratch 0
		.amdhsa_float_round_mode_32 0
		.amdhsa_float_round_mode_16_64 0
		.amdhsa_float_denorm_mode_32 3
		.amdhsa_float_denorm_mode_16_64 3
		.amdhsa_dx10_clamp 1
		.amdhsa_ieee_mode 1
		.amdhsa_fp16_overflow 0
		.amdhsa_tg_split 0
		.amdhsa_exception_fp_ieee_invalid_op 0
		.amdhsa_exception_fp_denorm_src 0
		.amdhsa_exception_fp_ieee_div_zero 0
		.amdhsa_exception_fp_ieee_overflow 0
		.amdhsa_exception_fp_ieee_underflow 0
		.amdhsa_exception_fp_ieee_inexact 0
		.amdhsa_exception_int_div_zero 0
	.end_amdhsa_kernel
	.section	.text._ZN7rocprim17ROCPRIM_400000_NS6detail17trampoline_kernelINS0_14default_configENS1_27scan_by_key_config_selectorIiiEEZZNS1_16scan_by_key_implILNS1_25lookback_scan_determinismE0ELb0ES3_N6thrust23THRUST_200600_302600_NS6detail15normal_iteratorINS9_10device_ptrIiEEEESE_SE_iNS9_4plusIvEE19head_flag_predicateIiEiEE10hipError_tPvRmT2_T3_T4_T5_mT6_T7_P12ihipStream_tbENKUlT_T0_E_clISt17integral_constantIbLb1EESZ_EEDaSU_SV_EUlSU_E_NS1_11comp_targetILNS1_3genE9ELNS1_11target_archE1100ELNS1_3gpuE3ELNS1_3repE0EEENS1_30default_config_static_selectorELNS0_4arch9wavefront6targetE1EEEvT1_,"axG",@progbits,_ZN7rocprim17ROCPRIM_400000_NS6detail17trampoline_kernelINS0_14default_configENS1_27scan_by_key_config_selectorIiiEEZZNS1_16scan_by_key_implILNS1_25lookback_scan_determinismE0ELb0ES3_N6thrust23THRUST_200600_302600_NS6detail15normal_iteratorINS9_10device_ptrIiEEEESE_SE_iNS9_4plusIvEE19head_flag_predicateIiEiEE10hipError_tPvRmT2_T3_T4_T5_mT6_T7_P12ihipStream_tbENKUlT_T0_E_clISt17integral_constantIbLb1EESZ_EEDaSU_SV_EUlSU_E_NS1_11comp_targetILNS1_3genE9ELNS1_11target_archE1100ELNS1_3gpuE3ELNS1_3repE0EEENS1_30default_config_static_selectorELNS0_4arch9wavefront6targetE1EEEvT1_,comdat
.Lfunc_end61:
	.size	_ZN7rocprim17ROCPRIM_400000_NS6detail17trampoline_kernelINS0_14default_configENS1_27scan_by_key_config_selectorIiiEEZZNS1_16scan_by_key_implILNS1_25lookback_scan_determinismE0ELb0ES3_N6thrust23THRUST_200600_302600_NS6detail15normal_iteratorINS9_10device_ptrIiEEEESE_SE_iNS9_4plusIvEE19head_flag_predicateIiEiEE10hipError_tPvRmT2_T3_T4_T5_mT6_T7_P12ihipStream_tbENKUlT_T0_E_clISt17integral_constantIbLb1EESZ_EEDaSU_SV_EUlSU_E_NS1_11comp_targetILNS1_3genE9ELNS1_11target_archE1100ELNS1_3gpuE3ELNS1_3repE0EEENS1_30default_config_static_selectorELNS0_4arch9wavefront6targetE1EEEvT1_, .Lfunc_end61-_ZN7rocprim17ROCPRIM_400000_NS6detail17trampoline_kernelINS0_14default_configENS1_27scan_by_key_config_selectorIiiEEZZNS1_16scan_by_key_implILNS1_25lookback_scan_determinismE0ELb0ES3_N6thrust23THRUST_200600_302600_NS6detail15normal_iteratorINS9_10device_ptrIiEEEESE_SE_iNS9_4plusIvEE19head_flag_predicateIiEiEE10hipError_tPvRmT2_T3_T4_T5_mT6_T7_P12ihipStream_tbENKUlT_T0_E_clISt17integral_constantIbLb1EESZ_EEDaSU_SV_EUlSU_E_NS1_11comp_targetILNS1_3genE9ELNS1_11target_archE1100ELNS1_3gpuE3ELNS1_3repE0EEENS1_30default_config_static_selectorELNS0_4arch9wavefront6targetE1EEEvT1_
                                        ; -- End function
	.section	.AMDGPU.csdata,"",@progbits
; Kernel info:
; codeLenInByte = 0
; NumSgprs: 4
; NumVgprs: 0
; NumAgprs: 0
; TotalNumVgprs: 0
; ScratchSize: 0
; MemoryBound: 0
; FloatMode: 240
; IeeeMode: 1
; LDSByteSize: 0 bytes/workgroup (compile time only)
; SGPRBlocks: 0
; VGPRBlocks: 0
; NumSGPRsForWavesPerEU: 4
; NumVGPRsForWavesPerEU: 1
; AccumOffset: 4
; Occupancy: 8
; WaveLimiterHint : 0
; COMPUTE_PGM_RSRC2:SCRATCH_EN: 0
; COMPUTE_PGM_RSRC2:USER_SGPR: 6
; COMPUTE_PGM_RSRC2:TRAP_HANDLER: 0
; COMPUTE_PGM_RSRC2:TGID_X_EN: 1
; COMPUTE_PGM_RSRC2:TGID_Y_EN: 0
; COMPUTE_PGM_RSRC2:TGID_Z_EN: 0
; COMPUTE_PGM_RSRC2:TIDIG_COMP_CNT: 0
; COMPUTE_PGM_RSRC3_GFX90A:ACCUM_OFFSET: 0
; COMPUTE_PGM_RSRC3_GFX90A:TG_SPLIT: 0
	.section	.text._ZN7rocprim17ROCPRIM_400000_NS6detail17trampoline_kernelINS0_14default_configENS1_27scan_by_key_config_selectorIiiEEZZNS1_16scan_by_key_implILNS1_25lookback_scan_determinismE0ELb0ES3_N6thrust23THRUST_200600_302600_NS6detail15normal_iteratorINS9_10device_ptrIiEEEESE_SE_iNS9_4plusIvEE19head_flag_predicateIiEiEE10hipError_tPvRmT2_T3_T4_T5_mT6_T7_P12ihipStream_tbENKUlT_T0_E_clISt17integral_constantIbLb1EESZ_EEDaSU_SV_EUlSU_E_NS1_11comp_targetILNS1_3genE8ELNS1_11target_archE1030ELNS1_3gpuE2ELNS1_3repE0EEENS1_30default_config_static_selectorELNS0_4arch9wavefront6targetE1EEEvT1_,"axG",@progbits,_ZN7rocprim17ROCPRIM_400000_NS6detail17trampoline_kernelINS0_14default_configENS1_27scan_by_key_config_selectorIiiEEZZNS1_16scan_by_key_implILNS1_25lookback_scan_determinismE0ELb0ES3_N6thrust23THRUST_200600_302600_NS6detail15normal_iteratorINS9_10device_ptrIiEEEESE_SE_iNS9_4plusIvEE19head_flag_predicateIiEiEE10hipError_tPvRmT2_T3_T4_T5_mT6_T7_P12ihipStream_tbENKUlT_T0_E_clISt17integral_constantIbLb1EESZ_EEDaSU_SV_EUlSU_E_NS1_11comp_targetILNS1_3genE8ELNS1_11target_archE1030ELNS1_3gpuE2ELNS1_3repE0EEENS1_30default_config_static_selectorELNS0_4arch9wavefront6targetE1EEEvT1_,comdat
	.protected	_ZN7rocprim17ROCPRIM_400000_NS6detail17trampoline_kernelINS0_14default_configENS1_27scan_by_key_config_selectorIiiEEZZNS1_16scan_by_key_implILNS1_25lookback_scan_determinismE0ELb0ES3_N6thrust23THRUST_200600_302600_NS6detail15normal_iteratorINS9_10device_ptrIiEEEESE_SE_iNS9_4plusIvEE19head_flag_predicateIiEiEE10hipError_tPvRmT2_T3_T4_T5_mT6_T7_P12ihipStream_tbENKUlT_T0_E_clISt17integral_constantIbLb1EESZ_EEDaSU_SV_EUlSU_E_NS1_11comp_targetILNS1_3genE8ELNS1_11target_archE1030ELNS1_3gpuE2ELNS1_3repE0EEENS1_30default_config_static_selectorELNS0_4arch9wavefront6targetE1EEEvT1_ ; -- Begin function _ZN7rocprim17ROCPRIM_400000_NS6detail17trampoline_kernelINS0_14default_configENS1_27scan_by_key_config_selectorIiiEEZZNS1_16scan_by_key_implILNS1_25lookback_scan_determinismE0ELb0ES3_N6thrust23THRUST_200600_302600_NS6detail15normal_iteratorINS9_10device_ptrIiEEEESE_SE_iNS9_4plusIvEE19head_flag_predicateIiEiEE10hipError_tPvRmT2_T3_T4_T5_mT6_T7_P12ihipStream_tbENKUlT_T0_E_clISt17integral_constantIbLb1EESZ_EEDaSU_SV_EUlSU_E_NS1_11comp_targetILNS1_3genE8ELNS1_11target_archE1030ELNS1_3gpuE2ELNS1_3repE0EEENS1_30default_config_static_selectorELNS0_4arch9wavefront6targetE1EEEvT1_
	.globl	_ZN7rocprim17ROCPRIM_400000_NS6detail17trampoline_kernelINS0_14default_configENS1_27scan_by_key_config_selectorIiiEEZZNS1_16scan_by_key_implILNS1_25lookback_scan_determinismE0ELb0ES3_N6thrust23THRUST_200600_302600_NS6detail15normal_iteratorINS9_10device_ptrIiEEEESE_SE_iNS9_4plusIvEE19head_flag_predicateIiEiEE10hipError_tPvRmT2_T3_T4_T5_mT6_T7_P12ihipStream_tbENKUlT_T0_E_clISt17integral_constantIbLb1EESZ_EEDaSU_SV_EUlSU_E_NS1_11comp_targetILNS1_3genE8ELNS1_11target_archE1030ELNS1_3gpuE2ELNS1_3repE0EEENS1_30default_config_static_selectorELNS0_4arch9wavefront6targetE1EEEvT1_
	.p2align	8
	.type	_ZN7rocprim17ROCPRIM_400000_NS6detail17trampoline_kernelINS0_14default_configENS1_27scan_by_key_config_selectorIiiEEZZNS1_16scan_by_key_implILNS1_25lookback_scan_determinismE0ELb0ES3_N6thrust23THRUST_200600_302600_NS6detail15normal_iteratorINS9_10device_ptrIiEEEESE_SE_iNS9_4plusIvEE19head_flag_predicateIiEiEE10hipError_tPvRmT2_T3_T4_T5_mT6_T7_P12ihipStream_tbENKUlT_T0_E_clISt17integral_constantIbLb1EESZ_EEDaSU_SV_EUlSU_E_NS1_11comp_targetILNS1_3genE8ELNS1_11target_archE1030ELNS1_3gpuE2ELNS1_3repE0EEENS1_30default_config_static_selectorELNS0_4arch9wavefront6targetE1EEEvT1_,@function
_ZN7rocprim17ROCPRIM_400000_NS6detail17trampoline_kernelINS0_14default_configENS1_27scan_by_key_config_selectorIiiEEZZNS1_16scan_by_key_implILNS1_25lookback_scan_determinismE0ELb0ES3_N6thrust23THRUST_200600_302600_NS6detail15normal_iteratorINS9_10device_ptrIiEEEESE_SE_iNS9_4plusIvEE19head_flag_predicateIiEiEE10hipError_tPvRmT2_T3_T4_T5_mT6_T7_P12ihipStream_tbENKUlT_T0_E_clISt17integral_constantIbLb1EESZ_EEDaSU_SV_EUlSU_E_NS1_11comp_targetILNS1_3genE8ELNS1_11target_archE1030ELNS1_3gpuE2ELNS1_3repE0EEENS1_30default_config_static_selectorELNS0_4arch9wavefront6targetE1EEEvT1_: ; @_ZN7rocprim17ROCPRIM_400000_NS6detail17trampoline_kernelINS0_14default_configENS1_27scan_by_key_config_selectorIiiEEZZNS1_16scan_by_key_implILNS1_25lookback_scan_determinismE0ELb0ES3_N6thrust23THRUST_200600_302600_NS6detail15normal_iteratorINS9_10device_ptrIiEEEESE_SE_iNS9_4plusIvEE19head_flag_predicateIiEiEE10hipError_tPvRmT2_T3_T4_T5_mT6_T7_P12ihipStream_tbENKUlT_T0_E_clISt17integral_constantIbLb1EESZ_EEDaSU_SV_EUlSU_E_NS1_11comp_targetILNS1_3genE8ELNS1_11target_archE1030ELNS1_3gpuE2ELNS1_3repE0EEENS1_30default_config_static_selectorELNS0_4arch9wavefront6targetE1EEEvT1_
; %bb.0:
	.section	.rodata,"a",@progbits
	.p2align	6, 0x0
	.amdhsa_kernel _ZN7rocprim17ROCPRIM_400000_NS6detail17trampoline_kernelINS0_14default_configENS1_27scan_by_key_config_selectorIiiEEZZNS1_16scan_by_key_implILNS1_25lookback_scan_determinismE0ELb0ES3_N6thrust23THRUST_200600_302600_NS6detail15normal_iteratorINS9_10device_ptrIiEEEESE_SE_iNS9_4plusIvEE19head_flag_predicateIiEiEE10hipError_tPvRmT2_T3_T4_T5_mT6_T7_P12ihipStream_tbENKUlT_T0_E_clISt17integral_constantIbLb1EESZ_EEDaSU_SV_EUlSU_E_NS1_11comp_targetILNS1_3genE8ELNS1_11target_archE1030ELNS1_3gpuE2ELNS1_3repE0EEENS1_30default_config_static_selectorELNS0_4arch9wavefront6targetE1EEEvT1_
		.amdhsa_group_segment_fixed_size 0
		.amdhsa_private_segment_fixed_size 0
		.amdhsa_kernarg_size 112
		.amdhsa_user_sgpr_count 6
		.amdhsa_user_sgpr_private_segment_buffer 1
		.amdhsa_user_sgpr_dispatch_ptr 0
		.amdhsa_user_sgpr_queue_ptr 0
		.amdhsa_user_sgpr_kernarg_segment_ptr 1
		.amdhsa_user_sgpr_dispatch_id 0
		.amdhsa_user_sgpr_flat_scratch_init 0
		.amdhsa_user_sgpr_kernarg_preload_length 0
		.amdhsa_user_sgpr_kernarg_preload_offset 0
		.amdhsa_user_sgpr_private_segment_size 0
		.amdhsa_uses_dynamic_stack 0
		.amdhsa_system_sgpr_private_segment_wavefront_offset 0
		.amdhsa_system_sgpr_workgroup_id_x 1
		.amdhsa_system_sgpr_workgroup_id_y 0
		.amdhsa_system_sgpr_workgroup_id_z 0
		.amdhsa_system_sgpr_workgroup_info 0
		.amdhsa_system_vgpr_workitem_id 0
		.amdhsa_next_free_vgpr 1
		.amdhsa_next_free_sgpr 0
		.amdhsa_accum_offset 4
		.amdhsa_reserve_vcc 0
		.amdhsa_reserve_flat_scratch 0
		.amdhsa_float_round_mode_32 0
		.amdhsa_float_round_mode_16_64 0
		.amdhsa_float_denorm_mode_32 3
		.amdhsa_float_denorm_mode_16_64 3
		.amdhsa_dx10_clamp 1
		.amdhsa_ieee_mode 1
		.amdhsa_fp16_overflow 0
		.amdhsa_tg_split 0
		.amdhsa_exception_fp_ieee_invalid_op 0
		.amdhsa_exception_fp_denorm_src 0
		.amdhsa_exception_fp_ieee_div_zero 0
		.amdhsa_exception_fp_ieee_overflow 0
		.amdhsa_exception_fp_ieee_underflow 0
		.amdhsa_exception_fp_ieee_inexact 0
		.amdhsa_exception_int_div_zero 0
	.end_amdhsa_kernel
	.section	.text._ZN7rocprim17ROCPRIM_400000_NS6detail17trampoline_kernelINS0_14default_configENS1_27scan_by_key_config_selectorIiiEEZZNS1_16scan_by_key_implILNS1_25lookback_scan_determinismE0ELb0ES3_N6thrust23THRUST_200600_302600_NS6detail15normal_iteratorINS9_10device_ptrIiEEEESE_SE_iNS9_4plusIvEE19head_flag_predicateIiEiEE10hipError_tPvRmT2_T3_T4_T5_mT6_T7_P12ihipStream_tbENKUlT_T0_E_clISt17integral_constantIbLb1EESZ_EEDaSU_SV_EUlSU_E_NS1_11comp_targetILNS1_3genE8ELNS1_11target_archE1030ELNS1_3gpuE2ELNS1_3repE0EEENS1_30default_config_static_selectorELNS0_4arch9wavefront6targetE1EEEvT1_,"axG",@progbits,_ZN7rocprim17ROCPRIM_400000_NS6detail17trampoline_kernelINS0_14default_configENS1_27scan_by_key_config_selectorIiiEEZZNS1_16scan_by_key_implILNS1_25lookback_scan_determinismE0ELb0ES3_N6thrust23THRUST_200600_302600_NS6detail15normal_iteratorINS9_10device_ptrIiEEEESE_SE_iNS9_4plusIvEE19head_flag_predicateIiEiEE10hipError_tPvRmT2_T3_T4_T5_mT6_T7_P12ihipStream_tbENKUlT_T0_E_clISt17integral_constantIbLb1EESZ_EEDaSU_SV_EUlSU_E_NS1_11comp_targetILNS1_3genE8ELNS1_11target_archE1030ELNS1_3gpuE2ELNS1_3repE0EEENS1_30default_config_static_selectorELNS0_4arch9wavefront6targetE1EEEvT1_,comdat
.Lfunc_end62:
	.size	_ZN7rocprim17ROCPRIM_400000_NS6detail17trampoline_kernelINS0_14default_configENS1_27scan_by_key_config_selectorIiiEEZZNS1_16scan_by_key_implILNS1_25lookback_scan_determinismE0ELb0ES3_N6thrust23THRUST_200600_302600_NS6detail15normal_iteratorINS9_10device_ptrIiEEEESE_SE_iNS9_4plusIvEE19head_flag_predicateIiEiEE10hipError_tPvRmT2_T3_T4_T5_mT6_T7_P12ihipStream_tbENKUlT_T0_E_clISt17integral_constantIbLb1EESZ_EEDaSU_SV_EUlSU_E_NS1_11comp_targetILNS1_3genE8ELNS1_11target_archE1030ELNS1_3gpuE2ELNS1_3repE0EEENS1_30default_config_static_selectorELNS0_4arch9wavefront6targetE1EEEvT1_, .Lfunc_end62-_ZN7rocprim17ROCPRIM_400000_NS6detail17trampoline_kernelINS0_14default_configENS1_27scan_by_key_config_selectorIiiEEZZNS1_16scan_by_key_implILNS1_25lookback_scan_determinismE0ELb0ES3_N6thrust23THRUST_200600_302600_NS6detail15normal_iteratorINS9_10device_ptrIiEEEESE_SE_iNS9_4plusIvEE19head_flag_predicateIiEiEE10hipError_tPvRmT2_T3_T4_T5_mT6_T7_P12ihipStream_tbENKUlT_T0_E_clISt17integral_constantIbLb1EESZ_EEDaSU_SV_EUlSU_E_NS1_11comp_targetILNS1_3genE8ELNS1_11target_archE1030ELNS1_3gpuE2ELNS1_3repE0EEENS1_30default_config_static_selectorELNS0_4arch9wavefront6targetE1EEEvT1_
                                        ; -- End function
	.section	.AMDGPU.csdata,"",@progbits
; Kernel info:
; codeLenInByte = 0
; NumSgprs: 4
; NumVgprs: 0
; NumAgprs: 0
; TotalNumVgprs: 0
; ScratchSize: 0
; MemoryBound: 0
; FloatMode: 240
; IeeeMode: 1
; LDSByteSize: 0 bytes/workgroup (compile time only)
; SGPRBlocks: 0
; VGPRBlocks: 0
; NumSGPRsForWavesPerEU: 4
; NumVGPRsForWavesPerEU: 1
; AccumOffset: 4
; Occupancy: 8
; WaveLimiterHint : 0
; COMPUTE_PGM_RSRC2:SCRATCH_EN: 0
; COMPUTE_PGM_RSRC2:USER_SGPR: 6
; COMPUTE_PGM_RSRC2:TRAP_HANDLER: 0
; COMPUTE_PGM_RSRC2:TGID_X_EN: 1
; COMPUTE_PGM_RSRC2:TGID_Y_EN: 0
; COMPUTE_PGM_RSRC2:TGID_Z_EN: 0
; COMPUTE_PGM_RSRC2:TIDIG_COMP_CNT: 0
; COMPUTE_PGM_RSRC3_GFX90A:ACCUM_OFFSET: 0
; COMPUTE_PGM_RSRC3_GFX90A:TG_SPLIT: 0
	.section	.text._ZN7rocprim17ROCPRIM_400000_NS6detail17trampoline_kernelINS0_14default_configENS1_27scan_by_key_config_selectorIiiEEZZNS1_16scan_by_key_implILNS1_25lookback_scan_determinismE0ELb0ES3_N6thrust23THRUST_200600_302600_NS6detail15normal_iteratorINS9_10device_ptrIiEEEESE_SE_iNS9_4plusIvEE19head_flag_predicateIiEiEE10hipError_tPvRmT2_T3_T4_T5_mT6_T7_P12ihipStream_tbENKUlT_T0_E_clISt17integral_constantIbLb1EESY_IbLb0EEEEDaSU_SV_EUlSU_E_NS1_11comp_targetILNS1_3genE0ELNS1_11target_archE4294967295ELNS1_3gpuE0ELNS1_3repE0EEENS1_30default_config_static_selectorELNS0_4arch9wavefront6targetE1EEEvT1_,"axG",@progbits,_ZN7rocprim17ROCPRIM_400000_NS6detail17trampoline_kernelINS0_14default_configENS1_27scan_by_key_config_selectorIiiEEZZNS1_16scan_by_key_implILNS1_25lookback_scan_determinismE0ELb0ES3_N6thrust23THRUST_200600_302600_NS6detail15normal_iteratorINS9_10device_ptrIiEEEESE_SE_iNS9_4plusIvEE19head_flag_predicateIiEiEE10hipError_tPvRmT2_T3_T4_T5_mT6_T7_P12ihipStream_tbENKUlT_T0_E_clISt17integral_constantIbLb1EESY_IbLb0EEEEDaSU_SV_EUlSU_E_NS1_11comp_targetILNS1_3genE0ELNS1_11target_archE4294967295ELNS1_3gpuE0ELNS1_3repE0EEENS1_30default_config_static_selectorELNS0_4arch9wavefront6targetE1EEEvT1_,comdat
	.protected	_ZN7rocprim17ROCPRIM_400000_NS6detail17trampoline_kernelINS0_14default_configENS1_27scan_by_key_config_selectorIiiEEZZNS1_16scan_by_key_implILNS1_25lookback_scan_determinismE0ELb0ES3_N6thrust23THRUST_200600_302600_NS6detail15normal_iteratorINS9_10device_ptrIiEEEESE_SE_iNS9_4plusIvEE19head_flag_predicateIiEiEE10hipError_tPvRmT2_T3_T4_T5_mT6_T7_P12ihipStream_tbENKUlT_T0_E_clISt17integral_constantIbLb1EESY_IbLb0EEEEDaSU_SV_EUlSU_E_NS1_11comp_targetILNS1_3genE0ELNS1_11target_archE4294967295ELNS1_3gpuE0ELNS1_3repE0EEENS1_30default_config_static_selectorELNS0_4arch9wavefront6targetE1EEEvT1_ ; -- Begin function _ZN7rocprim17ROCPRIM_400000_NS6detail17trampoline_kernelINS0_14default_configENS1_27scan_by_key_config_selectorIiiEEZZNS1_16scan_by_key_implILNS1_25lookback_scan_determinismE0ELb0ES3_N6thrust23THRUST_200600_302600_NS6detail15normal_iteratorINS9_10device_ptrIiEEEESE_SE_iNS9_4plusIvEE19head_flag_predicateIiEiEE10hipError_tPvRmT2_T3_T4_T5_mT6_T7_P12ihipStream_tbENKUlT_T0_E_clISt17integral_constantIbLb1EESY_IbLb0EEEEDaSU_SV_EUlSU_E_NS1_11comp_targetILNS1_3genE0ELNS1_11target_archE4294967295ELNS1_3gpuE0ELNS1_3repE0EEENS1_30default_config_static_selectorELNS0_4arch9wavefront6targetE1EEEvT1_
	.globl	_ZN7rocprim17ROCPRIM_400000_NS6detail17trampoline_kernelINS0_14default_configENS1_27scan_by_key_config_selectorIiiEEZZNS1_16scan_by_key_implILNS1_25lookback_scan_determinismE0ELb0ES3_N6thrust23THRUST_200600_302600_NS6detail15normal_iteratorINS9_10device_ptrIiEEEESE_SE_iNS9_4plusIvEE19head_flag_predicateIiEiEE10hipError_tPvRmT2_T3_T4_T5_mT6_T7_P12ihipStream_tbENKUlT_T0_E_clISt17integral_constantIbLb1EESY_IbLb0EEEEDaSU_SV_EUlSU_E_NS1_11comp_targetILNS1_3genE0ELNS1_11target_archE4294967295ELNS1_3gpuE0ELNS1_3repE0EEENS1_30default_config_static_selectorELNS0_4arch9wavefront6targetE1EEEvT1_
	.p2align	8
	.type	_ZN7rocprim17ROCPRIM_400000_NS6detail17trampoline_kernelINS0_14default_configENS1_27scan_by_key_config_selectorIiiEEZZNS1_16scan_by_key_implILNS1_25lookback_scan_determinismE0ELb0ES3_N6thrust23THRUST_200600_302600_NS6detail15normal_iteratorINS9_10device_ptrIiEEEESE_SE_iNS9_4plusIvEE19head_flag_predicateIiEiEE10hipError_tPvRmT2_T3_T4_T5_mT6_T7_P12ihipStream_tbENKUlT_T0_E_clISt17integral_constantIbLb1EESY_IbLb0EEEEDaSU_SV_EUlSU_E_NS1_11comp_targetILNS1_3genE0ELNS1_11target_archE4294967295ELNS1_3gpuE0ELNS1_3repE0EEENS1_30default_config_static_selectorELNS0_4arch9wavefront6targetE1EEEvT1_,@function
_ZN7rocprim17ROCPRIM_400000_NS6detail17trampoline_kernelINS0_14default_configENS1_27scan_by_key_config_selectorIiiEEZZNS1_16scan_by_key_implILNS1_25lookback_scan_determinismE0ELb0ES3_N6thrust23THRUST_200600_302600_NS6detail15normal_iteratorINS9_10device_ptrIiEEEESE_SE_iNS9_4plusIvEE19head_flag_predicateIiEiEE10hipError_tPvRmT2_T3_T4_T5_mT6_T7_P12ihipStream_tbENKUlT_T0_E_clISt17integral_constantIbLb1EESY_IbLb0EEEEDaSU_SV_EUlSU_E_NS1_11comp_targetILNS1_3genE0ELNS1_11target_archE4294967295ELNS1_3gpuE0ELNS1_3repE0EEENS1_30default_config_static_selectorELNS0_4arch9wavefront6targetE1EEEvT1_: ; @_ZN7rocprim17ROCPRIM_400000_NS6detail17trampoline_kernelINS0_14default_configENS1_27scan_by_key_config_selectorIiiEEZZNS1_16scan_by_key_implILNS1_25lookback_scan_determinismE0ELb0ES3_N6thrust23THRUST_200600_302600_NS6detail15normal_iteratorINS9_10device_ptrIiEEEESE_SE_iNS9_4plusIvEE19head_flag_predicateIiEiEE10hipError_tPvRmT2_T3_T4_T5_mT6_T7_P12ihipStream_tbENKUlT_T0_E_clISt17integral_constantIbLb1EESY_IbLb0EEEEDaSU_SV_EUlSU_E_NS1_11comp_targetILNS1_3genE0ELNS1_11target_archE4294967295ELNS1_3gpuE0ELNS1_3repE0EEENS1_30default_config_static_selectorELNS0_4arch9wavefront6targetE1EEEvT1_
; %bb.0:
	.section	.rodata,"a",@progbits
	.p2align	6, 0x0
	.amdhsa_kernel _ZN7rocprim17ROCPRIM_400000_NS6detail17trampoline_kernelINS0_14default_configENS1_27scan_by_key_config_selectorIiiEEZZNS1_16scan_by_key_implILNS1_25lookback_scan_determinismE0ELb0ES3_N6thrust23THRUST_200600_302600_NS6detail15normal_iteratorINS9_10device_ptrIiEEEESE_SE_iNS9_4plusIvEE19head_flag_predicateIiEiEE10hipError_tPvRmT2_T3_T4_T5_mT6_T7_P12ihipStream_tbENKUlT_T0_E_clISt17integral_constantIbLb1EESY_IbLb0EEEEDaSU_SV_EUlSU_E_NS1_11comp_targetILNS1_3genE0ELNS1_11target_archE4294967295ELNS1_3gpuE0ELNS1_3repE0EEENS1_30default_config_static_selectorELNS0_4arch9wavefront6targetE1EEEvT1_
		.amdhsa_group_segment_fixed_size 0
		.amdhsa_private_segment_fixed_size 0
		.amdhsa_kernarg_size 112
		.amdhsa_user_sgpr_count 6
		.amdhsa_user_sgpr_private_segment_buffer 1
		.amdhsa_user_sgpr_dispatch_ptr 0
		.amdhsa_user_sgpr_queue_ptr 0
		.amdhsa_user_sgpr_kernarg_segment_ptr 1
		.amdhsa_user_sgpr_dispatch_id 0
		.amdhsa_user_sgpr_flat_scratch_init 0
		.amdhsa_user_sgpr_kernarg_preload_length 0
		.amdhsa_user_sgpr_kernarg_preload_offset 0
		.amdhsa_user_sgpr_private_segment_size 0
		.amdhsa_uses_dynamic_stack 0
		.amdhsa_system_sgpr_private_segment_wavefront_offset 0
		.amdhsa_system_sgpr_workgroup_id_x 1
		.amdhsa_system_sgpr_workgroup_id_y 0
		.amdhsa_system_sgpr_workgroup_id_z 0
		.amdhsa_system_sgpr_workgroup_info 0
		.amdhsa_system_vgpr_workitem_id 0
		.amdhsa_next_free_vgpr 1
		.amdhsa_next_free_sgpr 0
		.amdhsa_accum_offset 4
		.amdhsa_reserve_vcc 0
		.amdhsa_reserve_flat_scratch 0
		.amdhsa_float_round_mode_32 0
		.amdhsa_float_round_mode_16_64 0
		.amdhsa_float_denorm_mode_32 3
		.amdhsa_float_denorm_mode_16_64 3
		.amdhsa_dx10_clamp 1
		.amdhsa_ieee_mode 1
		.amdhsa_fp16_overflow 0
		.amdhsa_tg_split 0
		.amdhsa_exception_fp_ieee_invalid_op 0
		.amdhsa_exception_fp_denorm_src 0
		.amdhsa_exception_fp_ieee_div_zero 0
		.amdhsa_exception_fp_ieee_overflow 0
		.amdhsa_exception_fp_ieee_underflow 0
		.amdhsa_exception_fp_ieee_inexact 0
		.amdhsa_exception_int_div_zero 0
	.end_amdhsa_kernel
	.section	.text._ZN7rocprim17ROCPRIM_400000_NS6detail17trampoline_kernelINS0_14default_configENS1_27scan_by_key_config_selectorIiiEEZZNS1_16scan_by_key_implILNS1_25lookback_scan_determinismE0ELb0ES3_N6thrust23THRUST_200600_302600_NS6detail15normal_iteratorINS9_10device_ptrIiEEEESE_SE_iNS9_4plusIvEE19head_flag_predicateIiEiEE10hipError_tPvRmT2_T3_T4_T5_mT6_T7_P12ihipStream_tbENKUlT_T0_E_clISt17integral_constantIbLb1EESY_IbLb0EEEEDaSU_SV_EUlSU_E_NS1_11comp_targetILNS1_3genE0ELNS1_11target_archE4294967295ELNS1_3gpuE0ELNS1_3repE0EEENS1_30default_config_static_selectorELNS0_4arch9wavefront6targetE1EEEvT1_,"axG",@progbits,_ZN7rocprim17ROCPRIM_400000_NS6detail17trampoline_kernelINS0_14default_configENS1_27scan_by_key_config_selectorIiiEEZZNS1_16scan_by_key_implILNS1_25lookback_scan_determinismE0ELb0ES3_N6thrust23THRUST_200600_302600_NS6detail15normal_iteratorINS9_10device_ptrIiEEEESE_SE_iNS9_4plusIvEE19head_flag_predicateIiEiEE10hipError_tPvRmT2_T3_T4_T5_mT6_T7_P12ihipStream_tbENKUlT_T0_E_clISt17integral_constantIbLb1EESY_IbLb0EEEEDaSU_SV_EUlSU_E_NS1_11comp_targetILNS1_3genE0ELNS1_11target_archE4294967295ELNS1_3gpuE0ELNS1_3repE0EEENS1_30default_config_static_selectorELNS0_4arch9wavefront6targetE1EEEvT1_,comdat
.Lfunc_end63:
	.size	_ZN7rocprim17ROCPRIM_400000_NS6detail17trampoline_kernelINS0_14default_configENS1_27scan_by_key_config_selectorIiiEEZZNS1_16scan_by_key_implILNS1_25lookback_scan_determinismE0ELb0ES3_N6thrust23THRUST_200600_302600_NS6detail15normal_iteratorINS9_10device_ptrIiEEEESE_SE_iNS9_4plusIvEE19head_flag_predicateIiEiEE10hipError_tPvRmT2_T3_T4_T5_mT6_T7_P12ihipStream_tbENKUlT_T0_E_clISt17integral_constantIbLb1EESY_IbLb0EEEEDaSU_SV_EUlSU_E_NS1_11comp_targetILNS1_3genE0ELNS1_11target_archE4294967295ELNS1_3gpuE0ELNS1_3repE0EEENS1_30default_config_static_selectorELNS0_4arch9wavefront6targetE1EEEvT1_, .Lfunc_end63-_ZN7rocprim17ROCPRIM_400000_NS6detail17trampoline_kernelINS0_14default_configENS1_27scan_by_key_config_selectorIiiEEZZNS1_16scan_by_key_implILNS1_25lookback_scan_determinismE0ELb0ES3_N6thrust23THRUST_200600_302600_NS6detail15normal_iteratorINS9_10device_ptrIiEEEESE_SE_iNS9_4plusIvEE19head_flag_predicateIiEiEE10hipError_tPvRmT2_T3_T4_T5_mT6_T7_P12ihipStream_tbENKUlT_T0_E_clISt17integral_constantIbLb1EESY_IbLb0EEEEDaSU_SV_EUlSU_E_NS1_11comp_targetILNS1_3genE0ELNS1_11target_archE4294967295ELNS1_3gpuE0ELNS1_3repE0EEENS1_30default_config_static_selectorELNS0_4arch9wavefront6targetE1EEEvT1_
                                        ; -- End function
	.section	.AMDGPU.csdata,"",@progbits
; Kernel info:
; codeLenInByte = 0
; NumSgprs: 4
; NumVgprs: 0
; NumAgprs: 0
; TotalNumVgprs: 0
; ScratchSize: 0
; MemoryBound: 0
; FloatMode: 240
; IeeeMode: 1
; LDSByteSize: 0 bytes/workgroup (compile time only)
; SGPRBlocks: 0
; VGPRBlocks: 0
; NumSGPRsForWavesPerEU: 4
; NumVGPRsForWavesPerEU: 1
; AccumOffset: 4
; Occupancy: 8
; WaveLimiterHint : 0
; COMPUTE_PGM_RSRC2:SCRATCH_EN: 0
; COMPUTE_PGM_RSRC2:USER_SGPR: 6
; COMPUTE_PGM_RSRC2:TRAP_HANDLER: 0
; COMPUTE_PGM_RSRC2:TGID_X_EN: 1
; COMPUTE_PGM_RSRC2:TGID_Y_EN: 0
; COMPUTE_PGM_RSRC2:TGID_Z_EN: 0
; COMPUTE_PGM_RSRC2:TIDIG_COMP_CNT: 0
; COMPUTE_PGM_RSRC3_GFX90A:ACCUM_OFFSET: 0
; COMPUTE_PGM_RSRC3_GFX90A:TG_SPLIT: 0
	.section	.text._ZN7rocprim17ROCPRIM_400000_NS6detail17trampoline_kernelINS0_14default_configENS1_27scan_by_key_config_selectorIiiEEZZNS1_16scan_by_key_implILNS1_25lookback_scan_determinismE0ELb0ES3_N6thrust23THRUST_200600_302600_NS6detail15normal_iteratorINS9_10device_ptrIiEEEESE_SE_iNS9_4plusIvEE19head_flag_predicateIiEiEE10hipError_tPvRmT2_T3_T4_T5_mT6_T7_P12ihipStream_tbENKUlT_T0_E_clISt17integral_constantIbLb1EESY_IbLb0EEEEDaSU_SV_EUlSU_E_NS1_11comp_targetILNS1_3genE10ELNS1_11target_archE1201ELNS1_3gpuE5ELNS1_3repE0EEENS1_30default_config_static_selectorELNS0_4arch9wavefront6targetE1EEEvT1_,"axG",@progbits,_ZN7rocprim17ROCPRIM_400000_NS6detail17trampoline_kernelINS0_14default_configENS1_27scan_by_key_config_selectorIiiEEZZNS1_16scan_by_key_implILNS1_25lookback_scan_determinismE0ELb0ES3_N6thrust23THRUST_200600_302600_NS6detail15normal_iteratorINS9_10device_ptrIiEEEESE_SE_iNS9_4plusIvEE19head_flag_predicateIiEiEE10hipError_tPvRmT2_T3_T4_T5_mT6_T7_P12ihipStream_tbENKUlT_T0_E_clISt17integral_constantIbLb1EESY_IbLb0EEEEDaSU_SV_EUlSU_E_NS1_11comp_targetILNS1_3genE10ELNS1_11target_archE1201ELNS1_3gpuE5ELNS1_3repE0EEENS1_30default_config_static_selectorELNS0_4arch9wavefront6targetE1EEEvT1_,comdat
	.protected	_ZN7rocprim17ROCPRIM_400000_NS6detail17trampoline_kernelINS0_14default_configENS1_27scan_by_key_config_selectorIiiEEZZNS1_16scan_by_key_implILNS1_25lookback_scan_determinismE0ELb0ES3_N6thrust23THRUST_200600_302600_NS6detail15normal_iteratorINS9_10device_ptrIiEEEESE_SE_iNS9_4plusIvEE19head_flag_predicateIiEiEE10hipError_tPvRmT2_T3_T4_T5_mT6_T7_P12ihipStream_tbENKUlT_T0_E_clISt17integral_constantIbLb1EESY_IbLb0EEEEDaSU_SV_EUlSU_E_NS1_11comp_targetILNS1_3genE10ELNS1_11target_archE1201ELNS1_3gpuE5ELNS1_3repE0EEENS1_30default_config_static_selectorELNS0_4arch9wavefront6targetE1EEEvT1_ ; -- Begin function _ZN7rocprim17ROCPRIM_400000_NS6detail17trampoline_kernelINS0_14default_configENS1_27scan_by_key_config_selectorIiiEEZZNS1_16scan_by_key_implILNS1_25lookback_scan_determinismE0ELb0ES3_N6thrust23THRUST_200600_302600_NS6detail15normal_iteratorINS9_10device_ptrIiEEEESE_SE_iNS9_4plusIvEE19head_flag_predicateIiEiEE10hipError_tPvRmT2_T3_T4_T5_mT6_T7_P12ihipStream_tbENKUlT_T0_E_clISt17integral_constantIbLb1EESY_IbLb0EEEEDaSU_SV_EUlSU_E_NS1_11comp_targetILNS1_3genE10ELNS1_11target_archE1201ELNS1_3gpuE5ELNS1_3repE0EEENS1_30default_config_static_selectorELNS0_4arch9wavefront6targetE1EEEvT1_
	.globl	_ZN7rocprim17ROCPRIM_400000_NS6detail17trampoline_kernelINS0_14default_configENS1_27scan_by_key_config_selectorIiiEEZZNS1_16scan_by_key_implILNS1_25lookback_scan_determinismE0ELb0ES3_N6thrust23THRUST_200600_302600_NS6detail15normal_iteratorINS9_10device_ptrIiEEEESE_SE_iNS9_4plusIvEE19head_flag_predicateIiEiEE10hipError_tPvRmT2_T3_T4_T5_mT6_T7_P12ihipStream_tbENKUlT_T0_E_clISt17integral_constantIbLb1EESY_IbLb0EEEEDaSU_SV_EUlSU_E_NS1_11comp_targetILNS1_3genE10ELNS1_11target_archE1201ELNS1_3gpuE5ELNS1_3repE0EEENS1_30default_config_static_selectorELNS0_4arch9wavefront6targetE1EEEvT1_
	.p2align	8
	.type	_ZN7rocprim17ROCPRIM_400000_NS6detail17trampoline_kernelINS0_14default_configENS1_27scan_by_key_config_selectorIiiEEZZNS1_16scan_by_key_implILNS1_25lookback_scan_determinismE0ELb0ES3_N6thrust23THRUST_200600_302600_NS6detail15normal_iteratorINS9_10device_ptrIiEEEESE_SE_iNS9_4plusIvEE19head_flag_predicateIiEiEE10hipError_tPvRmT2_T3_T4_T5_mT6_T7_P12ihipStream_tbENKUlT_T0_E_clISt17integral_constantIbLb1EESY_IbLb0EEEEDaSU_SV_EUlSU_E_NS1_11comp_targetILNS1_3genE10ELNS1_11target_archE1201ELNS1_3gpuE5ELNS1_3repE0EEENS1_30default_config_static_selectorELNS0_4arch9wavefront6targetE1EEEvT1_,@function
_ZN7rocprim17ROCPRIM_400000_NS6detail17trampoline_kernelINS0_14default_configENS1_27scan_by_key_config_selectorIiiEEZZNS1_16scan_by_key_implILNS1_25lookback_scan_determinismE0ELb0ES3_N6thrust23THRUST_200600_302600_NS6detail15normal_iteratorINS9_10device_ptrIiEEEESE_SE_iNS9_4plusIvEE19head_flag_predicateIiEiEE10hipError_tPvRmT2_T3_T4_T5_mT6_T7_P12ihipStream_tbENKUlT_T0_E_clISt17integral_constantIbLb1EESY_IbLb0EEEEDaSU_SV_EUlSU_E_NS1_11comp_targetILNS1_3genE10ELNS1_11target_archE1201ELNS1_3gpuE5ELNS1_3repE0EEENS1_30default_config_static_selectorELNS0_4arch9wavefront6targetE1EEEvT1_: ; @_ZN7rocprim17ROCPRIM_400000_NS6detail17trampoline_kernelINS0_14default_configENS1_27scan_by_key_config_selectorIiiEEZZNS1_16scan_by_key_implILNS1_25lookback_scan_determinismE0ELb0ES3_N6thrust23THRUST_200600_302600_NS6detail15normal_iteratorINS9_10device_ptrIiEEEESE_SE_iNS9_4plusIvEE19head_flag_predicateIiEiEE10hipError_tPvRmT2_T3_T4_T5_mT6_T7_P12ihipStream_tbENKUlT_T0_E_clISt17integral_constantIbLb1EESY_IbLb0EEEEDaSU_SV_EUlSU_E_NS1_11comp_targetILNS1_3genE10ELNS1_11target_archE1201ELNS1_3gpuE5ELNS1_3repE0EEENS1_30default_config_static_selectorELNS0_4arch9wavefront6targetE1EEEvT1_
; %bb.0:
	.section	.rodata,"a",@progbits
	.p2align	6, 0x0
	.amdhsa_kernel _ZN7rocprim17ROCPRIM_400000_NS6detail17trampoline_kernelINS0_14default_configENS1_27scan_by_key_config_selectorIiiEEZZNS1_16scan_by_key_implILNS1_25lookback_scan_determinismE0ELb0ES3_N6thrust23THRUST_200600_302600_NS6detail15normal_iteratorINS9_10device_ptrIiEEEESE_SE_iNS9_4plusIvEE19head_flag_predicateIiEiEE10hipError_tPvRmT2_T3_T4_T5_mT6_T7_P12ihipStream_tbENKUlT_T0_E_clISt17integral_constantIbLb1EESY_IbLb0EEEEDaSU_SV_EUlSU_E_NS1_11comp_targetILNS1_3genE10ELNS1_11target_archE1201ELNS1_3gpuE5ELNS1_3repE0EEENS1_30default_config_static_selectorELNS0_4arch9wavefront6targetE1EEEvT1_
		.amdhsa_group_segment_fixed_size 0
		.amdhsa_private_segment_fixed_size 0
		.amdhsa_kernarg_size 112
		.amdhsa_user_sgpr_count 6
		.amdhsa_user_sgpr_private_segment_buffer 1
		.amdhsa_user_sgpr_dispatch_ptr 0
		.amdhsa_user_sgpr_queue_ptr 0
		.amdhsa_user_sgpr_kernarg_segment_ptr 1
		.amdhsa_user_sgpr_dispatch_id 0
		.amdhsa_user_sgpr_flat_scratch_init 0
		.amdhsa_user_sgpr_kernarg_preload_length 0
		.amdhsa_user_sgpr_kernarg_preload_offset 0
		.amdhsa_user_sgpr_private_segment_size 0
		.amdhsa_uses_dynamic_stack 0
		.amdhsa_system_sgpr_private_segment_wavefront_offset 0
		.amdhsa_system_sgpr_workgroup_id_x 1
		.amdhsa_system_sgpr_workgroup_id_y 0
		.amdhsa_system_sgpr_workgroup_id_z 0
		.amdhsa_system_sgpr_workgroup_info 0
		.amdhsa_system_vgpr_workitem_id 0
		.amdhsa_next_free_vgpr 1
		.amdhsa_next_free_sgpr 0
		.amdhsa_accum_offset 4
		.amdhsa_reserve_vcc 0
		.amdhsa_reserve_flat_scratch 0
		.amdhsa_float_round_mode_32 0
		.amdhsa_float_round_mode_16_64 0
		.amdhsa_float_denorm_mode_32 3
		.amdhsa_float_denorm_mode_16_64 3
		.amdhsa_dx10_clamp 1
		.amdhsa_ieee_mode 1
		.amdhsa_fp16_overflow 0
		.amdhsa_tg_split 0
		.amdhsa_exception_fp_ieee_invalid_op 0
		.amdhsa_exception_fp_denorm_src 0
		.amdhsa_exception_fp_ieee_div_zero 0
		.amdhsa_exception_fp_ieee_overflow 0
		.amdhsa_exception_fp_ieee_underflow 0
		.amdhsa_exception_fp_ieee_inexact 0
		.amdhsa_exception_int_div_zero 0
	.end_amdhsa_kernel
	.section	.text._ZN7rocprim17ROCPRIM_400000_NS6detail17trampoline_kernelINS0_14default_configENS1_27scan_by_key_config_selectorIiiEEZZNS1_16scan_by_key_implILNS1_25lookback_scan_determinismE0ELb0ES3_N6thrust23THRUST_200600_302600_NS6detail15normal_iteratorINS9_10device_ptrIiEEEESE_SE_iNS9_4plusIvEE19head_flag_predicateIiEiEE10hipError_tPvRmT2_T3_T4_T5_mT6_T7_P12ihipStream_tbENKUlT_T0_E_clISt17integral_constantIbLb1EESY_IbLb0EEEEDaSU_SV_EUlSU_E_NS1_11comp_targetILNS1_3genE10ELNS1_11target_archE1201ELNS1_3gpuE5ELNS1_3repE0EEENS1_30default_config_static_selectorELNS0_4arch9wavefront6targetE1EEEvT1_,"axG",@progbits,_ZN7rocprim17ROCPRIM_400000_NS6detail17trampoline_kernelINS0_14default_configENS1_27scan_by_key_config_selectorIiiEEZZNS1_16scan_by_key_implILNS1_25lookback_scan_determinismE0ELb0ES3_N6thrust23THRUST_200600_302600_NS6detail15normal_iteratorINS9_10device_ptrIiEEEESE_SE_iNS9_4plusIvEE19head_flag_predicateIiEiEE10hipError_tPvRmT2_T3_T4_T5_mT6_T7_P12ihipStream_tbENKUlT_T0_E_clISt17integral_constantIbLb1EESY_IbLb0EEEEDaSU_SV_EUlSU_E_NS1_11comp_targetILNS1_3genE10ELNS1_11target_archE1201ELNS1_3gpuE5ELNS1_3repE0EEENS1_30default_config_static_selectorELNS0_4arch9wavefront6targetE1EEEvT1_,comdat
.Lfunc_end64:
	.size	_ZN7rocprim17ROCPRIM_400000_NS6detail17trampoline_kernelINS0_14default_configENS1_27scan_by_key_config_selectorIiiEEZZNS1_16scan_by_key_implILNS1_25lookback_scan_determinismE0ELb0ES3_N6thrust23THRUST_200600_302600_NS6detail15normal_iteratorINS9_10device_ptrIiEEEESE_SE_iNS9_4plusIvEE19head_flag_predicateIiEiEE10hipError_tPvRmT2_T3_T4_T5_mT6_T7_P12ihipStream_tbENKUlT_T0_E_clISt17integral_constantIbLb1EESY_IbLb0EEEEDaSU_SV_EUlSU_E_NS1_11comp_targetILNS1_3genE10ELNS1_11target_archE1201ELNS1_3gpuE5ELNS1_3repE0EEENS1_30default_config_static_selectorELNS0_4arch9wavefront6targetE1EEEvT1_, .Lfunc_end64-_ZN7rocprim17ROCPRIM_400000_NS6detail17trampoline_kernelINS0_14default_configENS1_27scan_by_key_config_selectorIiiEEZZNS1_16scan_by_key_implILNS1_25lookback_scan_determinismE0ELb0ES3_N6thrust23THRUST_200600_302600_NS6detail15normal_iteratorINS9_10device_ptrIiEEEESE_SE_iNS9_4plusIvEE19head_flag_predicateIiEiEE10hipError_tPvRmT2_T3_T4_T5_mT6_T7_P12ihipStream_tbENKUlT_T0_E_clISt17integral_constantIbLb1EESY_IbLb0EEEEDaSU_SV_EUlSU_E_NS1_11comp_targetILNS1_3genE10ELNS1_11target_archE1201ELNS1_3gpuE5ELNS1_3repE0EEENS1_30default_config_static_selectorELNS0_4arch9wavefront6targetE1EEEvT1_
                                        ; -- End function
	.section	.AMDGPU.csdata,"",@progbits
; Kernel info:
; codeLenInByte = 0
; NumSgprs: 4
; NumVgprs: 0
; NumAgprs: 0
; TotalNumVgprs: 0
; ScratchSize: 0
; MemoryBound: 0
; FloatMode: 240
; IeeeMode: 1
; LDSByteSize: 0 bytes/workgroup (compile time only)
; SGPRBlocks: 0
; VGPRBlocks: 0
; NumSGPRsForWavesPerEU: 4
; NumVGPRsForWavesPerEU: 1
; AccumOffset: 4
; Occupancy: 8
; WaveLimiterHint : 0
; COMPUTE_PGM_RSRC2:SCRATCH_EN: 0
; COMPUTE_PGM_RSRC2:USER_SGPR: 6
; COMPUTE_PGM_RSRC2:TRAP_HANDLER: 0
; COMPUTE_PGM_RSRC2:TGID_X_EN: 1
; COMPUTE_PGM_RSRC2:TGID_Y_EN: 0
; COMPUTE_PGM_RSRC2:TGID_Z_EN: 0
; COMPUTE_PGM_RSRC2:TIDIG_COMP_CNT: 0
; COMPUTE_PGM_RSRC3_GFX90A:ACCUM_OFFSET: 0
; COMPUTE_PGM_RSRC3_GFX90A:TG_SPLIT: 0
	.section	.text._ZN7rocprim17ROCPRIM_400000_NS6detail17trampoline_kernelINS0_14default_configENS1_27scan_by_key_config_selectorIiiEEZZNS1_16scan_by_key_implILNS1_25lookback_scan_determinismE0ELb0ES3_N6thrust23THRUST_200600_302600_NS6detail15normal_iteratorINS9_10device_ptrIiEEEESE_SE_iNS9_4plusIvEE19head_flag_predicateIiEiEE10hipError_tPvRmT2_T3_T4_T5_mT6_T7_P12ihipStream_tbENKUlT_T0_E_clISt17integral_constantIbLb1EESY_IbLb0EEEEDaSU_SV_EUlSU_E_NS1_11comp_targetILNS1_3genE5ELNS1_11target_archE942ELNS1_3gpuE9ELNS1_3repE0EEENS1_30default_config_static_selectorELNS0_4arch9wavefront6targetE1EEEvT1_,"axG",@progbits,_ZN7rocprim17ROCPRIM_400000_NS6detail17trampoline_kernelINS0_14default_configENS1_27scan_by_key_config_selectorIiiEEZZNS1_16scan_by_key_implILNS1_25lookback_scan_determinismE0ELb0ES3_N6thrust23THRUST_200600_302600_NS6detail15normal_iteratorINS9_10device_ptrIiEEEESE_SE_iNS9_4plusIvEE19head_flag_predicateIiEiEE10hipError_tPvRmT2_T3_T4_T5_mT6_T7_P12ihipStream_tbENKUlT_T0_E_clISt17integral_constantIbLb1EESY_IbLb0EEEEDaSU_SV_EUlSU_E_NS1_11comp_targetILNS1_3genE5ELNS1_11target_archE942ELNS1_3gpuE9ELNS1_3repE0EEENS1_30default_config_static_selectorELNS0_4arch9wavefront6targetE1EEEvT1_,comdat
	.protected	_ZN7rocprim17ROCPRIM_400000_NS6detail17trampoline_kernelINS0_14default_configENS1_27scan_by_key_config_selectorIiiEEZZNS1_16scan_by_key_implILNS1_25lookback_scan_determinismE0ELb0ES3_N6thrust23THRUST_200600_302600_NS6detail15normal_iteratorINS9_10device_ptrIiEEEESE_SE_iNS9_4plusIvEE19head_flag_predicateIiEiEE10hipError_tPvRmT2_T3_T4_T5_mT6_T7_P12ihipStream_tbENKUlT_T0_E_clISt17integral_constantIbLb1EESY_IbLb0EEEEDaSU_SV_EUlSU_E_NS1_11comp_targetILNS1_3genE5ELNS1_11target_archE942ELNS1_3gpuE9ELNS1_3repE0EEENS1_30default_config_static_selectorELNS0_4arch9wavefront6targetE1EEEvT1_ ; -- Begin function _ZN7rocprim17ROCPRIM_400000_NS6detail17trampoline_kernelINS0_14default_configENS1_27scan_by_key_config_selectorIiiEEZZNS1_16scan_by_key_implILNS1_25lookback_scan_determinismE0ELb0ES3_N6thrust23THRUST_200600_302600_NS6detail15normal_iteratorINS9_10device_ptrIiEEEESE_SE_iNS9_4plusIvEE19head_flag_predicateIiEiEE10hipError_tPvRmT2_T3_T4_T5_mT6_T7_P12ihipStream_tbENKUlT_T0_E_clISt17integral_constantIbLb1EESY_IbLb0EEEEDaSU_SV_EUlSU_E_NS1_11comp_targetILNS1_3genE5ELNS1_11target_archE942ELNS1_3gpuE9ELNS1_3repE0EEENS1_30default_config_static_selectorELNS0_4arch9wavefront6targetE1EEEvT1_
	.globl	_ZN7rocprim17ROCPRIM_400000_NS6detail17trampoline_kernelINS0_14default_configENS1_27scan_by_key_config_selectorIiiEEZZNS1_16scan_by_key_implILNS1_25lookback_scan_determinismE0ELb0ES3_N6thrust23THRUST_200600_302600_NS6detail15normal_iteratorINS9_10device_ptrIiEEEESE_SE_iNS9_4plusIvEE19head_flag_predicateIiEiEE10hipError_tPvRmT2_T3_T4_T5_mT6_T7_P12ihipStream_tbENKUlT_T0_E_clISt17integral_constantIbLb1EESY_IbLb0EEEEDaSU_SV_EUlSU_E_NS1_11comp_targetILNS1_3genE5ELNS1_11target_archE942ELNS1_3gpuE9ELNS1_3repE0EEENS1_30default_config_static_selectorELNS0_4arch9wavefront6targetE1EEEvT1_
	.p2align	8
	.type	_ZN7rocprim17ROCPRIM_400000_NS6detail17trampoline_kernelINS0_14default_configENS1_27scan_by_key_config_selectorIiiEEZZNS1_16scan_by_key_implILNS1_25lookback_scan_determinismE0ELb0ES3_N6thrust23THRUST_200600_302600_NS6detail15normal_iteratorINS9_10device_ptrIiEEEESE_SE_iNS9_4plusIvEE19head_flag_predicateIiEiEE10hipError_tPvRmT2_T3_T4_T5_mT6_T7_P12ihipStream_tbENKUlT_T0_E_clISt17integral_constantIbLb1EESY_IbLb0EEEEDaSU_SV_EUlSU_E_NS1_11comp_targetILNS1_3genE5ELNS1_11target_archE942ELNS1_3gpuE9ELNS1_3repE0EEENS1_30default_config_static_selectorELNS0_4arch9wavefront6targetE1EEEvT1_,@function
_ZN7rocprim17ROCPRIM_400000_NS6detail17trampoline_kernelINS0_14default_configENS1_27scan_by_key_config_selectorIiiEEZZNS1_16scan_by_key_implILNS1_25lookback_scan_determinismE0ELb0ES3_N6thrust23THRUST_200600_302600_NS6detail15normal_iteratorINS9_10device_ptrIiEEEESE_SE_iNS9_4plusIvEE19head_flag_predicateIiEiEE10hipError_tPvRmT2_T3_T4_T5_mT6_T7_P12ihipStream_tbENKUlT_T0_E_clISt17integral_constantIbLb1EESY_IbLb0EEEEDaSU_SV_EUlSU_E_NS1_11comp_targetILNS1_3genE5ELNS1_11target_archE942ELNS1_3gpuE9ELNS1_3repE0EEENS1_30default_config_static_selectorELNS0_4arch9wavefront6targetE1EEEvT1_: ; @_ZN7rocprim17ROCPRIM_400000_NS6detail17trampoline_kernelINS0_14default_configENS1_27scan_by_key_config_selectorIiiEEZZNS1_16scan_by_key_implILNS1_25lookback_scan_determinismE0ELb0ES3_N6thrust23THRUST_200600_302600_NS6detail15normal_iteratorINS9_10device_ptrIiEEEESE_SE_iNS9_4plusIvEE19head_flag_predicateIiEiEE10hipError_tPvRmT2_T3_T4_T5_mT6_T7_P12ihipStream_tbENKUlT_T0_E_clISt17integral_constantIbLb1EESY_IbLb0EEEEDaSU_SV_EUlSU_E_NS1_11comp_targetILNS1_3genE5ELNS1_11target_archE942ELNS1_3gpuE9ELNS1_3repE0EEENS1_30default_config_static_selectorELNS0_4arch9wavefront6targetE1EEEvT1_
; %bb.0:
	.section	.rodata,"a",@progbits
	.p2align	6, 0x0
	.amdhsa_kernel _ZN7rocprim17ROCPRIM_400000_NS6detail17trampoline_kernelINS0_14default_configENS1_27scan_by_key_config_selectorIiiEEZZNS1_16scan_by_key_implILNS1_25lookback_scan_determinismE0ELb0ES3_N6thrust23THRUST_200600_302600_NS6detail15normal_iteratorINS9_10device_ptrIiEEEESE_SE_iNS9_4plusIvEE19head_flag_predicateIiEiEE10hipError_tPvRmT2_T3_T4_T5_mT6_T7_P12ihipStream_tbENKUlT_T0_E_clISt17integral_constantIbLb1EESY_IbLb0EEEEDaSU_SV_EUlSU_E_NS1_11comp_targetILNS1_3genE5ELNS1_11target_archE942ELNS1_3gpuE9ELNS1_3repE0EEENS1_30default_config_static_selectorELNS0_4arch9wavefront6targetE1EEEvT1_
		.amdhsa_group_segment_fixed_size 0
		.amdhsa_private_segment_fixed_size 0
		.amdhsa_kernarg_size 112
		.amdhsa_user_sgpr_count 6
		.amdhsa_user_sgpr_private_segment_buffer 1
		.amdhsa_user_sgpr_dispatch_ptr 0
		.amdhsa_user_sgpr_queue_ptr 0
		.amdhsa_user_sgpr_kernarg_segment_ptr 1
		.amdhsa_user_sgpr_dispatch_id 0
		.amdhsa_user_sgpr_flat_scratch_init 0
		.amdhsa_user_sgpr_kernarg_preload_length 0
		.amdhsa_user_sgpr_kernarg_preload_offset 0
		.amdhsa_user_sgpr_private_segment_size 0
		.amdhsa_uses_dynamic_stack 0
		.amdhsa_system_sgpr_private_segment_wavefront_offset 0
		.amdhsa_system_sgpr_workgroup_id_x 1
		.amdhsa_system_sgpr_workgroup_id_y 0
		.amdhsa_system_sgpr_workgroup_id_z 0
		.amdhsa_system_sgpr_workgroup_info 0
		.amdhsa_system_vgpr_workitem_id 0
		.amdhsa_next_free_vgpr 1
		.amdhsa_next_free_sgpr 0
		.amdhsa_accum_offset 4
		.amdhsa_reserve_vcc 0
		.amdhsa_reserve_flat_scratch 0
		.amdhsa_float_round_mode_32 0
		.amdhsa_float_round_mode_16_64 0
		.amdhsa_float_denorm_mode_32 3
		.amdhsa_float_denorm_mode_16_64 3
		.amdhsa_dx10_clamp 1
		.amdhsa_ieee_mode 1
		.amdhsa_fp16_overflow 0
		.amdhsa_tg_split 0
		.amdhsa_exception_fp_ieee_invalid_op 0
		.amdhsa_exception_fp_denorm_src 0
		.amdhsa_exception_fp_ieee_div_zero 0
		.amdhsa_exception_fp_ieee_overflow 0
		.amdhsa_exception_fp_ieee_underflow 0
		.amdhsa_exception_fp_ieee_inexact 0
		.amdhsa_exception_int_div_zero 0
	.end_amdhsa_kernel
	.section	.text._ZN7rocprim17ROCPRIM_400000_NS6detail17trampoline_kernelINS0_14default_configENS1_27scan_by_key_config_selectorIiiEEZZNS1_16scan_by_key_implILNS1_25lookback_scan_determinismE0ELb0ES3_N6thrust23THRUST_200600_302600_NS6detail15normal_iteratorINS9_10device_ptrIiEEEESE_SE_iNS9_4plusIvEE19head_flag_predicateIiEiEE10hipError_tPvRmT2_T3_T4_T5_mT6_T7_P12ihipStream_tbENKUlT_T0_E_clISt17integral_constantIbLb1EESY_IbLb0EEEEDaSU_SV_EUlSU_E_NS1_11comp_targetILNS1_3genE5ELNS1_11target_archE942ELNS1_3gpuE9ELNS1_3repE0EEENS1_30default_config_static_selectorELNS0_4arch9wavefront6targetE1EEEvT1_,"axG",@progbits,_ZN7rocprim17ROCPRIM_400000_NS6detail17trampoline_kernelINS0_14default_configENS1_27scan_by_key_config_selectorIiiEEZZNS1_16scan_by_key_implILNS1_25lookback_scan_determinismE0ELb0ES3_N6thrust23THRUST_200600_302600_NS6detail15normal_iteratorINS9_10device_ptrIiEEEESE_SE_iNS9_4plusIvEE19head_flag_predicateIiEiEE10hipError_tPvRmT2_T3_T4_T5_mT6_T7_P12ihipStream_tbENKUlT_T0_E_clISt17integral_constantIbLb1EESY_IbLb0EEEEDaSU_SV_EUlSU_E_NS1_11comp_targetILNS1_3genE5ELNS1_11target_archE942ELNS1_3gpuE9ELNS1_3repE0EEENS1_30default_config_static_selectorELNS0_4arch9wavefront6targetE1EEEvT1_,comdat
.Lfunc_end65:
	.size	_ZN7rocprim17ROCPRIM_400000_NS6detail17trampoline_kernelINS0_14default_configENS1_27scan_by_key_config_selectorIiiEEZZNS1_16scan_by_key_implILNS1_25lookback_scan_determinismE0ELb0ES3_N6thrust23THRUST_200600_302600_NS6detail15normal_iteratorINS9_10device_ptrIiEEEESE_SE_iNS9_4plusIvEE19head_flag_predicateIiEiEE10hipError_tPvRmT2_T3_T4_T5_mT6_T7_P12ihipStream_tbENKUlT_T0_E_clISt17integral_constantIbLb1EESY_IbLb0EEEEDaSU_SV_EUlSU_E_NS1_11comp_targetILNS1_3genE5ELNS1_11target_archE942ELNS1_3gpuE9ELNS1_3repE0EEENS1_30default_config_static_selectorELNS0_4arch9wavefront6targetE1EEEvT1_, .Lfunc_end65-_ZN7rocprim17ROCPRIM_400000_NS6detail17trampoline_kernelINS0_14default_configENS1_27scan_by_key_config_selectorIiiEEZZNS1_16scan_by_key_implILNS1_25lookback_scan_determinismE0ELb0ES3_N6thrust23THRUST_200600_302600_NS6detail15normal_iteratorINS9_10device_ptrIiEEEESE_SE_iNS9_4plusIvEE19head_flag_predicateIiEiEE10hipError_tPvRmT2_T3_T4_T5_mT6_T7_P12ihipStream_tbENKUlT_T0_E_clISt17integral_constantIbLb1EESY_IbLb0EEEEDaSU_SV_EUlSU_E_NS1_11comp_targetILNS1_3genE5ELNS1_11target_archE942ELNS1_3gpuE9ELNS1_3repE0EEENS1_30default_config_static_selectorELNS0_4arch9wavefront6targetE1EEEvT1_
                                        ; -- End function
	.section	.AMDGPU.csdata,"",@progbits
; Kernel info:
; codeLenInByte = 0
; NumSgprs: 4
; NumVgprs: 0
; NumAgprs: 0
; TotalNumVgprs: 0
; ScratchSize: 0
; MemoryBound: 0
; FloatMode: 240
; IeeeMode: 1
; LDSByteSize: 0 bytes/workgroup (compile time only)
; SGPRBlocks: 0
; VGPRBlocks: 0
; NumSGPRsForWavesPerEU: 4
; NumVGPRsForWavesPerEU: 1
; AccumOffset: 4
; Occupancy: 8
; WaveLimiterHint : 0
; COMPUTE_PGM_RSRC2:SCRATCH_EN: 0
; COMPUTE_PGM_RSRC2:USER_SGPR: 6
; COMPUTE_PGM_RSRC2:TRAP_HANDLER: 0
; COMPUTE_PGM_RSRC2:TGID_X_EN: 1
; COMPUTE_PGM_RSRC2:TGID_Y_EN: 0
; COMPUTE_PGM_RSRC2:TGID_Z_EN: 0
; COMPUTE_PGM_RSRC2:TIDIG_COMP_CNT: 0
; COMPUTE_PGM_RSRC3_GFX90A:ACCUM_OFFSET: 0
; COMPUTE_PGM_RSRC3_GFX90A:TG_SPLIT: 0
	.section	.text._ZN7rocprim17ROCPRIM_400000_NS6detail17trampoline_kernelINS0_14default_configENS1_27scan_by_key_config_selectorIiiEEZZNS1_16scan_by_key_implILNS1_25lookback_scan_determinismE0ELb0ES3_N6thrust23THRUST_200600_302600_NS6detail15normal_iteratorINS9_10device_ptrIiEEEESE_SE_iNS9_4plusIvEE19head_flag_predicateIiEiEE10hipError_tPvRmT2_T3_T4_T5_mT6_T7_P12ihipStream_tbENKUlT_T0_E_clISt17integral_constantIbLb1EESY_IbLb0EEEEDaSU_SV_EUlSU_E_NS1_11comp_targetILNS1_3genE4ELNS1_11target_archE910ELNS1_3gpuE8ELNS1_3repE0EEENS1_30default_config_static_selectorELNS0_4arch9wavefront6targetE1EEEvT1_,"axG",@progbits,_ZN7rocprim17ROCPRIM_400000_NS6detail17trampoline_kernelINS0_14default_configENS1_27scan_by_key_config_selectorIiiEEZZNS1_16scan_by_key_implILNS1_25lookback_scan_determinismE0ELb0ES3_N6thrust23THRUST_200600_302600_NS6detail15normal_iteratorINS9_10device_ptrIiEEEESE_SE_iNS9_4plusIvEE19head_flag_predicateIiEiEE10hipError_tPvRmT2_T3_T4_T5_mT6_T7_P12ihipStream_tbENKUlT_T0_E_clISt17integral_constantIbLb1EESY_IbLb0EEEEDaSU_SV_EUlSU_E_NS1_11comp_targetILNS1_3genE4ELNS1_11target_archE910ELNS1_3gpuE8ELNS1_3repE0EEENS1_30default_config_static_selectorELNS0_4arch9wavefront6targetE1EEEvT1_,comdat
	.protected	_ZN7rocprim17ROCPRIM_400000_NS6detail17trampoline_kernelINS0_14default_configENS1_27scan_by_key_config_selectorIiiEEZZNS1_16scan_by_key_implILNS1_25lookback_scan_determinismE0ELb0ES3_N6thrust23THRUST_200600_302600_NS6detail15normal_iteratorINS9_10device_ptrIiEEEESE_SE_iNS9_4plusIvEE19head_flag_predicateIiEiEE10hipError_tPvRmT2_T3_T4_T5_mT6_T7_P12ihipStream_tbENKUlT_T0_E_clISt17integral_constantIbLb1EESY_IbLb0EEEEDaSU_SV_EUlSU_E_NS1_11comp_targetILNS1_3genE4ELNS1_11target_archE910ELNS1_3gpuE8ELNS1_3repE0EEENS1_30default_config_static_selectorELNS0_4arch9wavefront6targetE1EEEvT1_ ; -- Begin function _ZN7rocprim17ROCPRIM_400000_NS6detail17trampoline_kernelINS0_14default_configENS1_27scan_by_key_config_selectorIiiEEZZNS1_16scan_by_key_implILNS1_25lookback_scan_determinismE0ELb0ES3_N6thrust23THRUST_200600_302600_NS6detail15normal_iteratorINS9_10device_ptrIiEEEESE_SE_iNS9_4plusIvEE19head_flag_predicateIiEiEE10hipError_tPvRmT2_T3_T4_T5_mT6_T7_P12ihipStream_tbENKUlT_T0_E_clISt17integral_constantIbLb1EESY_IbLb0EEEEDaSU_SV_EUlSU_E_NS1_11comp_targetILNS1_3genE4ELNS1_11target_archE910ELNS1_3gpuE8ELNS1_3repE0EEENS1_30default_config_static_selectorELNS0_4arch9wavefront6targetE1EEEvT1_
	.globl	_ZN7rocprim17ROCPRIM_400000_NS6detail17trampoline_kernelINS0_14default_configENS1_27scan_by_key_config_selectorIiiEEZZNS1_16scan_by_key_implILNS1_25lookback_scan_determinismE0ELb0ES3_N6thrust23THRUST_200600_302600_NS6detail15normal_iteratorINS9_10device_ptrIiEEEESE_SE_iNS9_4plusIvEE19head_flag_predicateIiEiEE10hipError_tPvRmT2_T3_T4_T5_mT6_T7_P12ihipStream_tbENKUlT_T0_E_clISt17integral_constantIbLb1EESY_IbLb0EEEEDaSU_SV_EUlSU_E_NS1_11comp_targetILNS1_3genE4ELNS1_11target_archE910ELNS1_3gpuE8ELNS1_3repE0EEENS1_30default_config_static_selectorELNS0_4arch9wavefront6targetE1EEEvT1_
	.p2align	8
	.type	_ZN7rocprim17ROCPRIM_400000_NS6detail17trampoline_kernelINS0_14default_configENS1_27scan_by_key_config_selectorIiiEEZZNS1_16scan_by_key_implILNS1_25lookback_scan_determinismE0ELb0ES3_N6thrust23THRUST_200600_302600_NS6detail15normal_iteratorINS9_10device_ptrIiEEEESE_SE_iNS9_4plusIvEE19head_flag_predicateIiEiEE10hipError_tPvRmT2_T3_T4_T5_mT6_T7_P12ihipStream_tbENKUlT_T0_E_clISt17integral_constantIbLb1EESY_IbLb0EEEEDaSU_SV_EUlSU_E_NS1_11comp_targetILNS1_3genE4ELNS1_11target_archE910ELNS1_3gpuE8ELNS1_3repE0EEENS1_30default_config_static_selectorELNS0_4arch9wavefront6targetE1EEEvT1_,@function
_ZN7rocprim17ROCPRIM_400000_NS6detail17trampoline_kernelINS0_14default_configENS1_27scan_by_key_config_selectorIiiEEZZNS1_16scan_by_key_implILNS1_25lookback_scan_determinismE0ELb0ES3_N6thrust23THRUST_200600_302600_NS6detail15normal_iteratorINS9_10device_ptrIiEEEESE_SE_iNS9_4plusIvEE19head_flag_predicateIiEiEE10hipError_tPvRmT2_T3_T4_T5_mT6_T7_P12ihipStream_tbENKUlT_T0_E_clISt17integral_constantIbLb1EESY_IbLb0EEEEDaSU_SV_EUlSU_E_NS1_11comp_targetILNS1_3genE4ELNS1_11target_archE910ELNS1_3gpuE8ELNS1_3repE0EEENS1_30default_config_static_selectorELNS0_4arch9wavefront6targetE1EEEvT1_: ; @_ZN7rocprim17ROCPRIM_400000_NS6detail17trampoline_kernelINS0_14default_configENS1_27scan_by_key_config_selectorIiiEEZZNS1_16scan_by_key_implILNS1_25lookback_scan_determinismE0ELb0ES3_N6thrust23THRUST_200600_302600_NS6detail15normal_iteratorINS9_10device_ptrIiEEEESE_SE_iNS9_4plusIvEE19head_flag_predicateIiEiEE10hipError_tPvRmT2_T3_T4_T5_mT6_T7_P12ihipStream_tbENKUlT_T0_E_clISt17integral_constantIbLb1EESY_IbLb0EEEEDaSU_SV_EUlSU_E_NS1_11comp_targetILNS1_3genE4ELNS1_11target_archE910ELNS1_3gpuE8ELNS1_3repE0EEENS1_30default_config_static_selectorELNS0_4arch9wavefront6targetE1EEEvT1_
; %bb.0:
	s_load_dwordx8 s[36:43], s[4:5], 0x0
	s_load_dwordx4 s[44:47], s[4:5], 0x28
	s_load_dwordx2 s[52:53], s[4:5], 0x38
	s_load_dword s0, s[4:5], 0x40
	s_load_dwordx4 s[48:51], s[4:5], 0x48
	s_waitcnt lgkmcnt(0)
	s_lshl_b64 s[38:39], s[38:39], 2
	s_add_u32 s2, s36, s38
	s_addc_u32 s3, s37, s39
	s_add_u32 s4, s40, s38
	s_mul_i32 s1, s53, s0
	s_mul_hi_u32 s7, s52, s0
	s_addc_u32 s5, s41, s39
	s_add_i32 s8, s7, s1
	s_mul_i32 s9, s52, s0
	s_mul_i32 s0, s6, 0xe00
	s_mov_b32 s1, 0
	s_lshl_b64 s[36:37], s[0:1], 2
	s_add_u32 s34, s2, s36
	s_addc_u32 s35, s3, s37
	s_add_u32 s7, s4, s36
	s_addc_u32 s47, s5, s37
	;; [unrolled: 2-line block ×3, first 2 shown]
	s_add_u32 s4, s48, -1
	s_addc_u32 s5, s49, -1
	v_pk_mov_b32 v[2:3], s[4:5], s[4:5] op_sel:[0,1]
	v_cmp_ge_u64_e64 s[0:1], s[0:1], v[2:3]
	s_mov_b64 s[2:3], -1
	s_and_b64 vcc, exec, s[0:1]
	s_mul_i32 s33, s4, 0xfffff200
	s_barrier
	s_cbranch_vccz .LBB66_72
; %bb.1:
	v_pk_mov_b32 v[2:3], s[34:35], s[34:35] op_sel:[0,1]
	flat_load_dword v1, v[2:3]
	s_add_i32 s48, s33, s46
	v_cmp_gt_u32_e32 vcc, s48, v0
	s_waitcnt vmcnt(0) lgkmcnt(0)
	v_mov_b32_e32 v13, v1
	s_and_saveexec_b64 s[4:5], vcc
	s_cbranch_execz .LBB66_3
; %bb.2:
	v_lshlrev_b32_e32 v2, 2, v0
	v_mov_b32_e32 v3, s35
	v_add_co_u32_e64 v2, s[2:3], s34, v2
	v_addc_co_u32_e64 v3, s[2:3], 0, v3, s[2:3]
	flat_load_dword v13, v[2:3]
.LBB66_3:
	s_or_b64 exec, exec, s[4:5]
	v_or_b32_e32 v2, 0x100, v0
	v_cmp_gt_u32_e64 s[2:3], s48, v2
	v_mov_b32_e32 v14, v1
	s_and_saveexec_b64 s[8:9], s[2:3]
	s_cbranch_execz .LBB66_5
; %bb.4:
	v_lshlrev_b32_e32 v2, 2, v0
	v_mov_b32_e32 v3, s35
	v_add_co_u32_e64 v2, s[4:5], s34, v2
	v_addc_co_u32_e64 v3, s[4:5], 0, v3, s[4:5]
	flat_load_dword v14, v[2:3] offset:1024
.LBB66_5:
	s_or_b64 exec, exec, s[8:9]
	v_or_b32_e32 v2, 0x200, v0
	v_cmp_gt_u32_e64 s[4:5], s48, v2
	v_mov_b32_e32 v15, v1
	s_and_saveexec_b64 s[10:11], s[4:5]
	s_cbranch_execz .LBB66_7
; %bb.6:
	v_lshlrev_b32_e32 v2, 2, v0
	v_mov_b32_e32 v3, s35
	v_add_co_u32_e64 v2, s[8:9], s34, v2
	v_addc_co_u32_e64 v3, s[8:9], 0, v3, s[8:9]
	flat_load_dword v15, v[2:3] offset:2048
.LBB66_7:
	;; [unrolled: 13-line block ×3, first 2 shown]
	s_or_b64 exec, exec, s[10:11]
	v_or_b32_e32 v2, 0x400, v0
	v_cmp_gt_u32_e64 s[8:9], s48, v2
	v_mov_b32_e32 v17, v1
	s_and_saveexec_b64 s[12:13], s[8:9]
	s_cbranch_execz .LBB66_11
; %bb.10:
	v_lshlrev_b32_e32 v3, 2, v2
	v_mov_b32_e32 v5, s35
	v_add_co_u32_e64 v4, s[10:11], s34, v3
	v_addc_co_u32_e64 v5, s[10:11], 0, v5, s[10:11]
	flat_load_dword v17, v[4:5]
.LBB66_11:
	s_or_b64 exec, exec, s[12:13]
	v_or_b32_e32 v3, 0x500, v0
	v_cmp_gt_u32_e64 s[10:11], s48, v3
	v_mov_b32_e32 v18, v1
	s_and_saveexec_b64 s[14:15], s[10:11]
	s_cbranch_execz .LBB66_13
; %bb.12:
	v_lshlrev_b32_e32 v4, 2, v3
	v_mov_b32_e32 v5, s35
	v_add_co_u32_e64 v4, s[12:13], s34, v4
	v_addc_co_u32_e64 v5, s[12:13], 0, v5, s[12:13]
	flat_load_dword v18, v[4:5]
.LBB66_13:
	;; [unrolled: 13-line block ×9, first 2 shown]
	s_or_b64 exec, exec, s[30:31]
	v_or_b32_e32 v11, 0xd00, v0
	v_cmp_gt_u32_e64 s[26:27], s48, v11
	s_and_saveexec_b64 s[40:41], s[26:27]
	s_cbranch_execz .LBB66_29
; %bb.28:
	v_lshlrev_b32_e32 v1, 2, v11
	v_mov_b32_e32 v12, s35
	v_add_co_u32_e64 v26, s[30:31], s34, v1
	v_addc_co_u32_e64 v27, s[30:31], 0, v12, s[30:31]
	flat_load_dword v1, v[26:27]
.LBB66_29:
	s_or_b64 exec, exec, s[40:41]
	v_lshlrev_b32_e32 v12, 2, v0
	s_waitcnt vmcnt(0) lgkmcnt(0)
	ds_write2st64_b32 v12, v13, v14 offset1:4
	ds_write2st64_b32 v12, v15, v16 offset0:8 offset1:12
	ds_write2st64_b32 v12, v17, v18 offset0:16 offset1:20
	;; [unrolled: 1-line block ×6, first 2 shown]
	v_mad_u32_u24 v1, v0, 52, v12
	s_waitcnt lgkmcnt(0)
	s_barrier
	ds_read2_b64 v[26:29], v1 offset0:4 offset1:5
	ds_read_b64 v[42:43], v1 offset:48
	ds_read2_b64 v[34:37], v1 offset1:1
	ds_read2_b64 v[30:33], v1 offset0:2 offset1:3
	s_movk_i32 s30, 0xffcc
	v_mad_i32_i24 v13, v0, s30, v1
	s_waitcnt lgkmcnt(2)
	ds_write_b32 v13, v43 offset:14336
	s_waitcnt lgkmcnt(0)
	s_barrier
	s_barrier
	s_waitcnt lgkmcnt(0)
                                        ; implicit-def: $vgpr13
	s_and_saveexec_b64 s[30:31], vcc
	s_cbranch_execz .LBB66_109
; %bb.30:
	v_mov_b32_e32 v13, s47
	v_add_co_u32_e32 v14, vcc, s7, v12
	v_addc_co_u32_e32 v15, vcc, 0, v13, vcc
	flat_load_dword v13, v[14:15]
	s_or_b64 exec, exec, s[30:31]
                                        ; implicit-def: $vgpr14
	s_and_saveexec_b64 s[30:31], s[2:3]
	s_cbranch_execnz .LBB66_110
.LBB66_31:
	s_or_b64 exec, exec, s[30:31]
                                        ; implicit-def: $vgpr15
	s_and_saveexec_b64 s[2:3], s[4:5]
	s_cbranch_execz .LBB66_111
.LBB66_32:
	v_mov_b32_e32 v15, s47
	v_add_co_u32_e32 v16, vcc, s7, v12
	v_addc_co_u32_e32 v17, vcc, 0, v15, vcc
	flat_load_dword v15, v[16:17] offset:2048
	s_or_b64 exec, exec, s[2:3]
                                        ; implicit-def: $vgpr16
	s_and_saveexec_b64 s[2:3], s[28:29]
	s_cbranch_execnz .LBB66_112
.LBB66_33:
	s_or_b64 exec, exec, s[2:3]
                                        ; implicit-def: $vgpr17
	s_and_saveexec_b64 s[2:3], s[8:9]
	s_cbranch_execz .LBB66_113
.LBB66_34:
	v_lshlrev_b32_e32 v2, 2, v2
	v_mov_b32_e32 v17, s47
	v_add_co_u32_e32 v18, vcc, s7, v2
	v_addc_co_u32_e32 v19, vcc, 0, v17, vcc
	flat_load_dword v17, v[18:19]
	s_or_b64 exec, exec, s[2:3]
                                        ; implicit-def: $vgpr2
	s_and_saveexec_b64 s[2:3], s[10:11]
	s_cbranch_execnz .LBB66_114
.LBB66_35:
	s_or_b64 exec, exec, s[2:3]
                                        ; implicit-def: $vgpr3
	s_and_saveexec_b64 s[2:3], s[12:13]
	s_cbranch_execz .LBB66_115
.LBB66_36:
	v_lshlrev_b32_e32 v3, 2, v4
	v_mov_b32_e32 v4, s47
	v_add_co_u32_e32 v18, vcc, s7, v3
	v_addc_co_u32_e32 v19, vcc, 0, v4, vcc
	flat_load_dword v3, v[18:19]
	s_or_b64 exec, exec, s[2:3]
                                        ; implicit-def: $vgpr4
	s_and_saveexec_b64 s[2:3], s[14:15]
	s_cbranch_execnz .LBB66_116
.LBB66_37:
	s_or_b64 exec, exec, s[2:3]
                                        ; implicit-def: $vgpr5
	s_and_saveexec_b64 s[2:3], s[16:17]
	s_cbranch_execz .LBB66_117
.LBB66_38:
	v_lshlrev_b32_e32 v5, 2, v6
	v_mov_b32_e32 v6, s47
	v_add_co_u32_e32 v18, vcc, s7, v5
	v_addc_co_u32_e32 v19, vcc, 0, v6, vcc
	flat_load_dword v5, v[18:19]
	s_or_b64 exec, exec, s[2:3]
                                        ; implicit-def: $vgpr6
	s_and_saveexec_b64 s[2:3], s[18:19]
	s_cbranch_execnz .LBB66_118
.LBB66_39:
	s_or_b64 exec, exec, s[2:3]
                                        ; implicit-def: $vgpr7
	s_and_saveexec_b64 s[2:3], s[20:21]
	s_cbranch_execz .LBB66_119
.LBB66_40:
	v_lshlrev_b32_e32 v7, 2, v8
	v_mov_b32_e32 v8, s47
	v_add_co_u32_e32 v18, vcc, s7, v7
	v_addc_co_u32_e32 v19, vcc, 0, v8, vcc
	flat_load_dword v7, v[18:19]
	s_or_b64 exec, exec, s[2:3]
                                        ; implicit-def: $vgpr8
	s_and_saveexec_b64 s[2:3], s[22:23]
	s_cbranch_execnz .LBB66_120
.LBB66_41:
	s_or_b64 exec, exec, s[2:3]
                                        ; implicit-def: $vgpr9
	s_and_saveexec_b64 s[2:3], s[24:25]
	s_cbranch_execz .LBB66_43
.LBB66_42:
	v_lshlrev_b32_e32 v9, 2, v10
	v_mov_b32_e32 v10, s47
	v_add_co_u32_e32 v18, vcc, s7, v9
	v_addc_co_u32_e32 v19, vcc, 0, v10, vcc
	flat_load_dword v9, v[18:19]
.LBB66_43:
	s_or_b64 exec, exec, s[2:3]
	v_mul_u32_u24_e32 v44, 14, v0
                                        ; implicit-def: $vgpr10
	s_and_saveexec_b64 s[2:3], s[26:27]
	s_cbranch_execz .LBB66_45
; %bb.44:
	v_lshlrev_b32_e32 v10, 2, v11
	v_mov_b32_e32 v11, s47
	v_add_co_u32_e32 v10, vcc, s7, v10
	v_addc_co_u32_e32 v11, vcc, 0, v11, vcc
	flat_load_dword v10, v[10:11]
.LBB66_45:
	s_or_b64 exec, exec, s[2:3]
	s_mov_b32 s8, 0
	s_mov_b32 s9, s8
	s_waitcnt vmcnt(0) lgkmcnt(0)
	ds_write2st64_b32 v12, v13, v14 offset1:4
	ds_write2st64_b32 v12, v15, v16 offset0:8 offset1:12
	ds_write2st64_b32 v12, v17, v2 offset0:16 offset1:20
	;; [unrolled: 1-line block ×6, first 2 shown]
	s_mov_b32 s10, s8
	s_mov_b32 s11, s8
	s_mov_b32 s12, s8
	s_mov_b32 s13, s8
	s_mov_b32 s14, s8
	s_mov_b32 s15, s8
	v_pk_mov_b32 v[2:3], s[8:9], s[8:9] op_sel:[0,1]
	v_pk_mov_b32 v[8:9], s[14:15], s[14:15] op_sel:[0,1]
	;; [unrolled: 1-line block ×6, first 2 shown]
	v_cmp_gt_u32_e32 vcc, s48, v44
	s_mov_b64 s[2:3], 0
	v_pk_mov_b32 v[38:39], 0, 0
	s_mov_b64 s[16:17], 0
	v_pk_mov_b32 v[14:15], v[6:7], v[6:7] op_sel:[0,1]
	v_pk_mov_b32 v[12:13], v[4:5], v[4:5] op_sel:[0,1]
	;; [unrolled: 1-line block ×6, first 2 shown]
	s_waitcnt lgkmcnt(0)
	s_barrier
	s_waitcnt lgkmcnt(0)
                                        ; implicit-def: $vgpr45
	s_and_saveexec_b64 s[4:5], vcc
	s_cbranch_execz .LBB66_71
; %bb.46:
	v_or_b32_e32 v2, 1, v44
	ds_read_b32 v38, v1
	v_cmp_ne_u32_e32 vcc, 0, v34
	v_cndmask_b32_e64 v39, 0, 1, vcc
	v_cmp_gt_u32_e32 vcc, s48, v2
	v_pk_mov_b32 v[2:3], s[8:9], s[8:9] op_sel:[0,1]
	v_pk_mov_b32 v[8:9], s[14:15], s[14:15] op_sel:[0,1]
	;; [unrolled: 1-line block ×6, first 2 shown]
	s_mov_b64 s[18:19], 0
	v_pk_mov_b32 v[14:15], v[6:7], v[6:7] op_sel:[0,1]
	v_pk_mov_b32 v[12:13], v[4:5], v[4:5] op_sel:[0,1]
	;; [unrolled: 1-line block ×6, first 2 shown]
                                        ; implicit-def: $vgpr45
	s_and_saveexec_b64 s[16:17], vcc
	s_cbranch_execz .LBB66_70
; %bb.47:
	ds_read2_b32 v[40:41], v1 offset0:1 offset1:2
	s_mov_b32 s14, s8
	s_mov_b32 s15, s8
	;; [unrolled: 1-line block ×7, first 2 shown]
	v_pk_mov_b32 v[16:17], s[14:15], s[14:15] op_sel:[0,1]
	v_add_u32_e32 v2, 2, v44
	v_cmp_ne_u32_e32 vcc, 0, v35
	v_mov_b32_e32 v6, 0
	v_pk_mov_b32 v[14:15], s[12:13], s[12:13] op_sel:[0,1]
	v_pk_mov_b32 v[12:13], s[10:11], s[10:11] op_sel:[0,1]
	;; [unrolled: 1-line block ×4, first 2 shown]
	v_cndmask_b32_e64 v3, 0, 1, vcc
	v_cmp_gt_u32_e32 vcc, s48, v2
	s_waitcnt lgkmcnt(0)
	v_mov_b32_e32 v2, v40
	v_mov_b32_e32 v4, v6
	;; [unrolled: 1-line block ×6, first 2 shown]
	s_mov_b64 s[20:21], 0
	v_pk_mov_b32 v[22:23], v[14:15], v[14:15] op_sel:[0,1]
	v_pk_mov_b32 v[20:21], v[12:13], v[12:13] op_sel:[0,1]
	;; [unrolled: 1-line block ×3, first 2 shown]
                                        ; implicit-def: $vgpr45
	s_and_saveexec_b64 s[18:19], vcc
	s_cbranch_execz .LBB66_69
; %bb.48:
	v_pk_mov_b32 v[16:17], s[14:15], s[14:15] op_sel:[0,1]
	v_add_u32_e32 v2, 3, v44
	v_cmp_ne_u32_e32 vcc, 0, v36
	v_pk_mov_b32 v[14:15], s[12:13], s[12:13] op_sel:[0,1]
	v_pk_mov_b32 v[12:13], s[10:11], s[10:11] op_sel:[0,1]
	;; [unrolled: 1-line block ×4, first 2 shown]
	v_cndmask_b32_e64 v5, 0, 1, vcc
	v_cmp_gt_u32_e32 vcc, s48, v2
	v_mov_b32_e32 v2, v40
	v_mov_b32_e32 v4, v41
	;; [unrolled: 1-line block ×5, first 2 shown]
	s_mov_b64 s[22:23], 0
	v_pk_mov_b32 v[22:23], v[14:15], v[14:15] op_sel:[0,1]
	v_pk_mov_b32 v[20:21], v[12:13], v[12:13] op_sel:[0,1]
	;; [unrolled: 1-line block ×3, first 2 shown]
                                        ; implicit-def: $vgpr45
	s_and_saveexec_b64 s[20:21], vcc
	s_cbranch_execz .LBB66_68
; %bb.49:
	ds_read2_b32 v[34:35], v1 offset0:3 offset1:4
	s_mov_b32 s14, s8
	s_mov_b32 s15, s8
	;; [unrolled: 1-line block ×7, first 2 shown]
	v_pk_mov_b32 v[16:17], s[14:15], s[14:15] op_sel:[0,1]
	v_add_u32_e32 v6, 4, v44
	v_cmp_ne_u32_e32 vcc, 0, v37
	v_pk_mov_b32 v[14:15], s[12:13], s[12:13] op_sel:[0,1]
	v_pk_mov_b32 v[12:13], s[10:11], s[10:11] op_sel:[0,1]
	;; [unrolled: 1-line block ×4, first 2 shown]
	v_cndmask_b32_e64 v7, 0, 1, vcc
	v_cmp_gt_u32_e32 vcc, s48, v6
	s_waitcnt lgkmcnt(0)
	v_mov_b32_e32 v6, v34
	v_mov_b32_e32 v8, s8
	;; [unrolled: 1-line block ×3, first 2 shown]
	s_mov_b64 s[24:25], 0
	v_pk_mov_b32 v[22:23], v[14:15], v[14:15] op_sel:[0,1]
	v_pk_mov_b32 v[20:21], v[12:13], v[12:13] op_sel:[0,1]
	;; [unrolled: 1-line block ×3, first 2 shown]
                                        ; implicit-def: $vgpr45
	s_and_saveexec_b64 s[22:23], vcc
	s_cbranch_execz .LBB66_67
; %bb.50:
	v_pk_mov_b32 v[16:17], s[14:15], s[14:15] op_sel:[0,1]
	v_add_u32_e32 v8, 5, v44
	v_cmp_ne_u32_e32 vcc, 0, v30
	v_pk_mov_b32 v[14:15], s[12:13], s[12:13] op_sel:[0,1]
	v_pk_mov_b32 v[12:13], s[10:11], s[10:11] op_sel:[0,1]
	;; [unrolled: 1-line block ×4, first 2 shown]
	v_cndmask_b32_e64 v9, 0, 1, vcc
	v_cmp_gt_u32_e32 vcc, s48, v8
	v_mov_b32_e32 v8, v35
	s_mov_b64 s[26:27], 0
	v_pk_mov_b32 v[22:23], v[14:15], v[14:15] op_sel:[0,1]
	v_pk_mov_b32 v[20:21], v[12:13], v[12:13] op_sel:[0,1]
	;; [unrolled: 1-line block ×3, first 2 shown]
                                        ; implicit-def: $vgpr45
	s_and_saveexec_b64 s[24:25], vcc
	s_cbranch_execz .LBB66_66
; %bb.51:
	ds_read2_b32 v[34:35], v1 offset0:5 offset1:6
	s_mov_b32 s14, s8
	s_mov_b32 s15, s8
	v_add_u32_e32 v10, 6, v44
	v_cmp_ne_u32_e32 vcc, 0, v31
	v_mov_b32_e32 v14, 0
	s_mov_b32 s9, s8
	s_mov_b32 s10, s8
	;; [unrolled: 1-line block ×5, first 2 shown]
	v_pk_mov_b32 v[24:25], s[14:15], s[14:15] op_sel:[0,1]
	v_cndmask_b32_e64 v11, 0, 1, vcc
	v_cmp_gt_u32_e32 vcc, s48, v10
	s_waitcnt lgkmcnt(0)
	v_mov_b32_e32 v10, v34
	v_mov_b32_e32 v12, v14
	;; [unrolled: 1-line block ×6, first 2 shown]
	s_mov_b64 s[28:29], 0
	v_pk_mov_b32 v[22:23], s[12:13], s[12:13] op_sel:[0,1]
	v_pk_mov_b32 v[20:21], s[10:11], s[10:11] op_sel:[0,1]
	;; [unrolled: 1-line block ×3, first 2 shown]
                                        ; implicit-def: $vgpr45
	s_and_saveexec_b64 s[26:27], vcc
	s_cbranch_execz .LBB66_65
; %bb.52:
	v_add_u32_e32 v10, 7, v44
	v_cmp_ne_u32_e32 vcc, 0, v32
	v_pk_mov_b32 v[24:25], s[14:15], s[14:15] op_sel:[0,1]
	v_cndmask_b32_e64 v13, 0, 1, vcc
	v_cmp_gt_u32_e32 vcc, s48, v10
	v_mov_b32_e32 v10, v34
	v_mov_b32_e32 v12, v35
	;; [unrolled: 1-line block ×5, first 2 shown]
	s_mov_b64 s[30:31], 0
	v_pk_mov_b32 v[22:23], s[12:13], s[12:13] op_sel:[0,1]
	v_pk_mov_b32 v[20:21], s[10:11], s[10:11] op_sel:[0,1]
	;; [unrolled: 1-line block ×3, first 2 shown]
                                        ; implicit-def: $vgpr45
	s_and_saveexec_b64 s[28:29], vcc
	s_cbranch_execz .LBB66_64
; %bb.53:
	ds_read2_b32 v[30:31], v1 offset0:7 offset1:8
	s_mov_b32 s14, s8
	s_mov_b32 s15, s8
	v_add_u32_e32 v14, 8, v44
	v_cmp_ne_u32_e32 vcc, 0, v33
	s_mov_b32 s9, s8
	s_mov_b32 s10, s8
	;; [unrolled: 1-line block ×5, first 2 shown]
	v_pk_mov_b32 v[24:25], s[14:15], s[14:15] op_sel:[0,1]
	v_cndmask_b32_e64 v15, 0, 1, vcc
	v_cmp_gt_u32_e32 vcc, s48, v14
	s_waitcnt lgkmcnt(0)
	v_mov_b32_e32 v14, v30
	v_mov_b32_e32 v16, s8
	;; [unrolled: 1-line block ×3, first 2 shown]
	s_mov_b64 s[40:41], 0
	v_pk_mov_b32 v[22:23], s[12:13], s[12:13] op_sel:[0,1]
	v_pk_mov_b32 v[20:21], s[10:11], s[10:11] op_sel:[0,1]
	;; [unrolled: 1-line block ×3, first 2 shown]
                                        ; implicit-def: $vgpr45
	s_and_saveexec_b64 s[30:31], vcc
	s_cbranch_execz .LBB66_63
; %bb.54:
	v_add_u32_e32 v16, 9, v44
	v_cmp_ne_u32_e32 vcc, 0, v26
	v_pk_mov_b32 v[24:25], s[14:15], s[14:15] op_sel:[0,1]
	v_cndmask_b32_e64 v17, 0, 1, vcc
	v_cmp_gt_u32_e32 vcc, s48, v16
	v_mov_b32_e32 v16, v31
	v_pk_mov_b32 v[22:23], s[12:13], s[12:13] op_sel:[0,1]
	v_pk_mov_b32 v[20:21], s[10:11], s[10:11] op_sel:[0,1]
	;; [unrolled: 1-line block ×3, first 2 shown]
                                        ; implicit-def: $vgpr45
	s_and_saveexec_b64 s[8:9], vcc
	s_cbranch_execz .LBB66_62
; %bb.55:
	ds_read2_b32 v[30:31], v1 offset0:9 offset1:10
	v_add_u32_e32 v18, 10, v44
	v_cmp_ne_u32_e32 vcc, 0, v27
	v_mov_b32_e32 v22, 0
	v_cndmask_b32_e64 v19, 0, 1, vcc
	v_cmp_gt_u32_e32 vcc, s48, v18
	s_waitcnt lgkmcnt(0)
	v_mov_b32_e32 v18, v30
	v_mov_b32_e32 v20, v22
	;; [unrolled: 1-line block ×6, first 2 shown]
	s_mov_b64 s[12:13], 0
                                        ; implicit-def: $vgpr45
	s_and_saveexec_b64 s[10:11], vcc
	s_cbranch_execz .LBB66_61
; %bb.56:
	v_add_u32_e32 v18, 11, v44
	v_cmp_ne_u32_e32 vcc, 0, v28
	v_cndmask_b32_e64 v21, 0, 1, vcc
	v_cmp_gt_u32_e32 vcc, s48, v18
	v_mov_b32_e32 v18, v30
	v_mov_b32_e32 v20, v31
	;; [unrolled: 1-line block ×5, first 2 shown]
	s_mov_b64 s[14:15], 0
                                        ; implicit-def: $vgpr45
	s_and_saveexec_b64 s[12:13], vcc
	s_cbranch_execz .LBB66_60
; %bb.57:
	ds_read2_b32 v[26:27], v1 offset0:11 offset1:12
	s_mov_b32 s14, 0
	v_add_u32_e32 v22, 12, v44
	v_cmp_ne_u32_e32 vcc, 0, v29
	v_cndmask_b32_e64 v23, 0, 1, vcc
	v_cmp_gt_u32_e32 vcc, s48, v22
	s_waitcnt lgkmcnt(0)
	v_mov_b32_e32 v22, v26
	v_mov_b32_e32 v24, s14
	;; [unrolled: 1-line block ×3, first 2 shown]
	s_mov_b64 s[14:15], 0
                                        ; implicit-def: $vgpr45
	s_and_saveexec_b64 s[40:41], vcc
	s_xor_b64 s[40:41], exec, s[40:41]
	s_cbranch_execz .LBB66_59
; %bb.58:
	ds_read_b32 v45, v1 offset:52
	v_add_u32_e32 v1, 13, v44
	v_cmp_ne_u32_e32 vcc, 0, v42
	v_cndmask_b32_e64 v25, 0, 1, vcc
	v_cmp_gt_u32_e32 vcc, s48, v1
	v_mov_b32_e32 v24, v27
	s_and_b64 s[14:15], vcc, exec
.LBB66_59:
	s_or_b64 exec, exec, s[40:41]
	s_and_b64 s[14:15], s[14:15], exec
.LBB66_60:
	s_or_b64 exec, exec, s[12:13]
	s_and_b64 s[12:13], s[14:15], exec
.LBB66_61:
	s_or_b64 exec, exec, s[10:11]
	s_and_b64 s[40:41], s[12:13], exec
.LBB66_62:
	s_or_b64 exec, exec, s[8:9]
	s_and_b64 s[40:41], s[40:41], exec
.LBB66_63:
	s_or_b64 exec, exec, s[30:31]
	s_and_b64 s[30:31], s[40:41], exec
.LBB66_64:
	s_or_b64 exec, exec, s[28:29]
	s_and_b64 s[28:29], s[30:31], exec
.LBB66_65:
	s_or_b64 exec, exec, s[26:27]
	s_and_b64 s[26:27], s[28:29], exec
.LBB66_66:
	s_or_b64 exec, exec, s[24:25]
	s_and_b64 s[24:25], s[26:27], exec
.LBB66_67:
	s_or_b64 exec, exec, s[22:23]
	s_and_b64 s[22:23], s[24:25], exec
.LBB66_68:
	s_or_b64 exec, exec, s[20:21]
	s_and_b64 s[20:21], s[22:23], exec
.LBB66_69:
	s_or_b64 exec, exec, s[18:19]
	s_and_b64 s[18:19], s[20:21], exec
.LBB66_70:
	s_or_b64 exec, exec, s[16:17]
	s_and_b64 s[16:17], s[18:19], exec
.LBB66_71:
	s_or_b64 exec, exec, s[4:5]
	s_and_b64 vcc, exec, s[2:3]
	v_lshlrev_b32_e32 v50, 2, v0
	s_cbranch_vccnz .LBB66_73
	s_branch .LBB66_74
.LBB66_72:
	s_mov_b64 s[16:17], 0
                                        ; implicit-def: $vgpr2_vgpr3_vgpr4_vgpr5_vgpr6_vgpr7_vgpr8_vgpr9
                                        ; implicit-def: $vgpr10_vgpr11_vgpr12_vgpr13_vgpr14_vgpr15_vgpr16_vgpr17
                                        ; implicit-def: $vgpr18_vgpr19_vgpr20_vgpr21_vgpr22_vgpr23_vgpr24_vgpr25
                                        ; implicit-def: $vgpr43
                                        ; implicit-def: $vgpr45
                                        ; implicit-def: $vgpr38_vgpr39
	s_and_b64 vcc, exec, s[2:3]
	v_lshlrev_b32_e32 v50, 2, v0
	s_cbranch_vccz .LBB66_74
.LBB66_73:
	v_mov_b32_e32 v1, s35
	v_add_co_u32_e32 v2, vcc, s34, v50
	v_addc_co_u32_e32 v3, vcc, 0, v1, vcc
	v_add_co_u32_e32 v4, vcc, 0x1000, v2
	v_addc_co_u32_e32 v5, vcc, 0, v3, vcc
	flat_load_dword v1, v[2:3]
	flat_load_dword v10, v[2:3] offset:1024
	flat_load_dword v11, v[2:3] offset:2048
	;; [unrolled: 1-line block ×3, first 2 shown]
	flat_load_dword v13, v[4:5]
	flat_load_dword v14, v[4:5] offset:1024
	flat_load_dword v15, v[4:5] offset:2048
	;; [unrolled: 1-line block ×3, first 2 shown]
	v_add_co_u32_e32 v4, vcc, 0x2000, v2
	v_addc_co_u32_e32 v5, vcc, 0, v3, vcc
	v_add_co_u32_e32 v2, vcc, 0x3000, v2
	v_addc_co_u32_e32 v3, vcc, 0, v3, vcc
	flat_load_dword v17, v[4:5]
	flat_load_dword v18, v[4:5] offset:1024
	flat_load_dword v19, v[4:5] offset:2048
	;; [unrolled: 1-line block ×3, first 2 shown]
	flat_load_dword v21, v[2:3]
	flat_load_dword v22, v[2:3] offset:1024
	v_mov_b32_e32 v3, s47
	v_add_co_u32_e32 v2, vcc, s7, v50
	s_movk_i32 s2, 0x1000
	v_addc_co_u32_e32 v3, vcc, 0, v3, vcc
	v_add_co_u32_e32 v4, vcc, s2, v2
	s_movk_i32 s3, 0x2000
	v_addc_co_u32_e32 v5, vcc, 0, v3, vcc
	v_add_co_u32_e32 v6, vcc, s3, v2
	s_movk_i32 s4, 0x3000
	v_mad_u32_u24 v36, v0, 52, v50
	s_movk_i32 s5, 0xffcc
	v_addc_co_u32_e32 v7, vcc, 0, v3, vcc
	v_mad_i32_i24 v26, v0, s5, v36
	v_add_co_u32_e32 v8, vcc, s4, v2
	v_addc_co_u32_e32 v9, vcc, 0, v3, vcc
	s_or_b64 s[16:17], s[16:17], exec
                                        ; implicit-def: $sgpr2_sgpr3
	s_waitcnt vmcnt(0) lgkmcnt(0)
	ds_write2st64_b32 v50, v1, v10 offset1:4
	ds_write2st64_b32 v50, v11, v12 offset0:8 offset1:12
	ds_write2st64_b32 v50, v13, v14 offset0:16 offset1:20
	;; [unrolled: 1-line block ×6, first 2 shown]
	s_waitcnt lgkmcnt(0)
	s_barrier
	ds_read2_b32 v[42:43], v36 offset1:13
	ds_read2_b32 v[18:19], v36 offset0:9 offset1:10
	ds_read2_b32 v[20:21], v36 offset0:11 offset1:12
	;; [unrolled: 1-line block ×6, first 2 shown]
	s_waitcnt lgkmcnt(6)
	ds_write_b32 v26, v43 offset:14336
	s_waitcnt lgkmcnt(0)
	s_barrier
	s_barrier
	flat_load_dword v1, v[2:3]
	flat_load_dword v14, v[2:3] offset:1024
	flat_load_dword v16, v[2:3] offset:2048
	flat_load_dword v26, v[2:3] offset:3072
	flat_load_dword v27, v[4:5]
	flat_load_dword v28, v[4:5] offset:1024
	flat_load_dword v29, v[4:5] offset:2048
	flat_load_dword v30, v[4:5] offset:3072
	;; [unrolled: 4-line block ×3, first 2 shown]
	flat_load_dword v35, v[8:9]
	flat_load_dword v37, v[8:9] offset:1024
	v_cmp_ne_u32_e32 vcc, 0, v42
	v_cndmask_b32_e64 v39, 0, 1, vcc
	v_cmp_ne_u32_e32 vcc, 0, v11
	v_cndmask_b32_e64 v17, 0, 1, vcc
	;; [unrolled: 2-line block ×13, first 2 shown]
	s_waitcnt vmcnt(0) lgkmcnt(0)
	ds_write2st64_b32 v50, v1, v14 offset1:4
	ds_write2st64_b32 v50, v16, v26 offset0:8 offset1:12
	ds_write2st64_b32 v50, v27, v28 offset0:16 offset1:20
	;; [unrolled: 1-line block ×6, first 2 shown]
	s_waitcnt lgkmcnt(0)
	s_barrier
	ds_read2_b32 v[26:27], v36 offset0:7 offset1:8
	ds_read2_b32 v[28:29], v36 offset0:5 offset1:6
	;; [unrolled: 1-line block ×4, first 2 shown]
	ds_read2_b32 v[44:45], v36 offset1:13
	ds_read2_b32 v[34:35], v36 offset0:11 offset1:12
	ds_read2_b32 v[36:37], v36 offset0:9 offset1:10
	s_waitcnt lgkmcnt(5)
	v_mov_b32_e32 v10, v28
	s_waitcnt lgkmcnt(4)
	v_mov_b32_e32 v6, v30
	;; [unrolled: 2-line block ×4, first 2 shown]
	v_mov_b32_e32 v4, v33
	v_mov_b32_e32 v8, v31
	;; [unrolled: 1-line block ×5, first 2 shown]
	s_waitcnt lgkmcnt(0)
	v_mov_b32_e32 v18, v36
	v_mov_b32_e32 v20, v37
	;; [unrolled: 1-line block ×4, first 2 shown]
.LBB66_74:
	v_pk_mov_b32 v[40:41], s[2:3], s[2:3] op_sel:[0,1]
	s_and_saveexec_b64 s[2:3], s[16:17]
	s_cbranch_execz .LBB66_76
; %bb.75:
	v_cmp_ne_u32_e32 vcc, 0, v43
	v_cndmask_b32_e64 v41, 0, 1, vcc
	s_waitcnt lgkmcnt(0)
	v_mov_b32_e32 v40, v45
.LBB66_76:
	s_or_b64 exec, exec, s[2:3]
	s_mov_b32 s26, 0
	s_cmp_lg_u32 s6, 0
	v_mbcnt_lo_u32_b32 v52, -1, 0
	v_lshrrev_b32_e32 v1, 6, v0
	v_or_b32_e32 v51, 63, v0
	s_waitcnt lgkmcnt(0)
	s_barrier
	s_cbranch_scc0 .LBB66_121
; %bb.77:
	s_mov_b32 s27, 1
	v_cmp_gt_u64_e64 s[2:3], s[26:27], v[2:3]
	v_cndmask_b32_e64 v27, 0, v38, s[2:3]
	v_add_u32_e32 v27, v27, v2
	v_cmp_gt_u64_e64 s[4:5], s[26:27], v[4:5]
	v_cndmask_b32_e64 v27, 0, v27, s[4:5]
	v_add_u32_e32 v27, v27, v4
	;; [unrolled: 3-line block ×13, first 2 shown]
	v_or3_b32 v27, v41, v25, v23
	v_or3_b32 v27, v27, v21, v19
	;; [unrolled: 1-line block ×6, first 2 shown]
	v_mov_b32_e32 v26, 0
	v_and_b32_e32 v27, 1, v27
	v_cmp_eq_u64_e32 vcc, 0, v[26:27]
	v_cndmask_b32_e32 v26, 1, v39, vcc
	v_mbcnt_hi_u32_b32 v46, -1, v52
	v_mov_b32_dpp v29, v28 row_shr:1 row_mask:0xf bank_mask:0xf
	v_mov_b32_dpp v30, v26 row_shr:1 row_mask:0xf bank_mask:0xf
	v_cmp_eq_u32_e32 vcc, 0, v26
	v_and_b32_e32 v31, 1, v26
	v_and_b32_e32 v27, 15, v46
	v_cndmask_b32_e32 v29, 0, v29, vcc
	v_and_b32_e32 v30, 1, v30
	v_cmp_eq_u32_e32 vcc, 1, v31
	v_cndmask_b32_e64 v30, v30, 1, vcc
	v_cmp_eq_u32_e32 vcc, 0, v27
	v_cndmask_b32_e32 v26, v30, v26, vcc
	v_and_b32_e32 v31, 1, v26
	v_cmp_eq_u32_e64 s[28:29], 1, v31
	v_mov_b32_dpp v30, v26 row_shr:2 row_mask:0xf bank_mask:0xf
	v_and_b32_e32 v30, 1, v30
	v_cndmask_b32_e64 v30, v30, 1, s[28:29]
	v_cmp_lt_u32_e64 s[28:29], 1, v27
	v_cndmask_b32_e64 v29, v29, 0, vcc
	v_cmp_eq_u32_e32 vcc, 0, v26
	v_cndmask_b32_e64 v26, v26, v30, s[28:29]
	v_add_u32_e32 v28, v29, v28
	v_and_b32_e32 v31, 1, v26
	v_mov_b32_dpp v30, v26 row_shr:4 row_mask:0xf bank_mask:0xf
	v_mov_b32_dpp v29, v28 row_shr:2 row_mask:0xf bank_mask:0xf
	s_and_b64 vcc, s[28:29], vcc
	v_and_b32_e32 v30, 1, v30
	v_cmp_eq_u32_e64 s[28:29], 1, v31
	v_cndmask_b32_e32 v29, 0, v29, vcc
	v_cndmask_b32_e64 v30, v30, 1, s[28:29]
	v_cmp_lt_u32_e64 s[28:29], 3, v27
	v_add_u32_e32 v28, v29, v28
	v_cmp_eq_u32_e32 vcc, 0, v26
	v_cndmask_b32_e64 v26, v26, v30, s[28:29]
	v_mov_b32_dpp v29, v28 row_shr:4 row_mask:0xf bank_mask:0xf
	s_and_b64 vcc, s[28:29], vcc
	v_mov_b32_dpp v30, v26 row_shr:8 row_mask:0xf bank_mask:0xf
	v_and_b32_e32 v31, 1, v26
	v_cndmask_b32_e32 v29, 0, v29, vcc
	v_and_b32_e32 v30, 1, v30
	v_cmp_eq_u32_e64 s[28:29], 1, v31
	v_add_u32_e32 v28, v29, v28
	v_cmp_eq_u32_e32 vcc, 0, v26
	v_cndmask_b32_e64 v30, v30, 1, s[28:29]
	v_cmp_lt_u32_e64 s[28:29], 7, v27
	v_mov_b32_dpp v29, v28 row_shr:8 row_mask:0xf bank_mask:0xf
	s_and_b64 vcc, s[28:29], vcc
	v_cndmask_b32_e32 v27, 0, v29, vcc
	v_cndmask_b32_e64 v26, v26, v30, s[28:29]
	v_add_u32_e32 v27, v27, v28
	v_cmp_eq_u32_e32 vcc, 0, v26
	v_mov_b32_dpp v29, v26 row_bcast:15 row_mask:0xf bank_mask:0xf
	v_mov_b32_dpp v28, v27 row_bcast:15 row_mask:0xf bank_mask:0xf
	v_and_b32_e32 v32, 1, v26
	v_and_b32_e32 v31, 16, v46
	v_cndmask_b32_e32 v28, 0, v28, vcc
	v_and_b32_e32 v29, 1, v29
	v_cmp_eq_u32_e32 vcc, 1, v32
	v_bfe_i32 v30, v46, 4, 1
	v_cndmask_b32_e64 v29, v29, 1, vcc
	v_cmp_eq_u32_e32 vcc, 0, v31
	v_and_b32_e32 v28, v30, v28
	v_cndmask_b32_e32 v26, v29, v26, vcc
	v_add_u32_e32 v27, v28, v27
	v_and_b32_e32 v30, 1, v26
	v_mov_b32_dpp v28, v26 row_bcast:31 row_mask:0xf bank_mask:0xf
	v_and_b32_e32 v28, 1, v28
	v_cmp_eq_u32_e64 s[28:29], 1, v30
	v_cmp_eq_u32_e32 vcc, 0, v26
	v_cndmask_b32_e64 v28, v28, 1, s[28:29]
	v_cmp_lt_u32_e64 s[28:29], 31, v46
	v_mov_b32_dpp v29, v27 row_bcast:31 row_mask:0xf bank_mask:0xf
	s_and_b64 vcc, s[28:29], vcc
	v_cndmask_b32_e64 v28, v26, v28, s[28:29]
	v_cndmask_b32_e32 v26, 0, v29, vcc
	v_add_u32_e32 v29, v26, v27
	v_cmp_eq_u32_e32 vcc, v51, v0
	s_and_saveexec_b64 s[28:29], vcc
	s_cbranch_execz .LBB66_79
; %bb.78:
	v_lshlrev_b32_e32 v26, 3, v1
	ds_write_b32 v26, v29
	ds_write_b8 v26, v28 offset:4
.LBB66_79:
	s_or_b64 exec, exec, s[28:29]
	v_cmp_gt_u32_e32 vcc, 4, v0
	s_waitcnt lgkmcnt(0)
	s_barrier
	s_and_saveexec_b64 s[28:29], vcc
	s_cbranch_execz .LBB66_83
; %bb.80:
	v_lshlrev_b32_e32 v30, 3, v0
	ds_read_b64 v[26:27], v30
	v_and_b32_e32 v31, 3, v46
	v_cmp_ne_u32_e32 vcc, 0, v31
	s_waitcnt lgkmcnt(0)
	v_mov_b32_dpp v32, v26 row_shr:1 row_mask:0xf bank_mask:0xf
	v_mov_b32_dpp v34, v27 row_shr:1 row_mask:0xf bank_mask:0xf
	v_mov_b32_e32 v33, v27
	s_and_saveexec_b64 s[34:35], vcc
	s_cbranch_execz .LBB66_82
; %bb.81:
	v_and_b32_e32 v33, 1, v27
	v_and_b32_e32 v34, 1, v34
	v_cmp_eq_u32_e32 vcc, 1, v33
	v_mov_b32_e32 v33, 0
	v_cndmask_b32_e64 v34, v34, 1, vcc
	v_cmp_eq_u16_sdwa vcc, v27, v33 src0_sel:BYTE_0 src1_sel:DWORD
	v_cndmask_b32_e32 v32, 0, v32, vcc
	v_add_u32_e32 v26, v32, v26
	v_and_b32_e32 v32, 0xffff, v34
	s_movk_i32 s7, 0xff00
	v_and_or_b32 v33, v27, s7, v32
	v_mov_b32_e32 v27, v34
.LBB66_82:
	s_or_b64 exec, exec, s[34:35]
	v_mov_b32_dpp v33, v33 row_shr:2 row_mask:0xf bank_mask:0xf
	v_and_b32_e32 v34, 1, v27
	v_and_b32_e32 v33, 1, v33
	v_cmp_eq_u32_e32 vcc, 1, v34
	v_mov_b32_e32 v34, 0
	v_cndmask_b32_e64 v33, v33, 1, vcc
	v_cmp_eq_u16_sdwa s[34:35], v27, v34 src0_sel:BYTE_0 src1_sel:DWORD
	v_cmp_lt_u32_e32 vcc, 1, v31
	v_mov_b32_dpp v32, v26 row_shr:2 row_mask:0xf bank_mask:0xf
	v_cndmask_b32_e32 v27, v27, v33, vcc
	s_and_b64 vcc, vcc, s[34:35]
	v_cndmask_b32_e32 v31, 0, v32, vcc
	v_add_u32_e32 v26, v31, v26
	ds_write_b32 v30, v26
	ds_write_b8 v30, v27 offset:4
.LBB66_83:
	s_or_b64 exec, exec, s[28:29]
	v_cmp_gt_u32_e32 vcc, 64, v0
	v_cmp_lt_u32_e64 s[28:29], 63, v0
	v_mov_b32_e32 v42, 0
	v_mov_b32_e32 v43, 0
	s_waitcnt lgkmcnt(0)
	s_barrier
	s_and_saveexec_b64 s[34:35], s[28:29]
	s_cbranch_execz .LBB66_85
; %bb.84:
	v_lshl_add_u32 v26, v1, 3, -8
	ds_read_b32 v42, v26
	ds_read_u8 v43, v26 offset:4
	v_and_b32_e32 v27, 1, v28
	v_cmp_eq_u32_e64 s[28:29], 0, v28
	s_waitcnt lgkmcnt(1)
	v_cndmask_b32_e64 v26, 0, v42, s[28:29]
	v_cmp_eq_u32_e64 s[28:29], 1, v27
	v_add_u32_e32 v29, v26, v29
	s_waitcnt lgkmcnt(0)
	v_cndmask_b32_e64 v28, v43, 1, s[28:29]
.LBB66_85:
	s_or_b64 exec, exec, s[34:35]
	v_add_u32_e32 v26, -1, v46
	v_and_b32_e32 v27, 64, v46
	v_cmp_lt_i32_e64 s[28:29], v26, v27
	v_cndmask_b32_e64 v26, v26, v46, s[28:29]
	v_lshlrev_b32_e32 v26, 2, v26
	ds_bpermute_b32 v44, v26, v29
	ds_bpermute_b32 v45, v26, v28
	v_cmp_eq_u32_e64 s[28:29], 0, v46
	s_and_saveexec_b64 s[40:41], vcc
	s_cbranch_execz .LBB66_108
; %bb.86:
	v_mov_b32_e32 v29, 0
	ds_read_b64 v[26:27], v29 offset:24
	s_waitcnt lgkmcnt(0)
	v_readfirstlane_b32 s7, v27
	s_and_saveexec_b64 s[34:35], s[28:29]
	s_cbranch_execz .LBB66_88
; %bb.87:
	s_add_i32 s48, s6, 64
	s_mov_b32 s49, 0
	s_lshl_b64 s[54:55], s[48:49], 4
	s_add_u32 s54, s44, s54
	s_addc_u32 s55, s45, s55
	s_and_b32 s57, s7, 0xff000000
	s_mov_b32 s56, s49
	s_and_b32 s59, s7, 0xff0000
	s_mov_b32 s58, s49
	s_or_b64 s[56:57], s[58:59], s[56:57]
	s_and_b32 s59, s7, 0xff00
	s_or_b64 s[56:57], s[56:57], s[58:59]
	s_and_b32 s59, s7, 0xff
	s_or_b64 s[48:49], s[56:57], s[58:59]
	v_mov_b32_e32 v27, s49
	v_mov_b32_e32 v28, 1
	v_pk_mov_b32 v[30:31], s[54:55], s[54:55] op_sel:[0,1]
	;;#ASMSTART
	global_store_dwordx4 v[30:31], v[26:29] off	
s_waitcnt vmcnt(0)
	;;#ASMEND
.LBB66_88:
	s_or_b64 exec, exec, s[34:35]
	v_xad_u32 v34, v46, -1, s6
	v_add_u32_e32 v28, 64, v34
	v_lshlrev_b64 v[30:31], 4, v[28:29]
	v_mov_b32_e32 v27, s45
	v_add_co_u32_e32 v36, vcc, s44, v30
	v_addc_co_u32_e32 v37, vcc, v27, v31, vcc
	;;#ASMSTART
	global_load_dwordx4 v[30:33], v[36:37] off glc	
s_waitcnt vmcnt(0)
	;;#ASMEND
	v_and_b32_e32 v27, 0xff0000, v30
	v_or_b32_sdwa v27, v30, v27 dst_sel:DWORD dst_unused:UNUSED_PAD src0_sel:WORD_0 src1_sel:DWORD
	v_and_b32_e32 v28, 0xff000000, v30
	v_and_b32_e32 v30, 0xff, v31
	v_or3_b32 v31, 0, 0, v30
	v_or3_b32 v30, v27, v28, 0
	v_cmp_eq_u16_sdwa s[48:49], v32, v29 src0_sel:BYTE_0 src1_sel:DWORD
	s_and_saveexec_b64 s[34:35], s[48:49]
	s_cbranch_execz .LBB66_94
; %bb.89:
	s_mov_b32 s47, 1
	s_mov_b64 s[48:49], 0
	v_mov_b32_e32 v27, 0
.LBB66_90:                              ; =>This Loop Header: Depth=1
                                        ;     Child Loop BB66_91 Depth 2
	s_max_u32 s54, s47, 1
.LBB66_91:                              ;   Parent Loop BB66_90 Depth=1
                                        ; =>  This Inner Loop Header: Depth=2
	s_add_i32 s54, s54, -1
	s_cmp_eq_u32 s54, 0
	s_sleep 1
	s_cbranch_scc0 .LBB66_91
; %bb.92:                               ;   in Loop: Header=BB66_90 Depth=1
	s_cmp_lt_u32 s47, 32
	s_cselect_b64 s[54:55], -1, 0
	s_cmp_lg_u64 s[54:55], 0
	s_addc_u32 s47, s47, 0
	;;#ASMSTART
	global_load_dwordx4 v[30:33], v[36:37] off glc	
s_waitcnt vmcnt(0)
	;;#ASMEND
	v_cmp_ne_u16_sdwa s[54:55], v32, v27 src0_sel:BYTE_0 src1_sel:DWORD
	s_or_b64 s[48:49], s[54:55], s[48:49]
	s_andn2_b64 exec, exec, s[48:49]
	s_cbranch_execnz .LBB66_90
; %bb.93:
	s_or_b64 exec, exec, s[48:49]
	v_and_b32_e32 v31, 0xff, v31
.LBB66_94:
	s_or_b64 exec, exec, s[34:35]
	v_mov_b32_e32 v27, 2
	v_cmp_eq_u16_sdwa s[34:35], v32, v27 src0_sel:BYTE_0 src1_sel:DWORD
	v_lshlrev_b64 v[28:29], v46, -1
	v_and_b32_e32 v33, s35, v29
	v_or_b32_e32 v33, 0x80000000, v33
	v_and_b32_e32 v35, s34, v28
	v_ffbl_b32_e32 v33, v33
	v_and_b32_e32 v47, 63, v46
	v_add_u32_e32 v33, 32, v33
	v_ffbl_b32_e32 v35, v35
	v_cmp_ne_u32_e32 vcc, 63, v47
	v_min_u32_e32 v33, v35, v33
	v_addc_co_u32_e32 v35, vcc, 0, v46, vcc
	v_lshlrev_b32_e32 v48, 2, v35
	ds_bpermute_b32 v35, v48, v31
	ds_bpermute_b32 v36, v48, v30
	s_mov_b32 s48, 0
	v_and_b32_e32 v37, 1, v31
	s_mov_b32 s49, 1
	s_waitcnt lgkmcnt(1)
	v_and_b32_e32 v35, 1, v35
	v_cmp_eq_u32_e32 vcc, 1, v37
	v_cndmask_b32_e64 v35, v35, 1, vcc
	v_cmp_gt_u64_e32 vcc, s[48:49], v[30:31]
	v_cmp_lt_u32_e64 s[34:35], v47, v33
	s_and_b64 vcc, s[34:35], vcc
	v_and_b32_e32 v37, 0xffff, v35
	v_cndmask_b32_e64 v54, v31, v35, s[34:35]
	s_waitcnt lgkmcnt(0)
	v_cndmask_b32_e32 v35, 0, v36, vcc
	v_cmp_gt_u32_e32 vcc, 62, v47
	v_cndmask_b32_e64 v36, 0, 1, vcc
	v_lshlrev_b32_e32 v36, 1, v36
	v_cndmask_b32_e64 v31, v31, v37, s[34:35]
	v_add_lshl_u32 v49, v36, v46, 2
	ds_bpermute_b32 v36, v49, v31
	v_add_u32_e32 v30, v35, v30
	ds_bpermute_b32 v37, v49, v30
	v_and_b32_e32 v35, 1, v54
	v_cmp_eq_u32_e32 vcc, 1, v35
	s_waitcnt lgkmcnt(1)
	v_and_b32_e32 v36, 1, v36
	v_mov_b32_e32 v35, 0
	v_add_u32_e32 v53, 2, v47
	v_cndmask_b32_e64 v36, v36, 1, vcc
	v_cmp_eq_u16_sdwa vcc, v54, v35 src0_sel:BYTE_0 src1_sel:DWORD
	v_and_b32_e32 v55, 0xffff, v36
	s_waitcnt lgkmcnt(0)
	v_cndmask_b32_e32 v37, 0, v37, vcc
	v_cmp_gt_u32_e32 vcc, v53, v33
	v_cndmask_b32_e32 v36, v36, v54, vcc
	v_cndmask_b32_e64 v37, v37, 0, vcc
	v_cndmask_b32_e32 v31, v55, v31, vcc
	v_cmp_gt_u32_e32 vcc, 60, v47
	v_cndmask_b32_e64 v54, 0, 1, vcc
	v_lshlrev_b32_e32 v54, 2, v54
	v_add_lshl_u32 v54, v54, v46, 2
	ds_bpermute_b32 v56, v54, v31
	v_add_u32_e32 v30, v37, v30
	ds_bpermute_b32 v37, v54, v30
	v_and_b32_e32 v57, 1, v36
	v_cmp_eq_u32_e32 vcc, 1, v57
	s_waitcnt lgkmcnt(1)
	v_and_b32_e32 v56, 1, v56
	v_add_u32_e32 v55, 4, v47
	v_cndmask_b32_e64 v56, v56, 1, vcc
	v_cmp_eq_u16_sdwa vcc, v36, v35 src0_sel:BYTE_0 src1_sel:DWORD
	v_and_b32_e32 v57, 0xffff, v56
	s_waitcnt lgkmcnt(0)
	v_cndmask_b32_e32 v37, 0, v37, vcc
	v_cmp_gt_u32_e32 vcc, v55, v33
	v_cndmask_b32_e32 v36, v56, v36, vcc
	v_cndmask_b32_e64 v37, v37, 0, vcc
	v_cndmask_b32_e32 v31, v57, v31, vcc
	v_cmp_gt_u32_e32 vcc, 56, v47
	v_cndmask_b32_e64 v56, 0, 1, vcc
	v_lshlrev_b32_e32 v56, 3, v56
	v_add_lshl_u32 v56, v56, v46, 2
	ds_bpermute_b32 v58, v56, v31
	v_add_u32_e32 v30, v37, v30
	ds_bpermute_b32 v37, v56, v30
	v_and_b32_e32 v59, 1, v36
	v_cmp_eq_u32_e32 vcc, 1, v59
	s_waitcnt lgkmcnt(1)
	v_and_b32_e32 v58, 1, v58
	;; [unrolled: 21-line block ×4, first 2 shown]
	v_add_u32_e32 v62, 32, v47
	v_cndmask_b32_e64 v31, v31, 1, vcc
	v_cmp_eq_u16_sdwa vcc, v36, v35 src0_sel:BYTE_0 src1_sel:DWORD
	s_waitcnt lgkmcnt(0)
	v_cndmask_b32_e32 v37, 0, v37, vcc
	v_cmp_gt_u32_e32 vcc, v62, v33
	v_cndmask_b32_e64 v33, v37, 0, vcc
	v_cndmask_b32_e32 v31, v31, v36, vcc
	v_add_u32_e32 v30, v33, v30
	s_branch .LBB66_96
.LBB66_95:                              ;   in Loop: Header=BB66_96 Depth=1
	s_or_b64 exec, exec, s[34:35]
	v_cmp_eq_u16_sdwa s[34:35], v32, v27 src0_sel:BYTE_0 src1_sel:DWORD
	v_and_b32_e32 v33, s35, v29
	ds_bpermute_b32 v37, v48, v31
	v_or_b32_e32 v33, 0x80000000, v33
	v_and_b32_e32 v36, s34, v28
	v_ffbl_b32_e32 v33, v33
	v_add_u32_e32 v33, 32, v33
	v_ffbl_b32_e32 v36, v36
	v_min_u32_e32 v33, v36, v33
	ds_bpermute_b32 v36, v48, v30
	v_and_b32_e32 v63, 1, v31
	s_waitcnt lgkmcnt(1)
	v_and_b32_e32 v37, 1, v37
	v_cmp_eq_u32_e32 vcc, 1, v63
	v_cndmask_b32_e64 v37, v37, 1, vcc
	v_cmp_gt_u64_e32 vcc, s[48:49], v[30:31]
	v_and_b32_e32 v63, 0xffff, v37
	v_cmp_lt_u32_e64 s[34:35], v47, v33
	v_cndmask_b32_e64 v37, v31, v37, s[34:35]
	v_cndmask_b32_e64 v31, v31, v63, s[34:35]
	s_and_b64 vcc, s[34:35], vcc
	ds_bpermute_b32 v63, v49, v31
	s_waitcnt lgkmcnt(1)
	v_cndmask_b32_e32 v36, 0, v36, vcc
	v_add_u32_e32 v30, v36, v30
	ds_bpermute_b32 v36, v49, v30
	v_and_b32_e32 v64, 1, v37
	s_waitcnt lgkmcnt(1)
	v_and_b32_e32 v63, 1, v63
	v_cmp_eq_u32_e32 vcc, 1, v64
	v_cndmask_b32_e64 v63, v63, 1, vcc
	v_cmp_eq_u16_sdwa vcc, v37, v35 src0_sel:BYTE_0 src1_sel:DWORD
	v_and_b32_e32 v64, 0xffff, v63
	s_waitcnt lgkmcnt(0)
	v_cndmask_b32_e32 v36, 0, v36, vcc
	v_cmp_gt_u32_e32 vcc, v53, v33
	v_cndmask_b32_e32 v31, v64, v31, vcc
	v_cndmask_b32_e32 v37, v63, v37, vcc
	ds_bpermute_b32 v63, v54, v31
	v_cndmask_b32_e64 v36, v36, 0, vcc
	v_add_u32_e32 v30, v36, v30
	ds_bpermute_b32 v36, v54, v30
	v_and_b32_e32 v64, 1, v37
	s_waitcnt lgkmcnt(1)
	v_and_b32_e32 v63, 1, v63
	v_cmp_eq_u32_e32 vcc, 1, v64
	v_cndmask_b32_e64 v63, v63, 1, vcc
	v_cmp_eq_u16_sdwa vcc, v37, v35 src0_sel:BYTE_0 src1_sel:DWORD
	v_and_b32_e32 v64, 0xffff, v63
	s_waitcnt lgkmcnt(0)
	v_cndmask_b32_e32 v36, 0, v36, vcc
	v_cmp_gt_u32_e32 vcc, v55, v33
	v_cndmask_b32_e32 v31, v64, v31, vcc
	v_cndmask_b32_e32 v37, v63, v37, vcc
	ds_bpermute_b32 v63, v56, v31
	v_cndmask_b32_e64 v36, v36, 0, vcc
	;; [unrolled: 16-line block ×3, first 2 shown]
	v_add_u32_e32 v30, v36, v30
	ds_bpermute_b32 v36, v58, v30
	v_and_b32_e32 v64, 1, v37
	s_waitcnt lgkmcnt(1)
	v_and_b32_e32 v63, 1, v63
	v_cmp_eq_u32_e32 vcc, 1, v64
	v_cndmask_b32_e64 v63, v63, 1, vcc
	v_cmp_eq_u16_sdwa vcc, v37, v35 src0_sel:BYTE_0 src1_sel:DWORD
	v_and_b32_e32 v64, 0xffff, v63
	s_waitcnt lgkmcnt(0)
	v_cndmask_b32_e32 v36, 0, v36, vcc
	v_cmp_gt_u32_e32 vcc, v59, v33
	v_cndmask_b32_e64 v36, v36, 0, vcc
	v_cndmask_b32_e32 v31, v64, v31, vcc
	ds_bpermute_b32 v31, v61, v31
	v_add_u32_e32 v30, v36, v30
	ds_bpermute_b32 v36, v61, v30
	v_cndmask_b32_e32 v37, v63, v37, vcc
	v_and_b32_e32 v63, 1, v37
	v_cmp_eq_u32_e32 vcc, 1, v63
	s_waitcnt lgkmcnt(1)
	v_cndmask_b32_e64 v31, v31, 1, vcc
	v_cmp_eq_u16_sdwa vcc, v37, v35 src0_sel:BYTE_0 src1_sel:DWORD
	s_waitcnt lgkmcnt(0)
	v_cndmask_b32_e32 v36, 0, v36, vcc
	v_cmp_gt_u32_e32 vcc, v62, v33
	v_cndmask_b32_e64 v33, v36, 0, vcc
	v_cndmask_b32_e32 v31, v31, v37, vcc
	v_add_u32_e32 v30, v33, v30
	v_cmp_eq_u16_sdwa vcc, v46, v35 src0_sel:BYTE_0 src1_sel:DWORD
	v_and_b32_e32 v33, 1, v46
	v_cndmask_b32_e32 v30, 0, v30, vcc
	v_and_b32_e32 v31, 1, v31
	v_cmp_eq_u32_e32 vcc, 1, v33
	v_subrev_u32_e32 v34, 64, v34
	v_add_u32_e32 v30, v30, v60
	v_cndmask_b32_e64 v31, v31, 1, vcc
.LBB66_96:                              ; =>This Loop Header: Depth=1
                                        ;     Child Loop BB66_99 Depth 2
                                        ;       Child Loop BB66_100 Depth 3
	v_cmp_ne_u16_sdwa s[34:35], v32, v27 src0_sel:BYTE_0 src1_sel:DWORD
	v_mov_b32_e32 v46, v31
	v_cndmask_b32_e64 v31, 0, 1, s[34:35]
	;;#ASMSTART
	;;#ASMEND
	v_cmp_ne_u32_e32 vcc, 0, v31
	s_cmp_lg_u64 vcc, exec
	v_mov_b32_e32 v60, v30
	s_cbranch_scc1 .LBB66_103
; %bb.97:                               ;   in Loop: Header=BB66_96 Depth=1
	v_lshlrev_b64 v[30:31], 4, v[34:35]
	v_mov_b32_e32 v32, s45
	v_add_co_u32_e32 v36, vcc, s44, v30
	v_addc_co_u32_e32 v37, vcc, v32, v31, vcc
	;;#ASMSTART
	global_load_dwordx4 v[30:33], v[36:37] off glc	
s_waitcnt vmcnt(0)
	;;#ASMEND
	v_and_b32_e32 v33, 0xff0000, v30
	v_or_b32_sdwa v33, v30, v33 dst_sel:DWORD dst_unused:UNUSED_PAD src0_sel:WORD_0 src1_sel:DWORD
	v_and_b32_e32 v30, 0xff000000, v30
	v_and_b32_e32 v31, 0xff, v31
	v_or3_b32 v31, 0, 0, v31
	v_or3_b32 v30, v33, v30, 0
	v_cmp_eq_u16_sdwa s[54:55], v32, v35 src0_sel:BYTE_0 src1_sel:DWORD
	s_and_saveexec_b64 s[34:35], s[54:55]
	s_cbranch_execz .LBB66_95
; %bb.98:                               ;   in Loop: Header=BB66_96 Depth=1
	s_mov_b32 s47, 1
	s_mov_b64 s[54:55], 0
.LBB66_99:                              ;   Parent Loop BB66_96 Depth=1
                                        ; =>  This Loop Header: Depth=2
                                        ;       Child Loop BB66_100 Depth 3
	s_max_u32 s56, s47, 1
.LBB66_100:                             ;   Parent Loop BB66_96 Depth=1
                                        ;     Parent Loop BB66_99 Depth=2
                                        ; =>    This Inner Loop Header: Depth=3
	s_add_i32 s56, s56, -1
	s_cmp_eq_u32 s56, 0
	s_sleep 1
	s_cbranch_scc0 .LBB66_100
; %bb.101:                              ;   in Loop: Header=BB66_99 Depth=2
	s_cmp_lt_u32 s47, 32
	s_cselect_b64 s[56:57], -1, 0
	s_cmp_lg_u64 s[56:57], 0
	s_addc_u32 s47, s47, 0
	;;#ASMSTART
	global_load_dwordx4 v[30:33], v[36:37] off glc	
s_waitcnt vmcnt(0)
	;;#ASMEND
	v_cmp_ne_u16_sdwa s[56:57], v32, v35 src0_sel:BYTE_0 src1_sel:DWORD
	s_or_b64 s[54:55], s[56:57], s[54:55]
	s_andn2_b64 exec, exec, s[54:55]
	s_cbranch_execnz .LBB66_99
; %bb.102:                              ;   in Loop: Header=BB66_96 Depth=1
	s_or_b64 exec, exec, s[54:55]
	v_and_b32_e32 v31, 0xff, v31
	s_branch .LBB66_95
.LBB66_103:                             ;   in Loop: Header=BB66_96 Depth=1
                                        ; implicit-def: $vgpr31
                                        ; implicit-def: $vgpr30
                                        ; implicit-def: $vgpr32
	s_cbranch_execz .LBB66_96
; %bb.104:
	s_and_saveexec_b64 s[34:35], s[28:29]
	s_cbranch_execz .LBB66_106
; %bb.105:
	s_and_b32 s47, s7, 0xff
	s_cmp_eq_u32 s47, 0
	s_cselect_b64 vcc, -1, 0
	s_bitcmp1_b32 s7, 0
	s_mov_b32 s49, 0
	s_cselect_b64 s[54:55], -1, 0
	s_add_i32 s48, s6, 64
	s_lshl_b64 s[6:7], s[48:49], 4
	v_cndmask_b32_e32 v27, 0, v60, vcc
	s_add_u32 s6, s44, s6
	v_add_u32_e32 v26, v27, v26
	v_and_b32_e32 v27, 1, v46
	s_addc_u32 s7, s45, s7
	v_mov_b32_e32 v29, 0
	v_cndmask_b32_e64 v27, v27, 1, s[54:55]
	v_mov_b32_e32 v28, 2
	v_pk_mov_b32 v[30:31], s[6:7], s[6:7] op_sel:[0,1]
	;;#ASMSTART
	global_store_dwordx4 v[30:31], v[26:29] off	
s_waitcnt vmcnt(0)
	;;#ASMEND
.LBB66_106:
	s_or_b64 exec, exec, s[34:35]
	v_cmp_eq_u32_e32 vcc, 0, v0
	s_and_b64 exec, exec, vcc
	s_cbranch_execz .LBB66_108
; %bb.107:
	v_mov_b32_e32 v26, 0
	ds_write_b32 v26, v60 offset:24
	ds_write_b8 v26, v46 offset:28
.LBB66_108:
	s_or_b64 exec, exec, s[40:41]
	s_mov_b32 s6, 0
	v_mov_b32_e32 v28, 0
	s_mov_b32 s7, 1
	s_waitcnt lgkmcnt(0)
	v_cndmask_b32_e64 v26, v45, v43, s[28:29]
	v_cndmask_b32_e64 v27, v44, v42, s[28:29]
	s_barrier
	ds_read_b32 v29, v28 offset:24
	v_cmp_gt_u64_e32 vcc, s[6:7], v[38:39]
	v_and_b32_e32 v30, 1, v39
	v_cndmask_b32_e32 v27, 0, v27, vcc
	v_and_b32_e32 v26, 1, v26
	v_cmp_eq_u32_e32 vcc, 1, v30
	v_cndmask_b32_e64 v26, v26, 1, vcc
	v_cmp_eq_u32_e32 vcc, 0, v0
	v_cndmask_b32_e32 v26, v26, v39, vcc
	v_cndmask_b32_e64 v27, v27, 0, vcc
	v_cmp_eq_u16_sdwa vcc, v26, v28 src0_sel:BYTE_0 src1_sel:DWORD
	s_waitcnt lgkmcnt(0)
	v_cndmask_b32_e32 v26, 0, v29, vcc
	v_add3_u32 v26, v27, v38, v26
	v_cndmask_b32_e64 v27, 0, v26, s[2:3]
	v_add_u32_e32 v27, v27, v2
	v_cndmask_b32_e64 v28, 0, v27, s[4:5]
	v_add_u32_e32 v42, v28, v4
	;; [unrolled: 2-line block ×13, first 2 shown]
	s_branch .LBB66_137
.LBB66_109:
	s_or_b64 exec, exec, s[30:31]
                                        ; implicit-def: $vgpr14
	s_and_saveexec_b64 s[30:31], s[2:3]
	s_cbranch_execz .LBB66_31
.LBB66_110:
	v_mov_b32_e32 v15, s47
	v_add_co_u32_e32 v14, vcc, s7, v12
	v_addc_co_u32_e32 v15, vcc, 0, v15, vcc
	flat_load_dword v14, v[14:15] offset:1024
	s_or_b64 exec, exec, s[30:31]
                                        ; implicit-def: $vgpr15
	s_and_saveexec_b64 s[2:3], s[4:5]
	s_cbranch_execnz .LBB66_32
.LBB66_111:
	s_or_b64 exec, exec, s[2:3]
                                        ; implicit-def: $vgpr16
	s_and_saveexec_b64 s[2:3], s[28:29]
	s_cbranch_execz .LBB66_33
.LBB66_112:
	v_mov_b32_e32 v17, s47
	v_add_co_u32_e32 v16, vcc, s7, v12
	v_addc_co_u32_e32 v17, vcc, 0, v17, vcc
	flat_load_dword v16, v[16:17] offset:3072
	s_or_b64 exec, exec, s[2:3]
                                        ; implicit-def: $vgpr17
	s_and_saveexec_b64 s[2:3], s[8:9]
	s_cbranch_execnz .LBB66_34
.LBB66_113:
	s_or_b64 exec, exec, s[2:3]
                                        ; implicit-def: $vgpr2
	s_and_saveexec_b64 s[2:3], s[10:11]
	s_cbranch_execz .LBB66_35
.LBB66_114:
	v_lshlrev_b32_e32 v2, 2, v3
	v_mov_b32_e32 v3, s47
	v_add_co_u32_e32 v2, vcc, s7, v2
	v_addc_co_u32_e32 v3, vcc, 0, v3, vcc
	flat_load_dword v2, v[2:3]
	s_or_b64 exec, exec, s[2:3]
                                        ; implicit-def: $vgpr3
	s_and_saveexec_b64 s[2:3], s[12:13]
	s_cbranch_execnz .LBB66_36
.LBB66_115:
	s_or_b64 exec, exec, s[2:3]
                                        ; implicit-def: $vgpr4
	s_and_saveexec_b64 s[2:3], s[14:15]
	s_cbranch_execz .LBB66_37
.LBB66_116:
	v_lshlrev_b32_e32 v4, 2, v5
	v_mov_b32_e32 v5, s47
	v_add_co_u32_e32 v4, vcc, s7, v4
	v_addc_co_u32_e32 v5, vcc, 0, v5, vcc
	flat_load_dword v4, v[4:5]
	s_or_b64 exec, exec, s[2:3]
                                        ; implicit-def: $vgpr5
	s_and_saveexec_b64 s[2:3], s[16:17]
	s_cbranch_execnz .LBB66_38
.LBB66_117:
	s_or_b64 exec, exec, s[2:3]
                                        ; implicit-def: $vgpr6
	s_and_saveexec_b64 s[2:3], s[18:19]
	s_cbranch_execz .LBB66_39
.LBB66_118:
	v_lshlrev_b32_e32 v6, 2, v7
	v_mov_b32_e32 v7, s47
	v_add_co_u32_e32 v6, vcc, s7, v6
	v_addc_co_u32_e32 v7, vcc, 0, v7, vcc
	flat_load_dword v6, v[6:7]
	s_or_b64 exec, exec, s[2:3]
                                        ; implicit-def: $vgpr7
	s_and_saveexec_b64 s[2:3], s[20:21]
	s_cbranch_execnz .LBB66_40
.LBB66_119:
	s_or_b64 exec, exec, s[2:3]
                                        ; implicit-def: $vgpr8
	s_and_saveexec_b64 s[2:3], s[22:23]
	s_cbranch_execz .LBB66_41
.LBB66_120:
	v_lshlrev_b32_e32 v8, 2, v9
	v_mov_b32_e32 v9, s47
	v_add_co_u32_e32 v8, vcc, s7, v8
	v_addc_co_u32_e32 v9, vcc, 0, v9, vcc
	flat_load_dword v8, v[8:9]
	s_or_b64 exec, exec, s[2:3]
                                        ; implicit-def: $vgpr9
	s_and_saveexec_b64 s[2:3], s[24:25]
	s_cbranch_execz .LBB66_43
	s_branch .LBB66_42
.LBB66_121:
                                        ; implicit-def: $vgpr49
                                        ; implicit-def: $vgpr47
                                        ; implicit-def: $vgpr45
                                        ; implicit-def: $vgpr43
                                        ; implicit-def: $vgpr34_vgpr35_vgpr36_vgpr37
                                        ; implicit-def: $vgpr30_vgpr31_vgpr32_vgpr33
                                        ; implicit-def: $vgpr26_vgpr27_vgpr28_vgpr29
	s_cbranch_execz .LBB66_137
; %bb.122:
	s_cmp_lg_u64 s[52:53], 0
	s_cselect_b32 s5, s51, 0
	s_cselect_b32 s4, s50, 0
	s_cmp_lg_u64 s[4:5], 0
	s_cselect_b64 s[6:7], -1, 0
	v_cmp_eq_u32_e32 vcc, 0, v0
	s_mov_b32 s28, 0
	v_cmp_ne_u32_e64 s[2:3], 0, v0
	s_and_b64 s[8:9], vcc, s[6:7]
	s_and_saveexec_b64 s[6:7], s[8:9]
	s_cbranch_execz .LBB66_124
; %bb.123:
	v_mov_b32_e32 v26, 0
	global_load_dword v28, v26, s[4:5]
	global_load_ubyte v29, v26, s[4:5] offset:4
	s_mov_b32 s29, 1
	v_and_b32_e32 v27, 1, v39
	v_cmp_gt_u64_e64 s[4:5], s[28:29], v[38:39]
	s_waitcnt vmcnt(1)
	v_cndmask_b32_e64 v28, 0, v28, s[4:5]
	s_waitcnt vmcnt(0)
	v_and_b32_e32 v29, 1, v29
	v_cmp_eq_u64_e64 s[4:5], 0, v[26:27]
	v_add_u32_e32 v38, v28, v38
	v_cndmask_b32_e64 v39, 1, v29, s[4:5]
.LBB66_124:
	s_or_b64 exec, exec, s[6:7]
	s_mov_b32 s29, 1
	v_cmp_gt_u64_e64 s[4:5], s[28:29], v[2:3]
	v_cndmask_b32_e64 v26, 0, v38, s[4:5]
	v_add_u32_e32 v27, v26, v2
	v_cmp_gt_u64_e64 s[6:7], s[28:29], v[4:5]
	v_cndmask_b32_e64 v26, 0, v27, s[6:7]
	v_add_u32_e32 v42, v26, v4
	;; [unrolled: 3-line block ×7, first 2 shown]
	v_cmp_gt_u64_e64 s[18:19], s[28:29], v[16:17]
	v_mov_b32_e32 v28, 0
	v_cndmask_b32_e64 v26, 0, v45, s[18:19]
	v_or3_b32 v7, v23, v15, v7
	v_add_u32_e32 v34, v26, v16
	v_cmp_gt_u64_e64 s[20:21], s[28:29], v[18:19]
	v_or3_b32 v9, v25, v17, v9
	v_and_b32_e32 v55, 1, v7
	v_mov_b32_e32 v54, v28
	v_cndmask_b32_e64 v26, 0, v34, s[20:21]
	v_or3_b32 v3, v19, v11, v3
	v_and_b32_e32 v37, 1, v9
	v_mov_b32_e32 v36, v28
	v_cmp_ne_u64_e64 s[34:35], 0, v[54:55]
	v_add_u32_e32 v35, v26, v18
	v_cmp_gt_u64_e64 s[22:23], s[28:29], v[20:21]
	v_or3_b32 v5, v21, v13, v5
	v_and_b32_e32 v29, 1, v3
	v_cndmask_b32_e64 v3, 0, 1, s[34:35]
	v_cmp_ne_u64_e64 s[34:35], 0, v[36:37]
	v_cndmask_b32_e64 v26, 0, v35, s[22:23]
	v_and_b32_e32 v33, 1, v5
	v_mov_b32_e32 v32, v28
	v_cndmask_b32_e64 v5, 0, 1, s[34:35]
	v_add_u32_e32 v46, v26, v20
	v_cmp_gt_u64_e64 s[24:25], s[28:29], v[22:23]
	v_lshlrev_b16_e32 v3, 2, v3
	v_lshlrev_b16_e32 v5, 3, v5
	v_cmp_ne_u64_e64 s[34:35], 0, v[32:33]
	v_cndmask_b32_e64 v26, 0, v46, s[24:25]
	v_or_b32_e32 v3, v5, v3
	v_cndmask_b32_e64 v5, 0, 1, s[34:35]
	v_cmp_ne_u64_e64 s[34:35], 0, v[28:29]
	v_add_u32_e32 v47, v26, v22
	v_cmp_gt_u64_e64 s[26:27], s[28:29], v[24:25]
	v_lshlrev_b16_e32 v5, 1, v5
	v_cndmask_b32_e64 v7, 0, 1, s[34:35]
	v_cndmask_b32_e64 v26, 0, v47, s[26:27]
	v_or_b32_e32 v5, v7, v5
	v_add_u32_e32 v48, v26, v24
	v_cmp_gt_u64_e64 s[28:29], s[28:29], v[40:41]
	v_and_b32_e32 v5, 3, v5
	v_cndmask_b32_e64 v26, 0, v48, s[28:29]
	v_or_b32_e32 v3, v5, v3
	v_add_u32_e32 v49, v26, v40
	v_and_b32_e32 v26, 1, v41
	v_and_b32_e32 v3, 15, v3
	v_cmp_eq_u32_e64 s[30:31], 1, v26
	v_cmp_ne_u16_e64 s[34:35], 0, v3
	s_or_b64 s[30:31], s[30:31], s[34:35]
	v_cndmask_b32_e64 v5, v39, 1, s[30:31]
	v_mbcnt_hi_u32_b32 v3, -1, v52
	v_mov_b32_dpp v9, v49 row_shr:1 row_mask:0xf bank_mask:0xf
	v_mov_b32_dpp v11, v5 row_shr:1 row_mask:0xf bank_mask:0xf
	v_cmp_eq_u32_e64 s[30:31], 0, v5
	v_and_b32_e32 v13, 1, v5
	v_and_b32_e32 v7, 15, v3
	v_cndmask_b32_e64 v9, 0, v9, s[30:31]
	v_and_b32_e32 v11, 1, v11
	v_cmp_eq_u32_e64 s[30:31], 1, v13
	v_cndmask_b32_e64 v11, v11, 1, s[30:31]
	v_cmp_eq_u32_e64 s[30:31], 0, v7
	v_cndmask_b32_e64 v5, v11, v5, s[30:31]
	v_and_b32_e32 v15, 1, v5
	v_cmp_eq_u32_e64 s[34:35], 1, v15
	v_mov_b32_dpp v13, v5 row_shr:2 row_mask:0xf bank_mask:0xf
	v_and_b32_e32 v13, 1, v13
	v_cndmask_b32_e64 v13, v13, 1, s[34:35]
	v_cmp_lt_u32_e64 s[34:35], 1, v7
	v_cndmask_b32_e64 v9, v9, 0, s[30:31]
	v_cmp_eq_u32_e64 s[30:31], 0, v5
	v_cndmask_b32_e64 v5, v5, v13, s[34:35]
	v_add_u32_e32 v9, v49, v9
	v_and_b32_e32 v15, 1, v5
	v_mov_b32_dpp v13, v5 row_shr:4 row_mask:0xf bank_mask:0xf
	v_mov_b32_dpp v11, v9 row_shr:2 row_mask:0xf bank_mask:0xf
	s_and_b64 s[30:31], s[34:35], s[30:31]
	v_and_b32_e32 v13, 1, v13
	v_cmp_eq_u32_e64 s[34:35], 1, v15
	v_cndmask_b32_e64 v11, 0, v11, s[30:31]
	v_cndmask_b32_e64 v13, v13, 1, s[34:35]
	v_cmp_lt_u32_e64 s[34:35], 3, v7
	v_add_u32_e32 v9, v9, v11
	v_cmp_eq_u32_e64 s[30:31], 0, v5
	v_cndmask_b32_e64 v5, v5, v13, s[34:35]
	v_mov_b32_dpp v11, v9 row_shr:4 row_mask:0xf bank_mask:0xf
	s_and_b64 s[30:31], s[34:35], s[30:31]
	v_mov_b32_dpp v13, v5 row_shr:8 row_mask:0xf bank_mask:0xf
	v_and_b32_e32 v15, 1, v5
	v_cndmask_b32_e64 v11, 0, v11, s[30:31]
	v_and_b32_e32 v13, 1, v13
	v_cmp_eq_u32_e64 s[34:35], 1, v15
	v_add_u32_e32 v9, v9, v11
	v_cmp_eq_u32_e64 s[30:31], 0, v5
	v_cndmask_b32_e64 v13, v13, 1, s[34:35]
	v_cmp_lt_u32_e64 s[34:35], 7, v7
	v_mov_b32_dpp v11, v9 row_shr:8 row_mask:0xf bank_mask:0xf
	s_and_b64 s[30:31], s[34:35], s[30:31]
	v_cndmask_b32_e64 v7, 0, v11, s[30:31]
	v_cndmask_b32_e64 v5, v5, v13, s[34:35]
	v_add_u32_e32 v7, v9, v7
	v_cmp_eq_u32_e64 s[30:31], 0, v5
	v_mov_b32_dpp v11, v5 row_bcast:15 row_mask:0xf bank_mask:0xf
	v_mov_b32_dpp v9, v7 row_bcast:15 row_mask:0xf bank_mask:0xf
	v_and_b32_e32 v17, 1, v5
	v_and_b32_e32 v15, 16, v3
	v_cndmask_b32_e64 v9, 0, v9, s[30:31]
	v_and_b32_e32 v11, 1, v11
	v_cmp_eq_u32_e64 s[30:31], 1, v17
	v_bfe_i32 v13, v3, 4, 1
	v_cndmask_b32_e64 v11, v11, 1, s[30:31]
	v_cmp_eq_u32_e64 s[30:31], 0, v15
	v_and_b32_e32 v9, v13, v9
	v_cndmask_b32_e64 v5, v11, v5, s[30:31]
	v_add_u32_e32 v9, v7, v9
	v_and_b32_e32 v13, 1, v5
	v_mov_b32_dpp v7, v5 row_bcast:31 row_mask:0xf bank_mask:0xf
	v_and_b32_e32 v7, 1, v7
	v_cmp_eq_u32_e64 s[34:35], 1, v13
	v_cmp_eq_u32_e64 s[30:31], 0, v5
	v_cndmask_b32_e64 v7, v7, 1, s[34:35]
	v_cmp_lt_u32_e64 s[34:35], 31, v3
	v_mov_b32_dpp v11, v9 row_bcast:31 row_mask:0xf bank_mask:0xf
	s_and_b64 s[30:31], s[34:35], s[30:31]
	v_cndmask_b32_e64 v7, v5, v7, s[34:35]
	v_cndmask_b32_e64 v5, 0, v11, s[30:31]
	v_add_u32_e32 v5, v9, v5
	v_cmp_eq_u32_e64 s[30:31], v51, v0
	s_and_saveexec_b64 s[34:35], s[30:31]
	s_cbranch_execz .LBB66_126
; %bb.125:
	v_lshlrev_b32_e32 v9, 3, v1
	ds_write_b32 v9, v5
	ds_write_b8 v9, v7 offset:4
.LBB66_126:
	s_or_b64 exec, exec, s[34:35]
	v_cmp_gt_u32_e64 s[30:31], 4, v0
	s_waitcnt lgkmcnt(0)
	s_barrier
	s_and_saveexec_b64 s[34:35], s[30:31]
	s_cbranch_execz .LBB66_130
; %bb.127:
	v_lshlrev_b32_e32 v9, 3, v0
	ds_read_b64 v[28:29], v9
	v_and_b32_e32 v11, 3, v3
	v_cmp_ne_u32_e64 s[30:31], 0, v11
	s_waitcnt lgkmcnt(0)
	v_mov_b32_dpp v13, v28 row_shr:1 row_mask:0xf bank_mask:0xf
	v_mov_b32_dpp v17, v29 row_shr:1 row_mask:0xf bank_mask:0xf
	v_mov_b32_e32 v15, v29
	s_and_saveexec_b64 s[40:41], s[30:31]
	s_cbranch_execz .LBB66_129
; %bb.128:
	v_and_b32_e32 v15, 1, v29
	v_and_b32_e32 v17, 1, v17
	v_cmp_eq_u32_e64 s[30:31], 1, v15
	v_mov_b32_e32 v15, 0
	v_cndmask_b32_e64 v17, v17, 1, s[30:31]
	v_cmp_eq_u16_sdwa s[30:31], v29, v15 src0_sel:BYTE_0 src1_sel:DWORD
	v_cndmask_b32_e64 v13, 0, v13, s[30:31]
	v_add_u32_e32 v28, v13, v28
	v_and_b32_e32 v13, 0xffff, v17
	s_movk_i32 s30, 0xff00
	v_and_or_b32 v15, v29, s30, v13
	v_mov_b32_e32 v29, v17
.LBB66_129:
	s_or_b64 exec, exec, s[40:41]
	v_mov_b32_dpp v15, v15 row_shr:2 row_mask:0xf bank_mask:0xf
	v_and_b32_e32 v17, 1, v29
	v_and_b32_e32 v15, 1, v15
	v_cmp_eq_u32_e64 s[30:31], 1, v17
	v_mov_b32_e32 v17, 0
	v_cndmask_b32_e64 v15, v15, 1, s[30:31]
	v_cmp_eq_u16_sdwa s[40:41], v29, v17 src0_sel:BYTE_0 src1_sel:DWORD
	v_cmp_lt_u32_e64 s[30:31], 1, v11
	v_mov_b32_dpp v13, v28 row_shr:2 row_mask:0xf bank_mask:0xf
	v_cndmask_b32_e64 v11, v29, v15, s[30:31]
	s_and_b64 s[30:31], s[30:31], s[40:41]
	v_cndmask_b32_e64 v13, 0, v13, s[30:31]
	v_add_u32_e32 v13, v13, v28
	ds_write_b32 v9, v13
	ds_write_b8 v9, v11 offset:4
.LBB66_130:
	s_or_b64 exec, exec, s[34:35]
	v_cmp_lt_u32_e64 s[30:31], 63, v0
	v_mov_b32_e32 v9, 0
	s_waitcnt lgkmcnt(0)
	s_barrier
	s_and_saveexec_b64 s[34:35], s[30:31]
	s_cbranch_execz .LBB66_132
; %bb.131:
	v_lshl_add_u32 v1, v1, 3, -8
	ds_read_b32 v9, v1
	v_cmp_eq_u32_e64 s[30:31], 0, v7
	s_waitcnt lgkmcnt(0)
	v_cndmask_b32_e64 v1, 0, v9, s[30:31]
	v_add_u32_e32 v5, v1, v5
.LBB66_132:
	s_or_b64 exec, exec, s[34:35]
	v_add_u32_e32 v1, -1, v3
	v_and_b32_e32 v7, 64, v3
	v_cmp_lt_i32_e64 s[30:31], v1, v7
	v_cndmask_b32_e64 v1, v1, v3, s[30:31]
	v_lshlrev_b32_e32 v1, 2, v1
	ds_bpermute_b32 v1, v1, v5
	s_and_saveexec_b64 s[30:31], s[2:3]
	s_cbranch_execz .LBB66_134
; %bb.133:
	v_and_b32_e32 v27, 0xff, v39
	v_mov_b32_e32 v26, 0
	v_cmp_eq_u32_e64 s[2:3], 0, v3
	s_waitcnt lgkmcnt(0)
	v_cndmask_b32_e64 v1, v1, v9, s[2:3]
	v_cmp_eq_u64_e64 s[2:3], 0, v[26:27]
	v_cndmask_b32_e64 v1, 0, v1, s[2:3]
	v_add_u32_e32 v38, v1, v38
	v_cndmask_b32_e64 v1, 0, v38, s[4:5]
	v_add_u32_e32 v27, v1, v2
	;; [unrolled: 2-line block ×14, first 2 shown]
	;;#ASMSTART
	;;#ASMEND
.LBB66_134:
	s_or_b64 exec, exec, s[30:31]
	s_and_saveexec_b64 s[2:3], vcc
	s_cbranch_execz .LBB66_136
; %bb.135:
	v_mov_b32_e32 v5, 0
	ds_read_b32 v2, v5 offset:24
	ds_read_u8 v3, v5 offset:28
	s_add_u32 s4, s44, 0x400
	s_addc_u32 s5, s45, 0
	v_mov_b32_e32 v4, 2
	v_pk_mov_b32 v[6:7], s[4:5], s[4:5] op_sel:[0,1]
	s_waitcnt lgkmcnt(0)
	;;#ASMSTART
	global_store_dwordx4 v[6:7], v[2:5] off	
s_waitcnt vmcnt(0)
	;;#ASMEND
.LBB66_136:
	s_or_b64 exec, exec, s[2:3]
	v_mov_b32_e32 v26, v38
.LBB66_137:
	s_add_u32 s2, s42, s38
	s_addc_u32 s3, s43, s39
	s_add_u32 s4, s2, s36
	s_waitcnt lgkmcnt(0)
	v_mul_u32_u24_e32 v1, 14, v0
	s_addc_u32 s5, s3, s37
	s_and_b64 vcc, exec, s[0:1]
	v_lshlrev_b32_e32 v2, 2, v1
	s_cbranch_vccz .LBB66_165
; %bb.138:
	s_movk_i32 s0, 0xffcc
	v_mad_i32_i24 v3, v0, s0, v2
	s_barrier
	ds_write2_b64 v2, v[26:27], v[42:43] offset1:1
	ds_write2_b64 v2, v[30:31], v[44:45] offset0:2 offset1:3
	ds_write2_b64 v2, v[34:35], v[46:47] offset0:4 offset1:5
	ds_write_b64 v2, v[48:49] offset:48
	s_waitcnt lgkmcnt(0)
	s_barrier
	ds_read2st64_b32 v[16:17], v3 offset0:4 offset1:8
	ds_read2st64_b32 v[14:15], v3 offset0:12 offset1:16
	;; [unrolled: 1-line block ×6, first 2 shown]
	ds_read_b32 v3, v3 offset:13312
	v_mov_b32_e32 v7, s5
	v_add_co_u32_e32 v6, vcc, s4, v50
	s_add_i32 s33, s33, s46
	v_addc_co_u32_e32 v7, vcc, 0, v7, vcc
	v_mov_b32_e32 v1, 0
	v_cmp_gt_u32_e32 vcc, s33, v0
	s_and_saveexec_b64 s[0:1], vcc
	s_cbranch_execz .LBB66_140
; %bb.139:
	v_mul_i32_i24_e32 v18, 0xffffffcc, v0
	v_add_u32_e32 v18, v2, v18
	ds_read_b32 v18, v18
	s_waitcnt lgkmcnt(0)
	flat_store_dword v[6:7], v18
.LBB66_140:
	s_or_b64 exec, exec, s[0:1]
	v_or_b32_e32 v18, 0x100, v0
	v_cmp_gt_u32_e32 vcc, s33, v18
	s_and_saveexec_b64 s[0:1], vcc
	s_cbranch_execz .LBB66_142
; %bb.141:
	s_waitcnt lgkmcnt(0)
	flat_store_dword v[6:7], v16 offset:1024
.LBB66_142:
	s_or_b64 exec, exec, s[0:1]
	s_waitcnt lgkmcnt(0)
	v_or_b32_e32 v16, 0x200, v0
	v_cmp_gt_u32_e32 vcc, s33, v16
	s_and_saveexec_b64 s[0:1], vcc
	s_cbranch_execz .LBB66_144
; %bb.143:
	flat_store_dword v[6:7], v17 offset:2048
.LBB66_144:
	s_or_b64 exec, exec, s[0:1]
	v_or_b32_e32 v16, 0x300, v0
	v_cmp_gt_u32_e32 vcc, s33, v16
	s_and_saveexec_b64 s[0:1], vcc
	s_cbranch_execz .LBB66_146
; %bb.145:
	flat_store_dword v[6:7], v14 offset:3072
.LBB66_146:
	s_or_b64 exec, exec, s[0:1]
	v_or_b32_e32 v14, 0x400, v0
	v_cmp_gt_u32_e32 vcc, s33, v14
	s_and_saveexec_b64 s[0:1], vcc
	s_cbranch_execz .LBB66_148
; %bb.147:
	v_add_co_u32_e32 v16, vcc, 0x1000, v6
	v_addc_co_u32_e32 v17, vcc, 0, v7, vcc
	flat_store_dword v[16:17], v15
.LBB66_148:
	s_or_b64 exec, exec, s[0:1]
	v_or_b32_e32 v14, 0x500, v0
	v_cmp_gt_u32_e32 vcc, s33, v14
	s_and_saveexec_b64 s[0:1], vcc
	s_cbranch_execz .LBB66_150
; %bb.149:
	v_add_co_u32_e32 v14, vcc, 0x1000, v6
	v_addc_co_u32_e32 v15, vcc, 0, v7, vcc
	flat_store_dword v[14:15], v12 offset:1024
.LBB66_150:
	s_or_b64 exec, exec, s[0:1]
	v_or_b32_e32 v12, 0x600, v0
	v_cmp_gt_u32_e32 vcc, s33, v12
	s_and_saveexec_b64 s[0:1], vcc
	s_cbranch_execz .LBB66_152
; %bb.151:
	v_add_co_u32_e32 v14, vcc, 0x1000, v6
	v_addc_co_u32_e32 v15, vcc, 0, v7, vcc
	flat_store_dword v[14:15], v13 offset:2048
.LBB66_152:
	;; [unrolled: 10-line block ×3, first 2 shown]
	s_or_b64 exec, exec, s[0:1]
	v_or_b32_e32 v10, 0x800, v0
	v_cmp_gt_u32_e32 vcc, s33, v10
	s_and_saveexec_b64 s[0:1], vcc
	s_cbranch_execz .LBB66_156
; %bb.155:
	v_add_co_u32_e32 v12, vcc, 0x2000, v6
	v_addc_co_u32_e32 v13, vcc, 0, v7, vcc
	flat_store_dword v[12:13], v11
.LBB66_156:
	s_or_b64 exec, exec, s[0:1]
	v_or_b32_e32 v10, 0x900, v0
	v_cmp_gt_u32_e32 vcc, s33, v10
	s_and_saveexec_b64 s[0:1], vcc
	s_cbranch_execz .LBB66_158
; %bb.157:
	v_add_co_u32_e32 v10, vcc, 0x2000, v6
	v_addc_co_u32_e32 v11, vcc, 0, v7, vcc
	flat_store_dword v[10:11], v8 offset:1024
.LBB66_158:
	s_or_b64 exec, exec, s[0:1]
	v_or_b32_e32 v8, 0xa00, v0
	v_cmp_gt_u32_e32 vcc, s33, v8
	s_and_saveexec_b64 s[0:1], vcc
	s_cbranch_execz .LBB66_160
; %bb.159:
	v_add_co_u32_e32 v10, vcc, 0x2000, v6
	v_addc_co_u32_e32 v11, vcc, 0, v7, vcc
	flat_store_dword v[10:11], v9 offset:2048
.LBB66_160:
	;; [unrolled: 10-line block ×3, first 2 shown]
	s_or_b64 exec, exec, s[0:1]
	v_or_b32_e32 v4, 0xc00, v0
	v_cmp_gt_u32_e32 vcc, s33, v4
	s_and_saveexec_b64 s[0:1], vcc
	s_cbranch_execz .LBB66_164
; %bb.163:
	v_add_co_u32_e32 v6, vcc, 0x3000, v6
	v_addc_co_u32_e32 v7, vcc, 0, v7, vcc
	flat_store_dword v[6:7], v5
.LBB66_164:
	s_or_b64 exec, exec, s[0:1]
	v_or_b32_e32 v4, 0xd00, v0
	v_cmp_gt_u32_e64 s[0:1], s33, v4
	s_branch .LBB66_167
.LBB66_165:
	s_mov_b64 s[0:1], 0
                                        ; implicit-def: $vgpr3
	s_cbranch_execz .LBB66_167
; %bb.166:
	s_movk_i32 s2, 0xffcc
	s_waitcnt lgkmcnt(0)
	s_barrier
	ds_write2_b64 v2, v[26:27], v[42:43] offset1:1
	ds_write2_b64 v2, v[30:31], v[44:45] offset0:2 offset1:3
	ds_write2_b64 v2, v[34:35], v[46:47] offset0:4 offset1:5
	ds_write_b64 v2, v[48:49] offset:48
	v_mad_i32_i24 v2, v0, s2, v2
	v_mov_b32_e32 v17, s5
	v_add_co_u32_e32 v16, vcc, s4, v50
	s_waitcnt lgkmcnt(0)
	s_barrier
	ds_read2st64_b32 v[4:5], v2 offset1:4
	ds_read2st64_b32 v[6:7], v2 offset0:8 offset1:12
	ds_read2st64_b32 v[8:9], v2 offset0:16 offset1:20
	ds_read2st64_b32 v[10:11], v2 offset0:24 offset1:28
	ds_read2st64_b32 v[12:13], v2 offset0:32 offset1:36
	ds_read2st64_b32 v[14:15], v2 offset0:40 offset1:44
	ds_read2st64_b32 v[2:3], v2 offset0:48 offset1:52
	v_addc_co_u32_e32 v17, vcc, 0, v17, vcc
	s_movk_i32 s2, 0x1000
	s_waitcnt lgkmcnt(0)
	flat_store_dword v[16:17], v4
	flat_store_dword v[16:17], v5 offset:1024
	flat_store_dword v[16:17], v6 offset:2048
	;; [unrolled: 1-line block ×3, first 2 shown]
	v_add_co_u32_e32 v4, vcc, s2, v16
	v_addc_co_u32_e32 v5, vcc, 0, v17, vcc
	flat_store_dword v[4:5], v8
	flat_store_dword v[4:5], v9 offset:1024
	flat_store_dword v[4:5], v10 offset:2048
	;; [unrolled: 1-line block ×3, first 2 shown]
	v_add_co_u32_e32 v4, vcc, 0x2000, v16
	v_addc_co_u32_e32 v5, vcc, 0, v17, vcc
	flat_store_dword v[4:5], v12
	flat_store_dword v[4:5], v13 offset:1024
	flat_store_dword v[4:5], v14 offset:2048
	;; [unrolled: 1-line block ×3, first 2 shown]
	v_add_co_u32_e32 v4, vcc, 0x3000, v16
	v_mov_b32_e32 v1, 0
	v_addc_co_u32_e32 v5, vcc, 0, v17, vcc
	s_or_b64 s[0:1], s[0:1], exec
	flat_store_dword v[4:5], v2
.LBB66_167:
	s_and_saveexec_b64 s[2:3], s[0:1]
	s_cbranch_execz .LBB66_169
; %bb.168:
	v_lshlrev_b64 v[0:1], 2, v[0:1]
	v_mov_b32_e32 v2, s5
	v_add_co_u32_e32 v0, vcc, s4, v0
	v_addc_co_u32_e32 v1, vcc, v2, v1, vcc
	v_add_co_u32_e32 v0, vcc, 0x3000, v0
	v_addc_co_u32_e32 v1, vcc, 0, v1, vcc
	flat_store_dword v[0:1], v3 offset:1024
	s_endpgm
.LBB66_169:
	s_endpgm
	.section	.rodata,"a",@progbits
	.p2align	6, 0x0
	.amdhsa_kernel _ZN7rocprim17ROCPRIM_400000_NS6detail17trampoline_kernelINS0_14default_configENS1_27scan_by_key_config_selectorIiiEEZZNS1_16scan_by_key_implILNS1_25lookback_scan_determinismE0ELb0ES3_N6thrust23THRUST_200600_302600_NS6detail15normal_iteratorINS9_10device_ptrIiEEEESE_SE_iNS9_4plusIvEE19head_flag_predicateIiEiEE10hipError_tPvRmT2_T3_T4_T5_mT6_T7_P12ihipStream_tbENKUlT_T0_E_clISt17integral_constantIbLb1EESY_IbLb0EEEEDaSU_SV_EUlSU_E_NS1_11comp_targetILNS1_3genE4ELNS1_11target_archE910ELNS1_3gpuE8ELNS1_3repE0EEENS1_30default_config_static_selectorELNS0_4arch9wavefront6targetE1EEEvT1_
		.amdhsa_group_segment_fixed_size 16384
		.amdhsa_private_segment_fixed_size 0
		.amdhsa_kernarg_size 112
		.amdhsa_user_sgpr_count 6
		.amdhsa_user_sgpr_private_segment_buffer 1
		.amdhsa_user_sgpr_dispatch_ptr 0
		.amdhsa_user_sgpr_queue_ptr 0
		.amdhsa_user_sgpr_kernarg_segment_ptr 1
		.amdhsa_user_sgpr_dispatch_id 0
		.amdhsa_user_sgpr_flat_scratch_init 0
		.amdhsa_user_sgpr_kernarg_preload_length 0
		.amdhsa_user_sgpr_kernarg_preload_offset 0
		.amdhsa_user_sgpr_private_segment_size 0
		.amdhsa_uses_dynamic_stack 0
		.amdhsa_system_sgpr_private_segment_wavefront_offset 0
		.amdhsa_system_sgpr_workgroup_id_x 1
		.amdhsa_system_sgpr_workgroup_id_y 0
		.amdhsa_system_sgpr_workgroup_id_z 0
		.amdhsa_system_sgpr_workgroup_info 0
		.amdhsa_system_vgpr_workitem_id 0
		.amdhsa_next_free_vgpr 65
		.amdhsa_next_free_sgpr 60
		.amdhsa_accum_offset 68
		.amdhsa_reserve_vcc 1
		.amdhsa_reserve_flat_scratch 0
		.amdhsa_float_round_mode_32 0
		.amdhsa_float_round_mode_16_64 0
		.amdhsa_float_denorm_mode_32 3
		.amdhsa_float_denorm_mode_16_64 3
		.amdhsa_dx10_clamp 1
		.amdhsa_ieee_mode 1
		.amdhsa_fp16_overflow 0
		.amdhsa_tg_split 0
		.amdhsa_exception_fp_ieee_invalid_op 0
		.amdhsa_exception_fp_denorm_src 0
		.amdhsa_exception_fp_ieee_div_zero 0
		.amdhsa_exception_fp_ieee_overflow 0
		.amdhsa_exception_fp_ieee_underflow 0
		.amdhsa_exception_fp_ieee_inexact 0
		.amdhsa_exception_int_div_zero 0
	.end_amdhsa_kernel
	.section	.text._ZN7rocprim17ROCPRIM_400000_NS6detail17trampoline_kernelINS0_14default_configENS1_27scan_by_key_config_selectorIiiEEZZNS1_16scan_by_key_implILNS1_25lookback_scan_determinismE0ELb0ES3_N6thrust23THRUST_200600_302600_NS6detail15normal_iteratorINS9_10device_ptrIiEEEESE_SE_iNS9_4plusIvEE19head_flag_predicateIiEiEE10hipError_tPvRmT2_T3_T4_T5_mT6_T7_P12ihipStream_tbENKUlT_T0_E_clISt17integral_constantIbLb1EESY_IbLb0EEEEDaSU_SV_EUlSU_E_NS1_11comp_targetILNS1_3genE4ELNS1_11target_archE910ELNS1_3gpuE8ELNS1_3repE0EEENS1_30default_config_static_selectorELNS0_4arch9wavefront6targetE1EEEvT1_,"axG",@progbits,_ZN7rocprim17ROCPRIM_400000_NS6detail17trampoline_kernelINS0_14default_configENS1_27scan_by_key_config_selectorIiiEEZZNS1_16scan_by_key_implILNS1_25lookback_scan_determinismE0ELb0ES3_N6thrust23THRUST_200600_302600_NS6detail15normal_iteratorINS9_10device_ptrIiEEEESE_SE_iNS9_4plusIvEE19head_flag_predicateIiEiEE10hipError_tPvRmT2_T3_T4_T5_mT6_T7_P12ihipStream_tbENKUlT_T0_E_clISt17integral_constantIbLb1EESY_IbLb0EEEEDaSU_SV_EUlSU_E_NS1_11comp_targetILNS1_3genE4ELNS1_11target_archE910ELNS1_3gpuE8ELNS1_3repE0EEENS1_30default_config_static_selectorELNS0_4arch9wavefront6targetE1EEEvT1_,comdat
.Lfunc_end66:
	.size	_ZN7rocprim17ROCPRIM_400000_NS6detail17trampoline_kernelINS0_14default_configENS1_27scan_by_key_config_selectorIiiEEZZNS1_16scan_by_key_implILNS1_25lookback_scan_determinismE0ELb0ES3_N6thrust23THRUST_200600_302600_NS6detail15normal_iteratorINS9_10device_ptrIiEEEESE_SE_iNS9_4plusIvEE19head_flag_predicateIiEiEE10hipError_tPvRmT2_T3_T4_T5_mT6_T7_P12ihipStream_tbENKUlT_T0_E_clISt17integral_constantIbLb1EESY_IbLb0EEEEDaSU_SV_EUlSU_E_NS1_11comp_targetILNS1_3genE4ELNS1_11target_archE910ELNS1_3gpuE8ELNS1_3repE0EEENS1_30default_config_static_selectorELNS0_4arch9wavefront6targetE1EEEvT1_, .Lfunc_end66-_ZN7rocprim17ROCPRIM_400000_NS6detail17trampoline_kernelINS0_14default_configENS1_27scan_by_key_config_selectorIiiEEZZNS1_16scan_by_key_implILNS1_25lookback_scan_determinismE0ELb0ES3_N6thrust23THRUST_200600_302600_NS6detail15normal_iteratorINS9_10device_ptrIiEEEESE_SE_iNS9_4plusIvEE19head_flag_predicateIiEiEE10hipError_tPvRmT2_T3_T4_T5_mT6_T7_P12ihipStream_tbENKUlT_T0_E_clISt17integral_constantIbLb1EESY_IbLb0EEEEDaSU_SV_EUlSU_E_NS1_11comp_targetILNS1_3genE4ELNS1_11target_archE910ELNS1_3gpuE8ELNS1_3repE0EEENS1_30default_config_static_selectorELNS0_4arch9wavefront6targetE1EEEvT1_
                                        ; -- End function
	.section	.AMDGPU.csdata,"",@progbits
; Kernel info:
; codeLenInByte = 10856
; NumSgprs: 64
; NumVgprs: 65
; NumAgprs: 0
; TotalNumVgprs: 65
; ScratchSize: 0
; MemoryBound: 0
; FloatMode: 240
; IeeeMode: 1
; LDSByteSize: 16384 bytes/workgroup (compile time only)
; SGPRBlocks: 7
; VGPRBlocks: 8
; NumSGPRsForWavesPerEU: 64
; NumVGPRsForWavesPerEU: 65
; AccumOffset: 68
; Occupancy: 4
; WaveLimiterHint : 1
; COMPUTE_PGM_RSRC2:SCRATCH_EN: 0
; COMPUTE_PGM_RSRC2:USER_SGPR: 6
; COMPUTE_PGM_RSRC2:TRAP_HANDLER: 0
; COMPUTE_PGM_RSRC2:TGID_X_EN: 1
; COMPUTE_PGM_RSRC2:TGID_Y_EN: 0
; COMPUTE_PGM_RSRC2:TGID_Z_EN: 0
; COMPUTE_PGM_RSRC2:TIDIG_COMP_CNT: 0
; COMPUTE_PGM_RSRC3_GFX90A:ACCUM_OFFSET: 16
; COMPUTE_PGM_RSRC3_GFX90A:TG_SPLIT: 0
	.section	.text._ZN7rocprim17ROCPRIM_400000_NS6detail17trampoline_kernelINS0_14default_configENS1_27scan_by_key_config_selectorIiiEEZZNS1_16scan_by_key_implILNS1_25lookback_scan_determinismE0ELb0ES3_N6thrust23THRUST_200600_302600_NS6detail15normal_iteratorINS9_10device_ptrIiEEEESE_SE_iNS9_4plusIvEE19head_flag_predicateIiEiEE10hipError_tPvRmT2_T3_T4_T5_mT6_T7_P12ihipStream_tbENKUlT_T0_E_clISt17integral_constantIbLb1EESY_IbLb0EEEEDaSU_SV_EUlSU_E_NS1_11comp_targetILNS1_3genE3ELNS1_11target_archE908ELNS1_3gpuE7ELNS1_3repE0EEENS1_30default_config_static_selectorELNS0_4arch9wavefront6targetE1EEEvT1_,"axG",@progbits,_ZN7rocprim17ROCPRIM_400000_NS6detail17trampoline_kernelINS0_14default_configENS1_27scan_by_key_config_selectorIiiEEZZNS1_16scan_by_key_implILNS1_25lookback_scan_determinismE0ELb0ES3_N6thrust23THRUST_200600_302600_NS6detail15normal_iteratorINS9_10device_ptrIiEEEESE_SE_iNS9_4plusIvEE19head_flag_predicateIiEiEE10hipError_tPvRmT2_T3_T4_T5_mT6_T7_P12ihipStream_tbENKUlT_T0_E_clISt17integral_constantIbLb1EESY_IbLb0EEEEDaSU_SV_EUlSU_E_NS1_11comp_targetILNS1_3genE3ELNS1_11target_archE908ELNS1_3gpuE7ELNS1_3repE0EEENS1_30default_config_static_selectorELNS0_4arch9wavefront6targetE1EEEvT1_,comdat
	.protected	_ZN7rocprim17ROCPRIM_400000_NS6detail17trampoline_kernelINS0_14default_configENS1_27scan_by_key_config_selectorIiiEEZZNS1_16scan_by_key_implILNS1_25lookback_scan_determinismE0ELb0ES3_N6thrust23THRUST_200600_302600_NS6detail15normal_iteratorINS9_10device_ptrIiEEEESE_SE_iNS9_4plusIvEE19head_flag_predicateIiEiEE10hipError_tPvRmT2_T3_T4_T5_mT6_T7_P12ihipStream_tbENKUlT_T0_E_clISt17integral_constantIbLb1EESY_IbLb0EEEEDaSU_SV_EUlSU_E_NS1_11comp_targetILNS1_3genE3ELNS1_11target_archE908ELNS1_3gpuE7ELNS1_3repE0EEENS1_30default_config_static_selectorELNS0_4arch9wavefront6targetE1EEEvT1_ ; -- Begin function _ZN7rocprim17ROCPRIM_400000_NS6detail17trampoline_kernelINS0_14default_configENS1_27scan_by_key_config_selectorIiiEEZZNS1_16scan_by_key_implILNS1_25lookback_scan_determinismE0ELb0ES3_N6thrust23THRUST_200600_302600_NS6detail15normal_iteratorINS9_10device_ptrIiEEEESE_SE_iNS9_4plusIvEE19head_flag_predicateIiEiEE10hipError_tPvRmT2_T3_T4_T5_mT6_T7_P12ihipStream_tbENKUlT_T0_E_clISt17integral_constantIbLb1EESY_IbLb0EEEEDaSU_SV_EUlSU_E_NS1_11comp_targetILNS1_3genE3ELNS1_11target_archE908ELNS1_3gpuE7ELNS1_3repE0EEENS1_30default_config_static_selectorELNS0_4arch9wavefront6targetE1EEEvT1_
	.globl	_ZN7rocprim17ROCPRIM_400000_NS6detail17trampoline_kernelINS0_14default_configENS1_27scan_by_key_config_selectorIiiEEZZNS1_16scan_by_key_implILNS1_25lookback_scan_determinismE0ELb0ES3_N6thrust23THRUST_200600_302600_NS6detail15normal_iteratorINS9_10device_ptrIiEEEESE_SE_iNS9_4plusIvEE19head_flag_predicateIiEiEE10hipError_tPvRmT2_T3_T4_T5_mT6_T7_P12ihipStream_tbENKUlT_T0_E_clISt17integral_constantIbLb1EESY_IbLb0EEEEDaSU_SV_EUlSU_E_NS1_11comp_targetILNS1_3genE3ELNS1_11target_archE908ELNS1_3gpuE7ELNS1_3repE0EEENS1_30default_config_static_selectorELNS0_4arch9wavefront6targetE1EEEvT1_
	.p2align	8
	.type	_ZN7rocprim17ROCPRIM_400000_NS6detail17trampoline_kernelINS0_14default_configENS1_27scan_by_key_config_selectorIiiEEZZNS1_16scan_by_key_implILNS1_25lookback_scan_determinismE0ELb0ES3_N6thrust23THRUST_200600_302600_NS6detail15normal_iteratorINS9_10device_ptrIiEEEESE_SE_iNS9_4plusIvEE19head_flag_predicateIiEiEE10hipError_tPvRmT2_T3_T4_T5_mT6_T7_P12ihipStream_tbENKUlT_T0_E_clISt17integral_constantIbLb1EESY_IbLb0EEEEDaSU_SV_EUlSU_E_NS1_11comp_targetILNS1_3genE3ELNS1_11target_archE908ELNS1_3gpuE7ELNS1_3repE0EEENS1_30default_config_static_selectorELNS0_4arch9wavefront6targetE1EEEvT1_,@function
_ZN7rocprim17ROCPRIM_400000_NS6detail17trampoline_kernelINS0_14default_configENS1_27scan_by_key_config_selectorIiiEEZZNS1_16scan_by_key_implILNS1_25lookback_scan_determinismE0ELb0ES3_N6thrust23THRUST_200600_302600_NS6detail15normal_iteratorINS9_10device_ptrIiEEEESE_SE_iNS9_4plusIvEE19head_flag_predicateIiEiEE10hipError_tPvRmT2_T3_T4_T5_mT6_T7_P12ihipStream_tbENKUlT_T0_E_clISt17integral_constantIbLb1EESY_IbLb0EEEEDaSU_SV_EUlSU_E_NS1_11comp_targetILNS1_3genE3ELNS1_11target_archE908ELNS1_3gpuE7ELNS1_3repE0EEENS1_30default_config_static_selectorELNS0_4arch9wavefront6targetE1EEEvT1_: ; @_ZN7rocprim17ROCPRIM_400000_NS6detail17trampoline_kernelINS0_14default_configENS1_27scan_by_key_config_selectorIiiEEZZNS1_16scan_by_key_implILNS1_25lookback_scan_determinismE0ELb0ES3_N6thrust23THRUST_200600_302600_NS6detail15normal_iteratorINS9_10device_ptrIiEEEESE_SE_iNS9_4plusIvEE19head_flag_predicateIiEiEE10hipError_tPvRmT2_T3_T4_T5_mT6_T7_P12ihipStream_tbENKUlT_T0_E_clISt17integral_constantIbLb1EESY_IbLb0EEEEDaSU_SV_EUlSU_E_NS1_11comp_targetILNS1_3genE3ELNS1_11target_archE908ELNS1_3gpuE7ELNS1_3repE0EEENS1_30default_config_static_selectorELNS0_4arch9wavefront6targetE1EEEvT1_
; %bb.0:
	.section	.rodata,"a",@progbits
	.p2align	6, 0x0
	.amdhsa_kernel _ZN7rocprim17ROCPRIM_400000_NS6detail17trampoline_kernelINS0_14default_configENS1_27scan_by_key_config_selectorIiiEEZZNS1_16scan_by_key_implILNS1_25lookback_scan_determinismE0ELb0ES3_N6thrust23THRUST_200600_302600_NS6detail15normal_iteratorINS9_10device_ptrIiEEEESE_SE_iNS9_4plusIvEE19head_flag_predicateIiEiEE10hipError_tPvRmT2_T3_T4_T5_mT6_T7_P12ihipStream_tbENKUlT_T0_E_clISt17integral_constantIbLb1EESY_IbLb0EEEEDaSU_SV_EUlSU_E_NS1_11comp_targetILNS1_3genE3ELNS1_11target_archE908ELNS1_3gpuE7ELNS1_3repE0EEENS1_30default_config_static_selectorELNS0_4arch9wavefront6targetE1EEEvT1_
		.amdhsa_group_segment_fixed_size 0
		.amdhsa_private_segment_fixed_size 0
		.amdhsa_kernarg_size 112
		.amdhsa_user_sgpr_count 6
		.amdhsa_user_sgpr_private_segment_buffer 1
		.amdhsa_user_sgpr_dispatch_ptr 0
		.amdhsa_user_sgpr_queue_ptr 0
		.amdhsa_user_sgpr_kernarg_segment_ptr 1
		.amdhsa_user_sgpr_dispatch_id 0
		.amdhsa_user_sgpr_flat_scratch_init 0
		.amdhsa_user_sgpr_kernarg_preload_length 0
		.amdhsa_user_sgpr_kernarg_preload_offset 0
		.amdhsa_user_sgpr_private_segment_size 0
		.amdhsa_uses_dynamic_stack 0
		.amdhsa_system_sgpr_private_segment_wavefront_offset 0
		.amdhsa_system_sgpr_workgroup_id_x 1
		.amdhsa_system_sgpr_workgroup_id_y 0
		.amdhsa_system_sgpr_workgroup_id_z 0
		.amdhsa_system_sgpr_workgroup_info 0
		.amdhsa_system_vgpr_workitem_id 0
		.amdhsa_next_free_vgpr 1
		.amdhsa_next_free_sgpr 0
		.amdhsa_accum_offset 4
		.amdhsa_reserve_vcc 0
		.amdhsa_reserve_flat_scratch 0
		.amdhsa_float_round_mode_32 0
		.amdhsa_float_round_mode_16_64 0
		.amdhsa_float_denorm_mode_32 3
		.amdhsa_float_denorm_mode_16_64 3
		.amdhsa_dx10_clamp 1
		.amdhsa_ieee_mode 1
		.amdhsa_fp16_overflow 0
		.amdhsa_tg_split 0
		.amdhsa_exception_fp_ieee_invalid_op 0
		.amdhsa_exception_fp_denorm_src 0
		.amdhsa_exception_fp_ieee_div_zero 0
		.amdhsa_exception_fp_ieee_overflow 0
		.amdhsa_exception_fp_ieee_underflow 0
		.amdhsa_exception_fp_ieee_inexact 0
		.amdhsa_exception_int_div_zero 0
	.end_amdhsa_kernel
	.section	.text._ZN7rocprim17ROCPRIM_400000_NS6detail17trampoline_kernelINS0_14default_configENS1_27scan_by_key_config_selectorIiiEEZZNS1_16scan_by_key_implILNS1_25lookback_scan_determinismE0ELb0ES3_N6thrust23THRUST_200600_302600_NS6detail15normal_iteratorINS9_10device_ptrIiEEEESE_SE_iNS9_4plusIvEE19head_flag_predicateIiEiEE10hipError_tPvRmT2_T3_T4_T5_mT6_T7_P12ihipStream_tbENKUlT_T0_E_clISt17integral_constantIbLb1EESY_IbLb0EEEEDaSU_SV_EUlSU_E_NS1_11comp_targetILNS1_3genE3ELNS1_11target_archE908ELNS1_3gpuE7ELNS1_3repE0EEENS1_30default_config_static_selectorELNS0_4arch9wavefront6targetE1EEEvT1_,"axG",@progbits,_ZN7rocprim17ROCPRIM_400000_NS6detail17trampoline_kernelINS0_14default_configENS1_27scan_by_key_config_selectorIiiEEZZNS1_16scan_by_key_implILNS1_25lookback_scan_determinismE0ELb0ES3_N6thrust23THRUST_200600_302600_NS6detail15normal_iteratorINS9_10device_ptrIiEEEESE_SE_iNS9_4plusIvEE19head_flag_predicateIiEiEE10hipError_tPvRmT2_T3_T4_T5_mT6_T7_P12ihipStream_tbENKUlT_T0_E_clISt17integral_constantIbLb1EESY_IbLb0EEEEDaSU_SV_EUlSU_E_NS1_11comp_targetILNS1_3genE3ELNS1_11target_archE908ELNS1_3gpuE7ELNS1_3repE0EEENS1_30default_config_static_selectorELNS0_4arch9wavefront6targetE1EEEvT1_,comdat
.Lfunc_end67:
	.size	_ZN7rocprim17ROCPRIM_400000_NS6detail17trampoline_kernelINS0_14default_configENS1_27scan_by_key_config_selectorIiiEEZZNS1_16scan_by_key_implILNS1_25lookback_scan_determinismE0ELb0ES3_N6thrust23THRUST_200600_302600_NS6detail15normal_iteratorINS9_10device_ptrIiEEEESE_SE_iNS9_4plusIvEE19head_flag_predicateIiEiEE10hipError_tPvRmT2_T3_T4_T5_mT6_T7_P12ihipStream_tbENKUlT_T0_E_clISt17integral_constantIbLb1EESY_IbLb0EEEEDaSU_SV_EUlSU_E_NS1_11comp_targetILNS1_3genE3ELNS1_11target_archE908ELNS1_3gpuE7ELNS1_3repE0EEENS1_30default_config_static_selectorELNS0_4arch9wavefront6targetE1EEEvT1_, .Lfunc_end67-_ZN7rocprim17ROCPRIM_400000_NS6detail17trampoline_kernelINS0_14default_configENS1_27scan_by_key_config_selectorIiiEEZZNS1_16scan_by_key_implILNS1_25lookback_scan_determinismE0ELb0ES3_N6thrust23THRUST_200600_302600_NS6detail15normal_iteratorINS9_10device_ptrIiEEEESE_SE_iNS9_4plusIvEE19head_flag_predicateIiEiEE10hipError_tPvRmT2_T3_T4_T5_mT6_T7_P12ihipStream_tbENKUlT_T0_E_clISt17integral_constantIbLb1EESY_IbLb0EEEEDaSU_SV_EUlSU_E_NS1_11comp_targetILNS1_3genE3ELNS1_11target_archE908ELNS1_3gpuE7ELNS1_3repE0EEENS1_30default_config_static_selectorELNS0_4arch9wavefront6targetE1EEEvT1_
                                        ; -- End function
	.section	.AMDGPU.csdata,"",@progbits
; Kernel info:
; codeLenInByte = 0
; NumSgprs: 4
; NumVgprs: 0
; NumAgprs: 0
; TotalNumVgprs: 0
; ScratchSize: 0
; MemoryBound: 0
; FloatMode: 240
; IeeeMode: 1
; LDSByteSize: 0 bytes/workgroup (compile time only)
; SGPRBlocks: 0
; VGPRBlocks: 0
; NumSGPRsForWavesPerEU: 4
; NumVGPRsForWavesPerEU: 1
; AccumOffset: 4
; Occupancy: 8
; WaveLimiterHint : 0
; COMPUTE_PGM_RSRC2:SCRATCH_EN: 0
; COMPUTE_PGM_RSRC2:USER_SGPR: 6
; COMPUTE_PGM_RSRC2:TRAP_HANDLER: 0
; COMPUTE_PGM_RSRC2:TGID_X_EN: 1
; COMPUTE_PGM_RSRC2:TGID_Y_EN: 0
; COMPUTE_PGM_RSRC2:TGID_Z_EN: 0
; COMPUTE_PGM_RSRC2:TIDIG_COMP_CNT: 0
; COMPUTE_PGM_RSRC3_GFX90A:ACCUM_OFFSET: 0
; COMPUTE_PGM_RSRC3_GFX90A:TG_SPLIT: 0
	.section	.text._ZN7rocprim17ROCPRIM_400000_NS6detail17trampoline_kernelINS0_14default_configENS1_27scan_by_key_config_selectorIiiEEZZNS1_16scan_by_key_implILNS1_25lookback_scan_determinismE0ELb0ES3_N6thrust23THRUST_200600_302600_NS6detail15normal_iteratorINS9_10device_ptrIiEEEESE_SE_iNS9_4plusIvEE19head_flag_predicateIiEiEE10hipError_tPvRmT2_T3_T4_T5_mT6_T7_P12ihipStream_tbENKUlT_T0_E_clISt17integral_constantIbLb1EESY_IbLb0EEEEDaSU_SV_EUlSU_E_NS1_11comp_targetILNS1_3genE2ELNS1_11target_archE906ELNS1_3gpuE6ELNS1_3repE0EEENS1_30default_config_static_selectorELNS0_4arch9wavefront6targetE1EEEvT1_,"axG",@progbits,_ZN7rocprim17ROCPRIM_400000_NS6detail17trampoline_kernelINS0_14default_configENS1_27scan_by_key_config_selectorIiiEEZZNS1_16scan_by_key_implILNS1_25lookback_scan_determinismE0ELb0ES3_N6thrust23THRUST_200600_302600_NS6detail15normal_iteratorINS9_10device_ptrIiEEEESE_SE_iNS9_4plusIvEE19head_flag_predicateIiEiEE10hipError_tPvRmT2_T3_T4_T5_mT6_T7_P12ihipStream_tbENKUlT_T0_E_clISt17integral_constantIbLb1EESY_IbLb0EEEEDaSU_SV_EUlSU_E_NS1_11comp_targetILNS1_3genE2ELNS1_11target_archE906ELNS1_3gpuE6ELNS1_3repE0EEENS1_30default_config_static_selectorELNS0_4arch9wavefront6targetE1EEEvT1_,comdat
	.protected	_ZN7rocprim17ROCPRIM_400000_NS6detail17trampoline_kernelINS0_14default_configENS1_27scan_by_key_config_selectorIiiEEZZNS1_16scan_by_key_implILNS1_25lookback_scan_determinismE0ELb0ES3_N6thrust23THRUST_200600_302600_NS6detail15normal_iteratorINS9_10device_ptrIiEEEESE_SE_iNS9_4plusIvEE19head_flag_predicateIiEiEE10hipError_tPvRmT2_T3_T4_T5_mT6_T7_P12ihipStream_tbENKUlT_T0_E_clISt17integral_constantIbLb1EESY_IbLb0EEEEDaSU_SV_EUlSU_E_NS1_11comp_targetILNS1_3genE2ELNS1_11target_archE906ELNS1_3gpuE6ELNS1_3repE0EEENS1_30default_config_static_selectorELNS0_4arch9wavefront6targetE1EEEvT1_ ; -- Begin function _ZN7rocprim17ROCPRIM_400000_NS6detail17trampoline_kernelINS0_14default_configENS1_27scan_by_key_config_selectorIiiEEZZNS1_16scan_by_key_implILNS1_25lookback_scan_determinismE0ELb0ES3_N6thrust23THRUST_200600_302600_NS6detail15normal_iteratorINS9_10device_ptrIiEEEESE_SE_iNS9_4plusIvEE19head_flag_predicateIiEiEE10hipError_tPvRmT2_T3_T4_T5_mT6_T7_P12ihipStream_tbENKUlT_T0_E_clISt17integral_constantIbLb1EESY_IbLb0EEEEDaSU_SV_EUlSU_E_NS1_11comp_targetILNS1_3genE2ELNS1_11target_archE906ELNS1_3gpuE6ELNS1_3repE0EEENS1_30default_config_static_selectorELNS0_4arch9wavefront6targetE1EEEvT1_
	.globl	_ZN7rocprim17ROCPRIM_400000_NS6detail17trampoline_kernelINS0_14default_configENS1_27scan_by_key_config_selectorIiiEEZZNS1_16scan_by_key_implILNS1_25lookback_scan_determinismE0ELb0ES3_N6thrust23THRUST_200600_302600_NS6detail15normal_iteratorINS9_10device_ptrIiEEEESE_SE_iNS9_4plusIvEE19head_flag_predicateIiEiEE10hipError_tPvRmT2_T3_T4_T5_mT6_T7_P12ihipStream_tbENKUlT_T0_E_clISt17integral_constantIbLb1EESY_IbLb0EEEEDaSU_SV_EUlSU_E_NS1_11comp_targetILNS1_3genE2ELNS1_11target_archE906ELNS1_3gpuE6ELNS1_3repE0EEENS1_30default_config_static_selectorELNS0_4arch9wavefront6targetE1EEEvT1_
	.p2align	8
	.type	_ZN7rocprim17ROCPRIM_400000_NS6detail17trampoline_kernelINS0_14default_configENS1_27scan_by_key_config_selectorIiiEEZZNS1_16scan_by_key_implILNS1_25lookback_scan_determinismE0ELb0ES3_N6thrust23THRUST_200600_302600_NS6detail15normal_iteratorINS9_10device_ptrIiEEEESE_SE_iNS9_4plusIvEE19head_flag_predicateIiEiEE10hipError_tPvRmT2_T3_T4_T5_mT6_T7_P12ihipStream_tbENKUlT_T0_E_clISt17integral_constantIbLb1EESY_IbLb0EEEEDaSU_SV_EUlSU_E_NS1_11comp_targetILNS1_3genE2ELNS1_11target_archE906ELNS1_3gpuE6ELNS1_3repE0EEENS1_30default_config_static_selectorELNS0_4arch9wavefront6targetE1EEEvT1_,@function
_ZN7rocprim17ROCPRIM_400000_NS6detail17trampoline_kernelINS0_14default_configENS1_27scan_by_key_config_selectorIiiEEZZNS1_16scan_by_key_implILNS1_25lookback_scan_determinismE0ELb0ES3_N6thrust23THRUST_200600_302600_NS6detail15normal_iteratorINS9_10device_ptrIiEEEESE_SE_iNS9_4plusIvEE19head_flag_predicateIiEiEE10hipError_tPvRmT2_T3_T4_T5_mT6_T7_P12ihipStream_tbENKUlT_T0_E_clISt17integral_constantIbLb1EESY_IbLb0EEEEDaSU_SV_EUlSU_E_NS1_11comp_targetILNS1_3genE2ELNS1_11target_archE906ELNS1_3gpuE6ELNS1_3repE0EEENS1_30default_config_static_selectorELNS0_4arch9wavefront6targetE1EEEvT1_: ; @_ZN7rocprim17ROCPRIM_400000_NS6detail17trampoline_kernelINS0_14default_configENS1_27scan_by_key_config_selectorIiiEEZZNS1_16scan_by_key_implILNS1_25lookback_scan_determinismE0ELb0ES3_N6thrust23THRUST_200600_302600_NS6detail15normal_iteratorINS9_10device_ptrIiEEEESE_SE_iNS9_4plusIvEE19head_flag_predicateIiEiEE10hipError_tPvRmT2_T3_T4_T5_mT6_T7_P12ihipStream_tbENKUlT_T0_E_clISt17integral_constantIbLb1EESY_IbLb0EEEEDaSU_SV_EUlSU_E_NS1_11comp_targetILNS1_3genE2ELNS1_11target_archE906ELNS1_3gpuE6ELNS1_3repE0EEENS1_30default_config_static_selectorELNS0_4arch9wavefront6targetE1EEEvT1_
; %bb.0:
	.section	.rodata,"a",@progbits
	.p2align	6, 0x0
	.amdhsa_kernel _ZN7rocprim17ROCPRIM_400000_NS6detail17trampoline_kernelINS0_14default_configENS1_27scan_by_key_config_selectorIiiEEZZNS1_16scan_by_key_implILNS1_25lookback_scan_determinismE0ELb0ES3_N6thrust23THRUST_200600_302600_NS6detail15normal_iteratorINS9_10device_ptrIiEEEESE_SE_iNS9_4plusIvEE19head_flag_predicateIiEiEE10hipError_tPvRmT2_T3_T4_T5_mT6_T7_P12ihipStream_tbENKUlT_T0_E_clISt17integral_constantIbLb1EESY_IbLb0EEEEDaSU_SV_EUlSU_E_NS1_11comp_targetILNS1_3genE2ELNS1_11target_archE906ELNS1_3gpuE6ELNS1_3repE0EEENS1_30default_config_static_selectorELNS0_4arch9wavefront6targetE1EEEvT1_
		.amdhsa_group_segment_fixed_size 0
		.amdhsa_private_segment_fixed_size 0
		.amdhsa_kernarg_size 112
		.amdhsa_user_sgpr_count 6
		.amdhsa_user_sgpr_private_segment_buffer 1
		.amdhsa_user_sgpr_dispatch_ptr 0
		.amdhsa_user_sgpr_queue_ptr 0
		.amdhsa_user_sgpr_kernarg_segment_ptr 1
		.amdhsa_user_sgpr_dispatch_id 0
		.amdhsa_user_sgpr_flat_scratch_init 0
		.amdhsa_user_sgpr_kernarg_preload_length 0
		.amdhsa_user_sgpr_kernarg_preload_offset 0
		.amdhsa_user_sgpr_private_segment_size 0
		.amdhsa_uses_dynamic_stack 0
		.amdhsa_system_sgpr_private_segment_wavefront_offset 0
		.amdhsa_system_sgpr_workgroup_id_x 1
		.amdhsa_system_sgpr_workgroup_id_y 0
		.amdhsa_system_sgpr_workgroup_id_z 0
		.amdhsa_system_sgpr_workgroup_info 0
		.amdhsa_system_vgpr_workitem_id 0
		.amdhsa_next_free_vgpr 1
		.amdhsa_next_free_sgpr 0
		.amdhsa_accum_offset 4
		.amdhsa_reserve_vcc 0
		.amdhsa_reserve_flat_scratch 0
		.amdhsa_float_round_mode_32 0
		.amdhsa_float_round_mode_16_64 0
		.amdhsa_float_denorm_mode_32 3
		.amdhsa_float_denorm_mode_16_64 3
		.amdhsa_dx10_clamp 1
		.amdhsa_ieee_mode 1
		.amdhsa_fp16_overflow 0
		.amdhsa_tg_split 0
		.amdhsa_exception_fp_ieee_invalid_op 0
		.amdhsa_exception_fp_denorm_src 0
		.amdhsa_exception_fp_ieee_div_zero 0
		.amdhsa_exception_fp_ieee_overflow 0
		.amdhsa_exception_fp_ieee_underflow 0
		.amdhsa_exception_fp_ieee_inexact 0
		.amdhsa_exception_int_div_zero 0
	.end_amdhsa_kernel
	.section	.text._ZN7rocprim17ROCPRIM_400000_NS6detail17trampoline_kernelINS0_14default_configENS1_27scan_by_key_config_selectorIiiEEZZNS1_16scan_by_key_implILNS1_25lookback_scan_determinismE0ELb0ES3_N6thrust23THRUST_200600_302600_NS6detail15normal_iteratorINS9_10device_ptrIiEEEESE_SE_iNS9_4plusIvEE19head_flag_predicateIiEiEE10hipError_tPvRmT2_T3_T4_T5_mT6_T7_P12ihipStream_tbENKUlT_T0_E_clISt17integral_constantIbLb1EESY_IbLb0EEEEDaSU_SV_EUlSU_E_NS1_11comp_targetILNS1_3genE2ELNS1_11target_archE906ELNS1_3gpuE6ELNS1_3repE0EEENS1_30default_config_static_selectorELNS0_4arch9wavefront6targetE1EEEvT1_,"axG",@progbits,_ZN7rocprim17ROCPRIM_400000_NS6detail17trampoline_kernelINS0_14default_configENS1_27scan_by_key_config_selectorIiiEEZZNS1_16scan_by_key_implILNS1_25lookback_scan_determinismE0ELb0ES3_N6thrust23THRUST_200600_302600_NS6detail15normal_iteratorINS9_10device_ptrIiEEEESE_SE_iNS9_4plusIvEE19head_flag_predicateIiEiEE10hipError_tPvRmT2_T3_T4_T5_mT6_T7_P12ihipStream_tbENKUlT_T0_E_clISt17integral_constantIbLb1EESY_IbLb0EEEEDaSU_SV_EUlSU_E_NS1_11comp_targetILNS1_3genE2ELNS1_11target_archE906ELNS1_3gpuE6ELNS1_3repE0EEENS1_30default_config_static_selectorELNS0_4arch9wavefront6targetE1EEEvT1_,comdat
.Lfunc_end68:
	.size	_ZN7rocprim17ROCPRIM_400000_NS6detail17trampoline_kernelINS0_14default_configENS1_27scan_by_key_config_selectorIiiEEZZNS1_16scan_by_key_implILNS1_25lookback_scan_determinismE0ELb0ES3_N6thrust23THRUST_200600_302600_NS6detail15normal_iteratorINS9_10device_ptrIiEEEESE_SE_iNS9_4plusIvEE19head_flag_predicateIiEiEE10hipError_tPvRmT2_T3_T4_T5_mT6_T7_P12ihipStream_tbENKUlT_T0_E_clISt17integral_constantIbLb1EESY_IbLb0EEEEDaSU_SV_EUlSU_E_NS1_11comp_targetILNS1_3genE2ELNS1_11target_archE906ELNS1_3gpuE6ELNS1_3repE0EEENS1_30default_config_static_selectorELNS0_4arch9wavefront6targetE1EEEvT1_, .Lfunc_end68-_ZN7rocprim17ROCPRIM_400000_NS6detail17trampoline_kernelINS0_14default_configENS1_27scan_by_key_config_selectorIiiEEZZNS1_16scan_by_key_implILNS1_25lookback_scan_determinismE0ELb0ES3_N6thrust23THRUST_200600_302600_NS6detail15normal_iteratorINS9_10device_ptrIiEEEESE_SE_iNS9_4plusIvEE19head_flag_predicateIiEiEE10hipError_tPvRmT2_T3_T4_T5_mT6_T7_P12ihipStream_tbENKUlT_T0_E_clISt17integral_constantIbLb1EESY_IbLb0EEEEDaSU_SV_EUlSU_E_NS1_11comp_targetILNS1_3genE2ELNS1_11target_archE906ELNS1_3gpuE6ELNS1_3repE0EEENS1_30default_config_static_selectorELNS0_4arch9wavefront6targetE1EEEvT1_
                                        ; -- End function
	.section	.AMDGPU.csdata,"",@progbits
; Kernel info:
; codeLenInByte = 0
; NumSgprs: 4
; NumVgprs: 0
; NumAgprs: 0
; TotalNumVgprs: 0
; ScratchSize: 0
; MemoryBound: 0
; FloatMode: 240
; IeeeMode: 1
; LDSByteSize: 0 bytes/workgroup (compile time only)
; SGPRBlocks: 0
; VGPRBlocks: 0
; NumSGPRsForWavesPerEU: 4
; NumVGPRsForWavesPerEU: 1
; AccumOffset: 4
; Occupancy: 8
; WaveLimiterHint : 0
; COMPUTE_PGM_RSRC2:SCRATCH_EN: 0
; COMPUTE_PGM_RSRC2:USER_SGPR: 6
; COMPUTE_PGM_RSRC2:TRAP_HANDLER: 0
; COMPUTE_PGM_RSRC2:TGID_X_EN: 1
; COMPUTE_PGM_RSRC2:TGID_Y_EN: 0
; COMPUTE_PGM_RSRC2:TGID_Z_EN: 0
; COMPUTE_PGM_RSRC2:TIDIG_COMP_CNT: 0
; COMPUTE_PGM_RSRC3_GFX90A:ACCUM_OFFSET: 0
; COMPUTE_PGM_RSRC3_GFX90A:TG_SPLIT: 0
	.section	.text._ZN7rocprim17ROCPRIM_400000_NS6detail17trampoline_kernelINS0_14default_configENS1_27scan_by_key_config_selectorIiiEEZZNS1_16scan_by_key_implILNS1_25lookback_scan_determinismE0ELb0ES3_N6thrust23THRUST_200600_302600_NS6detail15normal_iteratorINS9_10device_ptrIiEEEESE_SE_iNS9_4plusIvEE19head_flag_predicateIiEiEE10hipError_tPvRmT2_T3_T4_T5_mT6_T7_P12ihipStream_tbENKUlT_T0_E_clISt17integral_constantIbLb1EESY_IbLb0EEEEDaSU_SV_EUlSU_E_NS1_11comp_targetILNS1_3genE10ELNS1_11target_archE1200ELNS1_3gpuE4ELNS1_3repE0EEENS1_30default_config_static_selectorELNS0_4arch9wavefront6targetE1EEEvT1_,"axG",@progbits,_ZN7rocprim17ROCPRIM_400000_NS6detail17trampoline_kernelINS0_14default_configENS1_27scan_by_key_config_selectorIiiEEZZNS1_16scan_by_key_implILNS1_25lookback_scan_determinismE0ELb0ES3_N6thrust23THRUST_200600_302600_NS6detail15normal_iteratorINS9_10device_ptrIiEEEESE_SE_iNS9_4plusIvEE19head_flag_predicateIiEiEE10hipError_tPvRmT2_T3_T4_T5_mT6_T7_P12ihipStream_tbENKUlT_T0_E_clISt17integral_constantIbLb1EESY_IbLb0EEEEDaSU_SV_EUlSU_E_NS1_11comp_targetILNS1_3genE10ELNS1_11target_archE1200ELNS1_3gpuE4ELNS1_3repE0EEENS1_30default_config_static_selectorELNS0_4arch9wavefront6targetE1EEEvT1_,comdat
	.protected	_ZN7rocprim17ROCPRIM_400000_NS6detail17trampoline_kernelINS0_14default_configENS1_27scan_by_key_config_selectorIiiEEZZNS1_16scan_by_key_implILNS1_25lookback_scan_determinismE0ELb0ES3_N6thrust23THRUST_200600_302600_NS6detail15normal_iteratorINS9_10device_ptrIiEEEESE_SE_iNS9_4plusIvEE19head_flag_predicateIiEiEE10hipError_tPvRmT2_T3_T4_T5_mT6_T7_P12ihipStream_tbENKUlT_T0_E_clISt17integral_constantIbLb1EESY_IbLb0EEEEDaSU_SV_EUlSU_E_NS1_11comp_targetILNS1_3genE10ELNS1_11target_archE1200ELNS1_3gpuE4ELNS1_3repE0EEENS1_30default_config_static_selectorELNS0_4arch9wavefront6targetE1EEEvT1_ ; -- Begin function _ZN7rocprim17ROCPRIM_400000_NS6detail17trampoline_kernelINS0_14default_configENS1_27scan_by_key_config_selectorIiiEEZZNS1_16scan_by_key_implILNS1_25lookback_scan_determinismE0ELb0ES3_N6thrust23THRUST_200600_302600_NS6detail15normal_iteratorINS9_10device_ptrIiEEEESE_SE_iNS9_4plusIvEE19head_flag_predicateIiEiEE10hipError_tPvRmT2_T3_T4_T5_mT6_T7_P12ihipStream_tbENKUlT_T0_E_clISt17integral_constantIbLb1EESY_IbLb0EEEEDaSU_SV_EUlSU_E_NS1_11comp_targetILNS1_3genE10ELNS1_11target_archE1200ELNS1_3gpuE4ELNS1_3repE0EEENS1_30default_config_static_selectorELNS0_4arch9wavefront6targetE1EEEvT1_
	.globl	_ZN7rocprim17ROCPRIM_400000_NS6detail17trampoline_kernelINS0_14default_configENS1_27scan_by_key_config_selectorIiiEEZZNS1_16scan_by_key_implILNS1_25lookback_scan_determinismE0ELb0ES3_N6thrust23THRUST_200600_302600_NS6detail15normal_iteratorINS9_10device_ptrIiEEEESE_SE_iNS9_4plusIvEE19head_flag_predicateIiEiEE10hipError_tPvRmT2_T3_T4_T5_mT6_T7_P12ihipStream_tbENKUlT_T0_E_clISt17integral_constantIbLb1EESY_IbLb0EEEEDaSU_SV_EUlSU_E_NS1_11comp_targetILNS1_3genE10ELNS1_11target_archE1200ELNS1_3gpuE4ELNS1_3repE0EEENS1_30default_config_static_selectorELNS0_4arch9wavefront6targetE1EEEvT1_
	.p2align	8
	.type	_ZN7rocprim17ROCPRIM_400000_NS6detail17trampoline_kernelINS0_14default_configENS1_27scan_by_key_config_selectorIiiEEZZNS1_16scan_by_key_implILNS1_25lookback_scan_determinismE0ELb0ES3_N6thrust23THRUST_200600_302600_NS6detail15normal_iteratorINS9_10device_ptrIiEEEESE_SE_iNS9_4plusIvEE19head_flag_predicateIiEiEE10hipError_tPvRmT2_T3_T4_T5_mT6_T7_P12ihipStream_tbENKUlT_T0_E_clISt17integral_constantIbLb1EESY_IbLb0EEEEDaSU_SV_EUlSU_E_NS1_11comp_targetILNS1_3genE10ELNS1_11target_archE1200ELNS1_3gpuE4ELNS1_3repE0EEENS1_30default_config_static_selectorELNS0_4arch9wavefront6targetE1EEEvT1_,@function
_ZN7rocprim17ROCPRIM_400000_NS6detail17trampoline_kernelINS0_14default_configENS1_27scan_by_key_config_selectorIiiEEZZNS1_16scan_by_key_implILNS1_25lookback_scan_determinismE0ELb0ES3_N6thrust23THRUST_200600_302600_NS6detail15normal_iteratorINS9_10device_ptrIiEEEESE_SE_iNS9_4plusIvEE19head_flag_predicateIiEiEE10hipError_tPvRmT2_T3_T4_T5_mT6_T7_P12ihipStream_tbENKUlT_T0_E_clISt17integral_constantIbLb1EESY_IbLb0EEEEDaSU_SV_EUlSU_E_NS1_11comp_targetILNS1_3genE10ELNS1_11target_archE1200ELNS1_3gpuE4ELNS1_3repE0EEENS1_30default_config_static_selectorELNS0_4arch9wavefront6targetE1EEEvT1_: ; @_ZN7rocprim17ROCPRIM_400000_NS6detail17trampoline_kernelINS0_14default_configENS1_27scan_by_key_config_selectorIiiEEZZNS1_16scan_by_key_implILNS1_25lookback_scan_determinismE0ELb0ES3_N6thrust23THRUST_200600_302600_NS6detail15normal_iteratorINS9_10device_ptrIiEEEESE_SE_iNS9_4plusIvEE19head_flag_predicateIiEiEE10hipError_tPvRmT2_T3_T4_T5_mT6_T7_P12ihipStream_tbENKUlT_T0_E_clISt17integral_constantIbLb1EESY_IbLb0EEEEDaSU_SV_EUlSU_E_NS1_11comp_targetILNS1_3genE10ELNS1_11target_archE1200ELNS1_3gpuE4ELNS1_3repE0EEENS1_30default_config_static_selectorELNS0_4arch9wavefront6targetE1EEEvT1_
; %bb.0:
	.section	.rodata,"a",@progbits
	.p2align	6, 0x0
	.amdhsa_kernel _ZN7rocprim17ROCPRIM_400000_NS6detail17trampoline_kernelINS0_14default_configENS1_27scan_by_key_config_selectorIiiEEZZNS1_16scan_by_key_implILNS1_25lookback_scan_determinismE0ELb0ES3_N6thrust23THRUST_200600_302600_NS6detail15normal_iteratorINS9_10device_ptrIiEEEESE_SE_iNS9_4plusIvEE19head_flag_predicateIiEiEE10hipError_tPvRmT2_T3_T4_T5_mT6_T7_P12ihipStream_tbENKUlT_T0_E_clISt17integral_constantIbLb1EESY_IbLb0EEEEDaSU_SV_EUlSU_E_NS1_11comp_targetILNS1_3genE10ELNS1_11target_archE1200ELNS1_3gpuE4ELNS1_3repE0EEENS1_30default_config_static_selectorELNS0_4arch9wavefront6targetE1EEEvT1_
		.amdhsa_group_segment_fixed_size 0
		.amdhsa_private_segment_fixed_size 0
		.amdhsa_kernarg_size 112
		.amdhsa_user_sgpr_count 6
		.amdhsa_user_sgpr_private_segment_buffer 1
		.amdhsa_user_sgpr_dispatch_ptr 0
		.amdhsa_user_sgpr_queue_ptr 0
		.amdhsa_user_sgpr_kernarg_segment_ptr 1
		.amdhsa_user_sgpr_dispatch_id 0
		.amdhsa_user_sgpr_flat_scratch_init 0
		.amdhsa_user_sgpr_kernarg_preload_length 0
		.amdhsa_user_sgpr_kernarg_preload_offset 0
		.amdhsa_user_sgpr_private_segment_size 0
		.amdhsa_uses_dynamic_stack 0
		.amdhsa_system_sgpr_private_segment_wavefront_offset 0
		.amdhsa_system_sgpr_workgroup_id_x 1
		.amdhsa_system_sgpr_workgroup_id_y 0
		.amdhsa_system_sgpr_workgroup_id_z 0
		.amdhsa_system_sgpr_workgroup_info 0
		.amdhsa_system_vgpr_workitem_id 0
		.amdhsa_next_free_vgpr 1
		.amdhsa_next_free_sgpr 0
		.amdhsa_accum_offset 4
		.amdhsa_reserve_vcc 0
		.amdhsa_reserve_flat_scratch 0
		.amdhsa_float_round_mode_32 0
		.amdhsa_float_round_mode_16_64 0
		.amdhsa_float_denorm_mode_32 3
		.amdhsa_float_denorm_mode_16_64 3
		.amdhsa_dx10_clamp 1
		.amdhsa_ieee_mode 1
		.amdhsa_fp16_overflow 0
		.amdhsa_tg_split 0
		.amdhsa_exception_fp_ieee_invalid_op 0
		.amdhsa_exception_fp_denorm_src 0
		.amdhsa_exception_fp_ieee_div_zero 0
		.amdhsa_exception_fp_ieee_overflow 0
		.amdhsa_exception_fp_ieee_underflow 0
		.amdhsa_exception_fp_ieee_inexact 0
		.amdhsa_exception_int_div_zero 0
	.end_amdhsa_kernel
	.section	.text._ZN7rocprim17ROCPRIM_400000_NS6detail17trampoline_kernelINS0_14default_configENS1_27scan_by_key_config_selectorIiiEEZZNS1_16scan_by_key_implILNS1_25lookback_scan_determinismE0ELb0ES3_N6thrust23THRUST_200600_302600_NS6detail15normal_iteratorINS9_10device_ptrIiEEEESE_SE_iNS9_4plusIvEE19head_flag_predicateIiEiEE10hipError_tPvRmT2_T3_T4_T5_mT6_T7_P12ihipStream_tbENKUlT_T0_E_clISt17integral_constantIbLb1EESY_IbLb0EEEEDaSU_SV_EUlSU_E_NS1_11comp_targetILNS1_3genE10ELNS1_11target_archE1200ELNS1_3gpuE4ELNS1_3repE0EEENS1_30default_config_static_selectorELNS0_4arch9wavefront6targetE1EEEvT1_,"axG",@progbits,_ZN7rocprim17ROCPRIM_400000_NS6detail17trampoline_kernelINS0_14default_configENS1_27scan_by_key_config_selectorIiiEEZZNS1_16scan_by_key_implILNS1_25lookback_scan_determinismE0ELb0ES3_N6thrust23THRUST_200600_302600_NS6detail15normal_iteratorINS9_10device_ptrIiEEEESE_SE_iNS9_4plusIvEE19head_flag_predicateIiEiEE10hipError_tPvRmT2_T3_T4_T5_mT6_T7_P12ihipStream_tbENKUlT_T0_E_clISt17integral_constantIbLb1EESY_IbLb0EEEEDaSU_SV_EUlSU_E_NS1_11comp_targetILNS1_3genE10ELNS1_11target_archE1200ELNS1_3gpuE4ELNS1_3repE0EEENS1_30default_config_static_selectorELNS0_4arch9wavefront6targetE1EEEvT1_,comdat
.Lfunc_end69:
	.size	_ZN7rocprim17ROCPRIM_400000_NS6detail17trampoline_kernelINS0_14default_configENS1_27scan_by_key_config_selectorIiiEEZZNS1_16scan_by_key_implILNS1_25lookback_scan_determinismE0ELb0ES3_N6thrust23THRUST_200600_302600_NS6detail15normal_iteratorINS9_10device_ptrIiEEEESE_SE_iNS9_4plusIvEE19head_flag_predicateIiEiEE10hipError_tPvRmT2_T3_T4_T5_mT6_T7_P12ihipStream_tbENKUlT_T0_E_clISt17integral_constantIbLb1EESY_IbLb0EEEEDaSU_SV_EUlSU_E_NS1_11comp_targetILNS1_3genE10ELNS1_11target_archE1200ELNS1_3gpuE4ELNS1_3repE0EEENS1_30default_config_static_selectorELNS0_4arch9wavefront6targetE1EEEvT1_, .Lfunc_end69-_ZN7rocprim17ROCPRIM_400000_NS6detail17trampoline_kernelINS0_14default_configENS1_27scan_by_key_config_selectorIiiEEZZNS1_16scan_by_key_implILNS1_25lookback_scan_determinismE0ELb0ES3_N6thrust23THRUST_200600_302600_NS6detail15normal_iteratorINS9_10device_ptrIiEEEESE_SE_iNS9_4plusIvEE19head_flag_predicateIiEiEE10hipError_tPvRmT2_T3_T4_T5_mT6_T7_P12ihipStream_tbENKUlT_T0_E_clISt17integral_constantIbLb1EESY_IbLb0EEEEDaSU_SV_EUlSU_E_NS1_11comp_targetILNS1_3genE10ELNS1_11target_archE1200ELNS1_3gpuE4ELNS1_3repE0EEENS1_30default_config_static_selectorELNS0_4arch9wavefront6targetE1EEEvT1_
                                        ; -- End function
	.section	.AMDGPU.csdata,"",@progbits
; Kernel info:
; codeLenInByte = 0
; NumSgprs: 4
; NumVgprs: 0
; NumAgprs: 0
; TotalNumVgprs: 0
; ScratchSize: 0
; MemoryBound: 0
; FloatMode: 240
; IeeeMode: 1
; LDSByteSize: 0 bytes/workgroup (compile time only)
; SGPRBlocks: 0
; VGPRBlocks: 0
; NumSGPRsForWavesPerEU: 4
; NumVGPRsForWavesPerEU: 1
; AccumOffset: 4
; Occupancy: 8
; WaveLimiterHint : 0
; COMPUTE_PGM_RSRC2:SCRATCH_EN: 0
; COMPUTE_PGM_RSRC2:USER_SGPR: 6
; COMPUTE_PGM_RSRC2:TRAP_HANDLER: 0
; COMPUTE_PGM_RSRC2:TGID_X_EN: 1
; COMPUTE_PGM_RSRC2:TGID_Y_EN: 0
; COMPUTE_PGM_RSRC2:TGID_Z_EN: 0
; COMPUTE_PGM_RSRC2:TIDIG_COMP_CNT: 0
; COMPUTE_PGM_RSRC3_GFX90A:ACCUM_OFFSET: 0
; COMPUTE_PGM_RSRC3_GFX90A:TG_SPLIT: 0
	.section	.text._ZN7rocprim17ROCPRIM_400000_NS6detail17trampoline_kernelINS0_14default_configENS1_27scan_by_key_config_selectorIiiEEZZNS1_16scan_by_key_implILNS1_25lookback_scan_determinismE0ELb0ES3_N6thrust23THRUST_200600_302600_NS6detail15normal_iteratorINS9_10device_ptrIiEEEESE_SE_iNS9_4plusIvEE19head_flag_predicateIiEiEE10hipError_tPvRmT2_T3_T4_T5_mT6_T7_P12ihipStream_tbENKUlT_T0_E_clISt17integral_constantIbLb1EESY_IbLb0EEEEDaSU_SV_EUlSU_E_NS1_11comp_targetILNS1_3genE9ELNS1_11target_archE1100ELNS1_3gpuE3ELNS1_3repE0EEENS1_30default_config_static_selectorELNS0_4arch9wavefront6targetE1EEEvT1_,"axG",@progbits,_ZN7rocprim17ROCPRIM_400000_NS6detail17trampoline_kernelINS0_14default_configENS1_27scan_by_key_config_selectorIiiEEZZNS1_16scan_by_key_implILNS1_25lookback_scan_determinismE0ELb0ES3_N6thrust23THRUST_200600_302600_NS6detail15normal_iteratorINS9_10device_ptrIiEEEESE_SE_iNS9_4plusIvEE19head_flag_predicateIiEiEE10hipError_tPvRmT2_T3_T4_T5_mT6_T7_P12ihipStream_tbENKUlT_T0_E_clISt17integral_constantIbLb1EESY_IbLb0EEEEDaSU_SV_EUlSU_E_NS1_11comp_targetILNS1_3genE9ELNS1_11target_archE1100ELNS1_3gpuE3ELNS1_3repE0EEENS1_30default_config_static_selectorELNS0_4arch9wavefront6targetE1EEEvT1_,comdat
	.protected	_ZN7rocprim17ROCPRIM_400000_NS6detail17trampoline_kernelINS0_14default_configENS1_27scan_by_key_config_selectorIiiEEZZNS1_16scan_by_key_implILNS1_25lookback_scan_determinismE0ELb0ES3_N6thrust23THRUST_200600_302600_NS6detail15normal_iteratorINS9_10device_ptrIiEEEESE_SE_iNS9_4plusIvEE19head_flag_predicateIiEiEE10hipError_tPvRmT2_T3_T4_T5_mT6_T7_P12ihipStream_tbENKUlT_T0_E_clISt17integral_constantIbLb1EESY_IbLb0EEEEDaSU_SV_EUlSU_E_NS1_11comp_targetILNS1_3genE9ELNS1_11target_archE1100ELNS1_3gpuE3ELNS1_3repE0EEENS1_30default_config_static_selectorELNS0_4arch9wavefront6targetE1EEEvT1_ ; -- Begin function _ZN7rocprim17ROCPRIM_400000_NS6detail17trampoline_kernelINS0_14default_configENS1_27scan_by_key_config_selectorIiiEEZZNS1_16scan_by_key_implILNS1_25lookback_scan_determinismE0ELb0ES3_N6thrust23THRUST_200600_302600_NS6detail15normal_iteratorINS9_10device_ptrIiEEEESE_SE_iNS9_4plusIvEE19head_flag_predicateIiEiEE10hipError_tPvRmT2_T3_T4_T5_mT6_T7_P12ihipStream_tbENKUlT_T0_E_clISt17integral_constantIbLb1EESY_IbLb0EEEEDaSU_SV_EUlSU_E_NS1_11comp_targetILNS1_3genE9ELNS1_11target_archE1100ELNS1_3gpuE3ELNS1_3repE0EEENS1_30default_config_static_selectorELNS0_4arch9wavefront6targetE1EEEvT1_
	.globl	_ZN7rocprim17ROCPRIM_400000_NS6detail17trampoline_kernelINS0_14default_configENS1_27scan_by_key_config_selectorIiiEEZZNS1_16scan_by_key_implILNS1_25lookback_scan_determinismE0ELb0ES3_N6thrust23THRUST_200600_302600_NS6detail15normal_iteratorINS9_10device_ptrIiEEEESE_SE_iNS9_4plusIvEE19head_flag_predicateIiEiEE10hipError_tPvRmT2_T3_T4_T5_mT6_T7_P12ihipStream_tbENKUlT_T0_E_clISt17integral_constantIbLb1EESY_IbLb0EEEEDaSU_SV_EUlSU_E_NS1_11comp_targetILNS1_3genE9ELNS1_11target_archE1100ELNS1_3gpuE3ELNS1_3repE0EEENS1_30default_config_static_selectorELNS0_4arch9wavefront6targetE1EEEvT1_
	.p2align	8
	.type	_ZN7rocprim17ROCPRIM_400000_NS6detail17trampoline_kernelINS0_14default_configENS1_27scan_by_key_config_selectorIiiEEZZNS1_16scan_by_key_implILNS1_25lookback_scan_determinismE0ELb0ES3_N6thrust23THRUST_200600_302600_NS6detail15normal_iteratorINS9_10device_ptrIiEEEESE_SE_iNS9_4plusIvEE19head_flag_predicateIiEiEE10hipError_tPvRmT2_T3_T4_T5_mT6_T7_P12ihipStream_tbENKUlT_T0_E_clISt17integral_constantIbLb1EESY_IbLb0EEEEDaSU_SV_EUlSU_E_NS1_11comp_targetILNS1_3genE9ELNS1_11target_archE1100ELNS1_3gpuE3ELNS1_3repE0EEENS1_30default_config_static_selectorELNS0_4arch9wavefront6targetE1EEEvT1_,@function
_ZN7rocprim17ROCPRIM_400000_NS6detail17trampoline_kernelINS0_14default_configENS1_27scan_by_key_config_selectorIiiEEZZNS1_16scan_by_key_implILNS1_25lookback_scan_determinismE0ELb0ES3_N6thrust23THRUST_200600_302600_NS6detail15normal_iteratorINS9_10device_ptrIiEEEESE_SE_iNS9_4plusIvEE19head_flag_predicateIiEiEE10hipError_tPvRmT2_T3_T4_T5_mT6_T7_P12ihipStream_tbENKUlT_T0_E_clISt17integral_constantIbLb1EESY_IbLb0EEEEDaSU_SV_EUlSU_E_NS1_11comp_targetILNS1_3genE9ELNS1_11target_archE1100ELNS1_3gpuE3ELNS1_3repE0EEENS1_30default_config_static_selectorELNS0_4arch9wavefront6targetE1EEEvT1_: ; @_ZN7rocprim17ROCPRIM_400000_NS6detail17trampoline_kernelINS0_14default_configENS1_27scan_by_key_config_selectorIiiEEZZNS1_16scan_by_key_implILNS1_25lookback_scan_determinismE0ELb0ES3_N6thrust23THRUST_200600_302600_NS6detail15normal_iteratorINS9_10device_ptrIiEEEESE_SE_iNS9_4plusIvEE19head_flag_predicateIiEiEE10hipError_tPvRmT2_T3_T4_T5_mT6_T7_P12ihipStream_tbENKUlT_T0_E_clISt17integral_constantIbLb1EESY_IbLb0EEEEDaSU_SV_EUlSU_E_NS1_11comp_targetILNS1_3genE9ELNS1_11target_archE1100ELNS1_3gpuE3ELNS1_3repE0EEENS1_30default_config_static_selectorELNS0_4arch9wavefront6targetE1EEEvT1_
; %bb.0:
	.section	.rodata,"a",@progbits
	.p2align	6, 0x0
	.amdhsa_kernel _ZN7rocprim17ROCPRIM_400000_NS6detail17trampoline_kernelINS0_14default_configENS1_27scan_by_key_config_selectorIiiEEZZNS1_16scan_by_key_implILNS1_25lookback_scan_determinismE0ELb0ES3_N6thrust23THRUST_200600_302600_NS6detail15normal_iteratorINS9_10device_ptrIiEEEESE_SE_iNS9_4plusIvEE19head_flag_predicateIiEiEE10hipError_tPvRmT2_T3_T4_T5_mT6_T7_P12ihipStream_tbENKUlT_T0_E_clISt17integral_constantIbLb1EESY_IbLb0EEEEDaSU_SV_EUlSU_E_NS1_11comp_targetILNS1_3genE9ELNS1_11target_archE1100ELNS1_3gpuE3ELNS1_3repE0EEENS1_30default_config_static_selectorELNS0_4arch9wavefront6targetE1EEEvT1_
		.amdhsa_group_segment_fixed_size 0
		.amdhsa_private_segment_fixed_size 0
		.amdhsa_kernarg_size 112
		.amdhsa_user_sgpr_count 6
		.amdhsa_user_sgpr_private_segment_buffer 1
		.amdhsa_user_sgpr_dispatch_ptr 0
		.amdhsa_user_sgpr_queue_ptr 0
		.amdhsa_user_sgpr_kernarg_segment_ptr 1
		.amdhsa_user_sgpr_dispatch_id 0
		.amdhsa_user_sgpr_flat_scratch_init 0
		.amdhsa_user_sgpr_kernarg_preload_length 0
		.amdhsa_user_sgpr_kernarg_preload_offset 0
		.amdhsa_user_sgpr_private_segment_size 0
		.amdhsa_uses_dynamic_stack 0
		.amdhsa_system_sgpr_private_segment_wavefront_offset 0
		.amdhsa_system_sgpr_workgroup_id_x 1
		.amdhsa_system_sgpr_workgroup_id_y 0
		.amdhsa_system_sgpr_workgroup_id_z 0
		.amdhsa_system_sgpr_workgroup_info 0
		.amdhsa_system_vgpr_workitem_id 0
		.amdhsa_next_free_vgpr 1
		.amdhsa_next_free_sgpr 0
		.amdhsa_accum_offset 4
		.amdhsa_reserve_vcc 0
		.amdhsa_reserve_flat_scratch 0
		.amdhsa_float_round_mode_32 0
		.amdhsa_float_round_mode_16_64 0
		.amdhsa_float_denorm_mode_32 3
		.amdhsa_float_denorm_mode_16_64 3
		.amdhsa_dx10_clamp 1
		.amdhsa_ieee_mode 1
		.amdhsa_fp16_overflow 0
		.amdhsa_tg_split 0
		.amdhsa_exception_fp_ieee_invalid_op 0
		.amdhsa_exception_fp_denorm_src 0
		.amdhsa_exception_fp_ieee_div_zero 0
		.amdhsa_exception_fp_ieee_overflow 0
		.amdhsa_exception_fp_ieee_underflow 0
		.amdhsa_exception_fp_ieee_inexact 0
		.amdhsa_exception_int_div_zero 0
	.end_amdhsa_kernel
	.section	.text._ZN7rocprim17ROCPRIM_400000_NS6detail17trampoline_kernelINS0_14default_configENS1_27scan_by_key_config_selectorIiiEEZZNS1_16scan_by_key_implILNS1_25lookback_scan_determinismE0ELb0ES3_N6thrust23THRUST_200600_302600_NS6detail15normal_iteratorINS9_10device_ptrIiEEEESE_SE_iNS9_4plusIvEE19head_flag_predicateIiEiEE10hipError_tPvRmT2_T3_T4_T5_mT6_T7_P12ihipStream_tbENKUlT_T0_E_clISt17integral_constantIbLb1EESY_IbLb0EEEEDaSU_SV_EUlSU_E_NS1_11comp_targetILNS1_3genE9ELNS1_11target_archE1100ELNS1_3gpuE3ELNS1_3repE0EEENS1_30default_config_static_selectorELNS0_4arch9wavefront6targetE1EEEvT1_,"axG",@progbits,_ZN7rocprim17ROCPRIM_400000_NS6detail17trampoline_kernelINS0_14default_configENS1_27scan_by_key_config_selectorIiiEEZZNS1_16scan_by_key_implILNS1_25lookback_scan_determinismE0ELb0ES3_N6thrust23THRUST_200600_302600_NS6detail15normal_iteratorINS9_10device_ptrIiEEEESE_SE_iNS9_4plusIvEE19head_flag_predicateIiEiEE10hipError_tPvRmT2_T3_T4_T5_mT6_T7_P12ihipStream_tbENKUlT_T0_E_clISt17integral_constantIbLb1EESY_IbLb0EEEEDaSU_SV_EUlSU_E_NS1_11comp_targetILNS1_3genE9ELNS1_11target_archE1100ELNS1_3gpuE3ELNS1_3repE0EEENS1_30default_config_static_selectorELNS0_4arch9wavefront6targetE1EEEvT1_,comdat
.Lfunc_end70:
	.size	_ZN7rocprim17ROCPRIM_400000_NS6detail17trampoline_kernelINS0_14default_configENS1_27scan_by_key_config_selectorIiiEEZZNS1_16scan_by_key_implILNS1_25lookback_scan_determinismE0ELb0ES3_N6thrust23THRUST_200600_302600_NS6detail15normal_iteratorINS9_10device_ptrIiEEEESE_SE_iNS9_4plusIvEE19head_flag_predicateIiEiEE10hipError_tPvRmT2_T3_T4_T5_mT6_T7_P12ihipStream_tbENKUlT_T0_E_clISt17integral_constantIbLb1EESY_IbLb0EEEEDaSU_SV_EUlSU_E_NS1_11comp_targetILNS1_3genE9ELNS1_11target_archE1100ELNS1_3gpuE3ELNS1_3repE0EEENS1_30default_config_static_selectorELNS0_4arch9wavefront6targetE1EEEvT1_, .Lfunc_end70-_ZN7rocprim17ROCPRIM_400000_NS6detail17trampoline_kernelINS0_14default_configENS1_27scan_by_key_config_selectorIiiEEZZNS1_16scan_by_key_implILNS1_25lookback_scan_determinismE0ELb0ES3_N6thrust23THRUST_200600_302600_NS6detail15normal_iteratorINS9_10device_ptrIiEEEESE_SE_iNS9_4plusIvEE19head_flag_predicateIiEiEE10hipError_tPvRmT2_T3_T4_T5_mT6_T7_P12ihipStream_tbENKUlT_T0_E_clISt17integral_constantIbLb1EESY_IbLb0EEEEDaSU_SV_EUlSU_E_NS1_11comp_targetILNS1_3genE9ELNS1_11target_archE1100ELNS1_3gpuE3ELNS1_3repE0EEENS1_30default_config_static_selectorELNS0_4arch9wavefront6targetE1EEEvT1_
                                        ; -- End function
	.section	.AMDGPU.csdata,"",@progbits
; Kernel info:
; codeLenInByte = 0
; NumSgprs: 4
; NumVgprs: 0
; NumAgprs: 0
; TotalNumVgprs: 0
; ScratchSize: 0
; MemoryBound: 0
; FloatMode: 240
; IeeeMode: 1
; LDSByteSize: 0 bytes/workgroup (compile time only)
; SGPRBlocks: 0
; VGPRBlocks: 0
; NumSGPRsForWavesPerEU: 4
; NumVGPRsForWavesPerEU: 1
; AccumOffset: 4
; Occupancy: 8
; WaveLimiterHint : 0
; COMPUTE_PGM_RSRC2:SCRATCH_EN: 0
; COMPUTE_PGM_RSRC2:USER_SGPR: 6
; COMPUTE_PGM_RSRC2:TRAP_HANDLER: 0
; COMPUTE_PGM_RSRC2:TGID_X_EN: 1
; COMPUTE_PGM_RSRC2:TGID_Y_EN: 0
; COMPUTE_PGM_RSRC2:TGID_Z_EN: 0
; COMPUTE_PGM_RSRC2:TIDIG_COMP_CNT: 0
; COMPUTE_PGM_RSRC3_GFX90A:ACCUM_OFFSET: 0
; COMPUTE_PGM_RSRC3_GFX90A:TG_SPLIT: 0
	.section	.text._ZN7rocprim17ROCPRIM_400000_NS6detail17trampoline_kernelINS0_14default_configENS1_27scan_by_key_config_selectorIiiEEZZNS1_16scan_by_key_implILNS1_25lookback_scan_determinismE0ELb0ES3_N6thrust23THRUST_200600_302600_NS6detail15normal_iteratorINS9_10device_ptrIiEEEESE_SE_iNS9_4plusIvEE19head_flag_predicateIiEiEE10hipError_tPvRmT2_T3_T4_T5_mT6_T7_P12ihipStream_tbENKUlT_T0_E_clISt17integral_constantIbLb1EESY_IbLb0EEEEDaSU_SV_EUlSU_E_NS1_11comp_targetILNS1_3genE8ELNS1_11target_archE1030ELNS1_3gpuE2ELNS1_3repE0EEENS1_30default_config_static_selectorELNS0_4arch9wavefront6targetE1EEEvT1_,"axG",@progbits,_ZN7rocprim17ROCPRIM_400000_NS6detail17trampoline_kernelINS0_14default_configENS1_27scan_by_key_config_selectorIiiEEZZNS1_16scan_by_key_implILNS1_25lookback_scan_determinismE0ELb0ES3_N6thrust23THRUST_200600_302600_NS6detail15normal_iteratorINS9_10device_ptrIiEEEESE_SE_iNS9_4plusIvEE19head_flag_predicateIiEiEE10hipError_tPvRmT2_T3_T4_T5_mT6_T7_P12ihipStream_tbENKUlT_T0_E_clISt17integral_constantIbLb1EESY_IbLb0EEEEDaSU_SV_EUlSU_E_NS1_11comp_targetILNS1_3genE8ELNS1_11target_archE1030ELNS1_3gpuE2ELNS1_3repE0EEENS1_30default_config_static_selectorELNS0_4arch9wavefront6targetE1EEEvT1_,comdat
	.protected	_ZN7rocprim17ROCPRIM_400000_NS6detail17trampoline_kernelINS0_14default_configENS1_27scan_by_key_config_selectorIiiEEZZNS1_16scan_by_key_implILNS1_25lookback_scan_determinismE0ELb0ES3_N6thrust23THRUST_200600_302600_NS6detail15normal_iteratorINS9_10device_ptrIiEEEESE_SE_iNS9_4plusIvEE19head_flag_predicateIiEiEE10hipError_tPvRmT2_T3_T4_T5_mT6_T7_P12ihipStream_tbENKUlT_T0_E_clISt17integral_constantIbLb1EESY_IbLb0EEEEDaSU_SV_EUlSU_E_NS1_11comp_targetILNS1_3genE8ELNS1_11target_archE1030ELNS1_3gpuE2ELNS1_3repE0EEENS1_30default_config_static_selectorELNS0_4arch9wavefront6targetE1EEEvT1_ ; -- Begin function _ZN7rocprim17ROCPRIM_400000_NS6detail17trampoline_kernelINS0_14default_configENS1_27scan_by_key_config_selectorIiiEEZZNS1_16scan_by_key_implILNS1_25lookback_scan_determinismE0ELb0ES3_N6thrust23THRUST_200600_302600_NS6detail15normal_iteratorINS9_10device_ptrIiEEEESE_SE_iNS9_4plusIvEE19head_flag_predicateIiEiEE10hipError_tPvRmT2_T3_T4_T5_mT6_T7_P12ihipStream_tbENKUlT_T0_E_clISt17integral_constantIbLb1EESY_IbLb0EEEEDaSU_SV_EUlSU_E_NS1_11comp_targetILNS1_3genE8ELNS1_11target_archE1030ELNS1_3gpuE2ELNS1_3repE0EEENS1_30default_config_static_selectorELNS0_4arch9wavefront6targetE1EEEvT1_
	.globl	_ZN7rocprim17ROCPRIM_400000_NS6detail17trampoline_kernelINS0_14default_configENS1_27scan_by_key_config_selectorIiiEEZZNS1_16scan_by_key_implILNS1_25lookback_scan_determinismE0ELb0ES3_N6thrust23THRUST_200600_302600_NS6detail15normal_iteratorINS9_10device_ptrIiEEEESE_SE_iNS9_4plusIvEE19head_flag_predicateIiEiEE10hipError_tPvRmT2_T3_T4_T5_mT6_T7_P12ihipStream_tbENKUlT_T0_E_clISt17integral_constantIbLb1EESY_IbLb0EEEEDaSU_SV_EUlSU_E_NS1_11comp_targetILNS1_3genE8ELNS1_11target_archE1030ELNS1_3gpuE2ELNS1_3repE0EEENS1_30default_config_static_selectorELNS0_4arch9wavefront6targetE1EEEvT1_
	.p2align	8
	.type	_ZN7rocprim17ROCPRIM_400000_NS6detail17trampoline_kernelINS0_14default_configENS1_27scan_by_key_config_selectorIiiEEZZNS1_16scan_by_key_implILNS1_25lookback_scan_determinismE0ELb0ES3_N6thrust23THRUST_200600_302600_NS6detail15normal_iteratorINS9_10device_ptrIiEEEESE_SE_iNS9_4plusIvEE19head_flag_predicateIiEiEE10hipError_tPvRmT2_T3_T4_T5_mT6_T7_P12ihipStream_tbENKUlT_T0_E_clISt17integral_constantIbLb1EESY_IbLb0EEEEDaSU_SV_EUlSU_E_NS1_11comp_targetILNS1_3genE8ELNS1_11target_archE1030ELNS1_3gpuE2ELNS1_3repE0EEENS1_30default_config_static_selectorELNS0_4arch9wavefront6targetE1EEEvT1_,@function
_ZN7rocprim17ROCPRIM_400000_NS6detail17trampoline_kernelINS0_14default_configENS1_27scan_by_key_config_selectorIiiEEZZNS1_16scan_by_key_implILNS1_25lookback_scan_determinismE0ELb0ES3_N6thrust23THRUST_200600_302600_NS6detail15normal_iteratorINS9_10device_ptrIiEEEESE_SE_iNS9_4plusIvEE19head_flag_predicateIiEiEE10hipError_tPvRmT2_T3_T4_T5_mT6_T7_P12ihipStream_tbENKUlT_T0_E_clISt17integral_constantIbLb1EESY_IbLb0EEEEDaSU_SV_EUlSU_E_NS1_11comp_targetILNS1_3genE8ELNS1_11target_archE1030ELNS1_3gpuE2ELNS1_3repE0EEENS1_30default_config_static_selectorELNS0_4arch9wavefront6targetE1EEEvT1_: ; @_ZN7rocprim17ROCPRIM_400000_NS6detail17trampoline_kernelINS0_14default_configENS1_27scan_by_key_config_selectorIiiEEZZNS1_16scan_by_key_implILNS1_25lookback_scan_determinismE0ELb0ES3_N6thrust23THRUST_200600_302600_NS6detail15normal_iteratorINS9_10device_ptrIiEEEESE_SE_iNS9_4plusIvEE19head_flag_predicateIiEiEE10hipError_tPvRmT2_T3_T4_T5_mT6_T7_P12ihipStream_tbENKUlT_T0_E_clISt17integral_constantIbLb1EESY_IbLb0EEEEDaSU_SV_EUlSU_E_NS1_11comp_targetILNS1_3genE8ELNS1_11target_archE1030ELNS1_3gpuE2ELNS1_3repE0EEENS1_30default_config_static_selectorELNS0_4arch9wavefront6targetE1EEEvT1_
; %bb.0:
	.section	.rodata,"a",@progbits
	.p2align	6, 0x0
	.amdhsa_kernel _ZN7rocprim17ROCPRIM_400000_NS6detail17trampoline_kernelINS0_14default_configENS1_27scan_by_key_config_selectorIiiEEZZNS1_16scan_by_key_implILNS1_25lookback_scan_determinismE0ELb0ES3_N6thrust23THRUST_200600_302600_NS6detail15normal_iteratorINS9_10device_ptrIiEEEESE_SE_iNS9_4plusIvEE19head_flag_predicateIiEiEE10hipError_tPvRmT2_T3_T4_T5_mT6_T7_P12ihipStream_tbENKUlT_T0_E_clISt17integral_constantIbLb1EESY_IbLb0EEEEDaSU_SV_EUlSU_E_NS1_11comp_targetILNS1_3genE8ELNS1_11target_archE1030ELNS1_3gpuE2ELNS1_3repE0EEENS1_30default_config_static_selectorELNS0_4arch9wavefront6targetE1EEEvT1_
		.amdhsa_group_segment_fixed_size 0
		.amdhsa_private_segment_fixed_size 0
		.amdhsa_kernarg_size 112
		.amdhsa_user_sgpr_count 6
		.amdhsa_user_sgpr_private_segment_buffer 1
		.amdhsa_user_sgpr_dispatch_ptr 0
		.amdhsa_user_sgpr_queue_ptr 0
		.amdhsa_user_sgpr_kernarg_segment_ptr 1
		.amdhsa_user_sgpr_dispatch_id 0
		.amdhsa_user_sgpr_flat_scratch_init 0
		.amdhsa_user_sgpr_kernarg_preload_length 0
		.amdhsa_user_sgpr_kernarg_preload_offset 0
		.amdhsa_user_sgpr_private_segment_size 0
		.amdhsa_uses_dynamic_stack 0
		.amdhsa_system_sgpr_private_segment_wavefront_offset 0
		.amdhsa_system_sgpr_workgroup_id_x 1
		.amdhsa_system_sgpr_workgroup_id_y 0
		.amdhsa_system_sgpr_workgroup_id_z 0
		.amdhsa_system_sgpr_workgroup_info 0
		.amdhsa_system_vgpr_workitem_id 0
		.amdhsa_next_free_vgpr 1
		.amdhsa_next_free_sgpr 0
		.amdhsa_accum_offset 4
		.amdhsa_reserve_vcc 0
		.amdhsa_reserve_flat_scratch 0
		.amdhsa_float_round_mode_32 0
		.amdhsa_float_round_mode_16_64 0
		.amdhsa_float_denorm_mode_32 3
		.amdhsa_float_denorm_mode_16_64 3
		.amdhsa_dx10_clamp 1
		.amdhsa_ieee_mode 1
		.amdhsa_fp16_overflow 0
		.amdhsa_tg_split 0
		.amdhsa_exception_fp_ieee_invalid_op 0
		.amdhsa_exception_fp_denorm_src 0
		.amdhsa_exception_fp_ieee_div_zero 0
		.amdhsa_exception_fp_ieee_overflow 0
		.amdhsa_exception_fp_ieee_underflow 0
		.amdhsa_exception_fp_ieee_inexact 0
		.amdhsa_exception_int_div_zero 0
	.end_amdhsa_kernel
	.section	.text._ZN7rocprim17ROCPRIM_400000_NS6detail17trampoline_kernelINS0_14default_configENS1_27scan_by_key_config_selectorIiiEEZZNS1_16scan_by_key_implILNS1_25lookback_scan_determinismE0ELb0ES3_N6thrust23THRUST_200600_302600_NS6detail15normal_iteratorINS9_10device_ptrIiEEEESE_SE_iNS9_4plusIvEE19head_flag_predicateIiEiEE10hipError_tPvRmT2_T3_T4_T5_mT6_T7_P12ihipStream_tbENKUlT_T0_E_clISt17integral_constantIbLb1EESY_IbLb0EEEEDaSU_SV_EUlSU_E_NS1_11comp_targetILNS1_3genE8ELNS1_11target_archE1030ELNS1_3gpuE2ELNS1_3repE0EEENS1_30default_config_static_selectorELNS0_4arch9wavefront6targetE1EEEvT1_,"axG",@progbits,_ZN7rocprim17ROCPRIM_400000_NS6detail17trampoline_kernelINS0_14default_configENS1_27scan_by_key_config_selectorIiiEEZZNS1_16scan_by_key_implILNS1_25lookback_scan_determinismE0ELb0ES3_N6thrust23THRUST_200600_302600_NS6detail15normal_iteratorINS9_10device_ptrIiEEEESE_SE_iNS9_4plusIvEE19head_flag_predicateIiEiEE10hipError_tPvRmT2_T3_T4_T5_mT6_T7_P12ihipStream_tbENKUlT_T0_E_clISt17integral_constantIbLb1EESY_IbLb0EEEEDaSU_SV_EUlSU_E_NS1_11comp_targetILNS1_3genE8ELNS1_11target_archE1030ELNS1_3gpuE2ELNS1_3repE0EEENS1_30default_config_static_selectorELNS0_4arch9wavefront6targetE1EEEvT1_,comdat
.Lfunc_end71:
	.size	_ZN7rocprim17ROCPRIM_400000_NS6detail17trampoline_kernelINS0_14default_configENS1_27scan_by_key_config_selectorIiiEEZZNS1_16scan_by_key_implILNS1_25lookback_scan_determinismE0ELb0ES3_N6thrust23THRUST_200600_302600_NS6detail15normal_iteratorINS9_10device_ptrIiEEEESE_SE_iNS9_4plusIvEE19head_flag_predicateIiEiEE10hipError_tPvRmT2_T3_T4_T5_mT6_T7_P12ihipStream_tbENKUlT_T0_E_clISt17integral_constantIbLb1EESY_IbLb0EEEEDaSU_SV_EUlSU_E_NS1_11comp_targetILNS1_3genE8ELNS1_11target_archE1030ELNS1_3gpuE2ELNS1_3repE0EEENS1_30default_config_static_selectorELNS0_4arch9wavefront6targetE1EEEvT1_, .Lfunc_end71-_ZN7rocprim17ROCPRIM_400000_NS6detail17trampoline_kernelINS0_14default_configENS1_27scan_by_key_config_selectorIiiEEZZNS1_16scan_by_key_implILNS1_25lookback_scan_determinismE0ELb0ES3_N6thrust23THRUST_200600_302600_NS6detail15normal_iteratorINS9_10device_ptrIiEEEESE_SE_iNS9_4plusIvEE19head_flag_predicateIiEiEE10hipError_tPvRmT2_T3_T4_T5_mT6_T7_P12ihipStream_tbENKUlT_T0_E_clISt17integral_constantIbLb1EESY_IbLb0EEEEDaSU_SV_EUlSU_E_NS1_11comp_targetILNS1_3genE8ELNS1_11target_archE1030ELNS1_3gpuE2ELNS1_3repE0EEENS1_30default_config_static_selectorELNS0_4arch9wavefront6targetE1EEEvT1_
                                        ; -- End function
	.section	.AMDGPU.csdata,"",@progbits
; Kernel info:
; codeLenInByte = 0
; NumSgprs: 4
; NumVgprs: 0
; NumAgprs: 0
; TotalNumVgprs: 0
; ScratchSize: 0
; MemoryBound: 0
; FloatMode: 240
; IeeeMode: 1
; LDSByteSize: 0 bytes/workgroup (compile time only)
; SGPRBlocks: 0
; VGPRBlocks: 0
; NumSGPRsForWavesPerEU: 4
; NumVGPRsForWavesPerEU: 1
; AccumOffset: 4
; Occupancy: 8
; WaveLimiterHint : 0
; COMPUTE_PGM_RSRC2:SCRATCH_EN: 0
; COMPUTE_PGM_RSRC2:USER_SGPR: 6
; COMPUTE_PGM_RSRC2:TRAP_HANDLER: 0
; COMPUTE_PGM_RSRC2:TGID_X_EN: 1
; COMPUTE_PGM_RSRC2:TGID_Y_EN: 0
; COMPUTE_PGM_RSRC2:TGID_Z_EN: 0
; COMPUTE_PGM_RSRC2:TIDIG_COMP_CNT: 0
; COMPUTE_PGM_RSRC3_GFX90A:ACCUM_OFFSET: 0
; COMPUTE_PGM_RSRC3_GFX90A:TG_SPLIT: 0
	.section	.text._ZN7rocprim17ROCPRIM_400000_NS6detail17trampoline_kernelINS0_14default_configENS1_27scan_by_key_config_selectorIiiEEZZNS1_16scan_by_key_implILNS1_25lookback_scan_determinismE0ELb0ES3_N6thrust23THRUST_200600_302600_NS6detail15normal_iteratorINS9_10device_ptrIiEEEESE_SE_iNS9_4plusIvEE19head_flag_predicateIiEiEE10hipError_tPvRmT2_T3_T4_T5_mT6_T7_P12ihipStream_tbENKUlT_T0_E_clISt17integral_constantIbLb0EESY_IbLb1EEEEDaSU_SV_EUlSU_E_NS1_11comp_targetILNS1_3genE0ELNS1_11target_archE4294967295ELNS1_3gpuE0ELNS1_3repE0EEENS1_30default_config_static_selectorELNS0_4arch9wavefront6targetE1EEEvT1_,"axG",@progbits,_ZN7rocprim17ROCPRIM_400000_NS6detail17trampoline_kernelINS0_14default_configENS1_27scan_by_key_config_selectorIiiEEZZNS1_16scan_by_key_implILNS1_25lookback_scan_determinismE0ELb0ES3_N6thrust23THRUST_200600_302600_NS6detail15normal_iteratorINS9_10device_ptrIiEEEESE_SE_iNS9_4plusIvEE19head_flag_predicateIiEiEE10hipError_tPvRmT2_T3_T4_T5_mT6_T7_P12ihipStream_tbENKUlT_T0_E_clISt17integral_constantIbLb0EESY_IbLb1EEEEDaSU_SV_EUlSU_E_NS1_11comp_targetILNS1_3genE0ELNS1_11target_archE4294967295ELNS1_3gpuE0ELNS1_3repE0EEENS1_30default_config_static_selectorELNS0_4arch9wavefront6targetE1EEEvT1_,comdat
	.protected	_ZN7rocprim17ROCPRIM_400000_NS6detail17trampoline_kernelINS0_14default_configENS1_27scan_by_key_config_selectorIiiEEZZNS1_16scan_by_key_implILNS1_25lookback_scan_determinismE0ELb0ES3_N6thrust23THRUST_200600_302600_NS6detail15normal_iteratorINS9_10device_ptrIiEEEESE_SE_iNS9_4plusIvEE19head_flag_predicateIiEiEE10hipError_tPvRmT2_T3_T4_T5_mT6_T7_P12ihipStream_tbENKUlT_T0_E_clISt17integral_constantIbLb0EESY_IbLb1EEEEDaSU_SV_EUlSU_E_NS1_11comp_targetILNS1_3genE0ELNS1_11target_archE4294967295ELNS1_3gpuE0ELNS1_3repE0EEENS1_30default_config_static_selectorELNS0_4arch9wavefront6targetE1EEEvT1_ ; -- Begin function _ZN7rocprim17ROCPRIM_400000_NS6detail17trampoline_kernelINS0_14default_configENS1_27scan_by_key_config_selectorIiiEEZZNS1_16scan_by_key_implILNS1_25lookback_scan_determinismE0ELb0ES3_N6thrust23THRUST_200600_302600_NS6detail15normal_iteratorINS9_10device_ptrIiEEEESE_SE_iNS9_4plusIvEE19head_flag_predicateIiEiEE10hipError_tPvRmT2_T3_T4_T5_mT6_T7_P12ihipStream_tbENKUlT_T0_E_clISt17integral_constantIbLb0EESY_IbLb1EEEEDaSU_SV_EUlSU_E_NS1_11comp_targetILNS1_3genE0ELNS1_11target_archE4294967295ELNS1_3gpuE0ELNS1_3repE0EEENS1_30default_config_static_selectorELNS0_4arch9wavefront6targetE1EEEvT1_
	.globl	_ZN7rocprim17ROCPRIM_400000_NS6detail17trampoline_kernelINS0_14default_configENS1_27scan_by_key_config_selectorIiiEEZZNS1_16scan_by_key_implILNS1_25lookback_scan_determinismE0ELb0ES3_N6thrust23THRUST_200600_302600_NS6detail15normal_iteratorINS9_10device_ptrIiEEEESE_SE_iNS9_4plusIvEE19head_flag_predicateIiEiEE10hipError_tPvRmT2_T3_T4_T5_mT6_T7_P12ihipStream_tbENKUlT_T0_E_clISt17integral_constantIbLb0EESY_IbLb1EEEEDaSU_SV_EUlSU_E_NS1_11comp_targetILNS1_3genE0ELNS1_11target_archE4294967295ELNS1_3gpuE0ELNS1_3repE0EEENS1_30default_config_static_selectorELNS0_4arch9wavefront6targetE1EEEvT1_
	.p2align	8
	.type	_ZN7rocprim17ROCPRIM_400000_NS6detail17trampoline_kernelINS0_14default_configENS1_27scan_by_key_config_selectorIiiEEZZNS1_16scan_by_key_implILNS1_25lookback_scan_determinismE0ELb0ES3_N6thrust23THRUST_200600_302600_NS6detail15normal_iteratorINS9_10device_ptrIiEEEESE_SE_iNS9_4plusIvEE19head_flag_predicateIiEiEE10hipError_tPvRmT2_T3_T4_T5_mT6_T7_P12ihipStream_tbENKUlT_T0_E_clISt17integral_constantIbLb0EESY_IbLb1EEEEDaSU_SV_EUlSU_E_NS1_11comp_targetILNS1_3genE0ELNS1_11target_archE4294967295ELNS1_3gpuE0ELNS1_3repE0EEENS1_30default_config_static_selectorELNS0_4arch9wavefront6targetE1EEEvT1_,@function
_ZN7rocprim17ROCPRIM_400000_NS6detail17trampoline_kernelINS0_14default_configENS1_27scan_by_key_config_selectorIiiEEZZNS1_16scan_by_key_implILNS1_25lookback_scan_determinismE0ELb0ES3_N6thrust23THRUST_200600_302600_NS6detail15normal_iteratorINS9_10device_ptrIiEEEESE_SE_iNS9_4plusIvEE19head_flag_predicateIiEiEE10hipError_tPvRmT2_T3_T4_T5_mT6_T7_P12ihipStream_tbENKUlT_T0_E_clISt17integral_constantIbLb0EESY_IbLb1EEEEDaSU_SV_EUlSU_E_NS1_11comp_targetILNS1_3genE0ELNS1_11target_archE4294967295ELNS1_3gpuE0ELNS1_3repE0EEENS1_30default_config_static_selectorELNS0_4arch9wavefront6targetE1EEEvT1_: ; @_ZN7rocprim17ROCPRIM_400000_NS6detail17trampoline_kernelINS0_14default_configENS1_27scan_by_key_config_selectorIiiEEZZNS1_16scan_by_key_implILNS1_25lookback_scan_determinismE0ELb0ES3_N6thrust23THRUST_200600_302600_NS6detail15normal_iteratorINS9_10device_ptrIiEEEESE_SE_iNS9_4plusIvEE19head_flag_predicateIiEiEE10hipError_tPvRmT2_T3_T4_T5_mT6_T7_P12ihipStream_tbENKUlT_T0_E_clISt17integral_constantIbLb0EESY_IbLb1EEEEDaSU_SV_EUlSU_E_NS1_11comp_targetILNS1_3genE0ELNS1_11target_archE4294967295ELNS1_3gpuE0ELNS1_3repE0EEENS1_30default_config_static_selectorELNS0_4arch9wavefront6targetE1EEEvT1_
; %bb.0:
	.section	.rodata,"a",@progbits
	.p2align	6, 0x0
	.amdhsa_kernel _ZN7rocprim17ROCPRIM_400000_NS6detail17trampoline_kernelINS0_14default_configENS1_27scan_by_key_config_selectorIiiEEZZNS1_16scan_by_key_implILNS1_25lookback_scan_determinismE0ELb0ES3_N6thrust23THRUST_200600_302600_NS6detail15normal_iteratorINS9_10device_ptrIiEEEESE_SE_iNS9_4plusIvEE19head_flag_predicateIiEiEE10hipError_tPvRmT2_T3_T4_T5_mT6_T7_P12ihipStream_tbENKUlT_T0_E_clISt17integral_constantIbLb0EESY_IbLb1EEEEDaSU_SV_EUlSU_E_NS1_11comp_targetILNS1_3genE0ELNS1_11target_archE4294967295ELNS1_3gpuE0ELNS1_3repE0EEENS1_30default_config_static_selectorELNS0_4arch9wavefront6targetE1EEEvT1_
		.amdhsa_group_segment_fixed_size 0
		.amdhsa_private_segment_fixed_size 0
		.amdhsa_kernarg_size 112
		.amdhsa_user_sgpr_count 6
		.amdhsa_user_sgpr_private_segment_buffer 1
		.amdhsa_user_sgpr_dispatch_ptr 0
		.amdhsa_user_sgpr_queue_ptr 0
		.amdhsa_user_sgpr_kernarg_segment_ptr 1
		.amdhsa_user_sgpr_dispatch_id 0
		.amdhsa_user_sgpr_flat_scratch_init 0
		.amdhsa_user_sgpr_kernarg_preload_length 0
		.amdhsa_user_sgpr_kernarg_preload_offset 0
		.amdhsa_user_sgpr_private_segment_size 0
		.amdhsa_uses_dynamic_stack 0
		.amdhsa_system_sgpr_private_segment_wavefront_offset 0
		.amdhsa_system_sgpr_workgroup_id_x 1
		.amdhsa_system_sgpr_workgroup_id_y 0
		.amdhsa_system_sgpr_workgroup_id_z 0
		.amdhsa_system_sgpr_workgroup_info 0
		.amdhsa_system_vgpr_workitem_id 0
		.amdhsa_next_free_vgpr 1
		.amdhsa_next_free_sgpr 0
		.amdhsa_accum_offset 4
		.amdhsa_reserve_vcc 0
		.amdhsa_reserve_flat_scratch 0
		.amdhsa_float_round_mode_32 0
		.amdhsa_float_round_mode_16_64 0
		.amdhsa_float_denorm_mode_32 3
		.amdhsa_float_denorm_mode_16_64 3
		.amdhsa_dx10_clamp 1
		.amdhsa_ieee_mode 1
		.amdhsa_fp16_overflow 0
		.amdhsa_tg_split 0
		.amdhsa_exception_fp_ieee_invalid_op 0
		.amdhsa_exception_fp_denorm_src 0
		.amdhsa_exception_fp_ieee_div_zero 0
		.amdhsa_exception_fp_ieee_overflow 0
		.amdhsa_exception_fp_ieee_underflow 0
		.amdhsa_exception_fp_ieee_inexact 0
		.amdhsa_exception_int_div_zero 0
	.end_amdhsa_kernel
	.section	.text._ZN7rocprim17ROCPRIM_400000_NS6detail17trampoline_kernelINS0_14default_configENS1_27scan_by_key_config_selectorIiiEEZZNS1_16scan_by_key_implILNS1_25lookback_scan_determinismE0ELb0ES3_N6thrust23THRUST_200600_302600_NS6detail15normal_iteratorINS9_10device_ptrIiEEEESE_SE_iNS9_4plusIvEE19head_flag_predicateIiEiEE10hipError_tPvRmT2_T3_T4_T5_mT6_T7_P12ihipStream_tbENKUlT_T0_E_clISt17integral_constantIbLb0EESY_IbLb1EEEEDaSU_SV_EUlSU_E_NS1_11comp_targetILNS1_3genE0ELNS1_11target_archE4294967295ELNS1_3gpuE0ELNS1_3repE0EEENS1_30default_config_static_selectorELNS0_4arch9wavefront6targetE1EEEvT1_,"axG",@progbits,_ZN7rocprim17ROCPRIM_400000_NS6detail17trampoline_kernelINS0_14default_configENS1_27scan_by_key_config_selectorIiiEEZZNS1_16scan_by_key_implILNS1_25lookback_scan_determinismE0ELb0ES3_N6thrust23THRUST_200600_302600_NS6detail15normal_iteratorINS9_10device_ptrIiEEEESE_SE_iNS9_4plusIvEE19head_flag_predicateIiEiEE10hipError_tPvRmT2_T3_T4_T5_mT6_T7_P12ihipStream_tbENKUlT_T0_E_clISt17integral_constantIbLb0EESY_IbLb1EEEEDaSU_SV_EUlSU_E_NS1_11comp_targetILNS1_3genE0ELNS1_11target_archE4294967295ELNS1_3gpuE0ELNS1_3repE0EEENS1_30default_config_static_selectorELNS0_4arch9wavefront6targetE1EEEvT1_,comdat
.Lfunc_end72:
	.size	_ZN7rocprim17ROCPRIM_400000_NS6detail17trampoline_kernelINS0_14default_configENS1_27scan_by_key_config_selectorIiiEEZZNS1_16scan_by_key_implILNS1_25lookback_scan_determinismE0ELb0ES3_N6thrust23THRUST_200600_302600_NS6detail15normal_iteratorINS9_10device_ptrIiEEEESE_SE_iNS9_4plusIvEE19head_flag_predicateIiEiEE10hipError_tPvRmT2_T3_T4_T5_mT6_T7_P12ihipStream_tbENKUlT_T0_E_clISt17integral_constantIbLb0EESY_IbLb1EEEEDaSU_SV_EUlSU_E_NS1_11comp_targetILNS1_3genE0ELNS1_11target_archE4294967295ELNS1_3gpuE0ELNS1_3repE0EEENS1_30default_config_static_selectorELNS0_4arch9wavefront6targetE1EEEvT1_, .Lfunc_end72-_ZN7rocprim17ROCPRIM_400000_NS6detail17trampoline_kernelINS0_14default_configENS1_27scan_by_key_config_selectorIiiEEZZNS1_16scan_by_key_implILNS1_25lookback_scan_determinismE0ELb0ES3_N6thrust23THRUST_200600_302600_NS6detail15normal_iteratorINS9_10device_ptrIiEEEESE_SE_iNS9_4plusIvEE19head_flag_predicateIiEiEE10hipError_tPvRmT2_T3_T4_T5_mT6_T7_P12ihipStream_tbENKUlT_T0_E_clISt17integral_constantIbLb0EESY_IbLb1EEEEDaSU_SV_EUlSU_E_NS1_11comp_targetILNS1_3genE0ELNS1_11target_archE4294967295ELNS1_3gpuE0ELNS1_3repE0EEENS1_30default_config_static_selectorELNS0_4arch9wavefront6targetE1EEEvT1_
                                        ; -- End function
	.section	.AMDGPU.csdata,"",@progbits
; Kernel info:
; codeLenInByte = 0
; NumSgprs: 4
; NumVgprs: 0
; NumAgprs: 0
; TotalNumVgprs: 0
; ScratchSize: 0
; MemoryBound: 0
; FloatMode: 240
; IeeeMode: 1
; LDSByteSize: 0 bytes/workgroup (compile time only)
; SGPRBlocks: 0
; VGPRBlocks: 0
; NumSGPRsForWavesPerEU: 4
; NumVGPRsForWavesPerEU: 1
; AccumOffset: 4
; Occupancy: 8
; WaveLimiterHint : 0
; COMPUTE_PGM_RSRC2:SCRATCH_EN: 0
; COMPUTE_PGM_RSRC2:USER_SGPR: 6
; COMPUTE_PGM_RSRC2:TRAP_HANDLER: 0
; COMPUTE_PGM_RSRC2:TGID_X_EN: 1
; COMPUTE_PGM_RSRC2:TGID_Y_EN: 0
; COMPUTE_PGM_RSRC2:TGID_Z_EN: 0
; COMPUTE_PGM_RSRC2:TIDIG_COMP_CNT: 0
; COMPUTE_PGM_RSRC3_GFX90A:ACCUM_OFFSET: 0
; COMPUTE_PGM_RSRC3_GFX90A:TG_SPLIT: 0
	.section	.text._ZN7rocprim17ROCPRIM_400000_NS6detail17trampoline_kernelINS0_14default_configENS1_27scan_by_key_config_selectorIiiEEZZNS1_16scan_by_key_implILNS1_25lookback_scan_determinismE0ELb0ES3_N6thrust23THRUST_200600_302600_NS6detail15normal_iteratorINS9_10device_ptrIiEEEESE_SE_iNS9_4plusIvEE19head_flag_predicateIiEiEE10hipError_tPvRmT2_T3_T4_T5_mT6_T7_P12ihipStream_tbENKUlT_T0_E_clISt17integral_constantIbLb0EESY_IbLb1EEEEDaSU_SV_EUlSU_E_NS1_11comp_targetILNS1_3genE10ELNS1_11target_archE1201ELNS1_3gpuE5ELNS1_3repE0EEENS1_30default_config_static_selectorELNS0_4arch9wavefront6targetE1EEEvT1_,"axG",@progbits,_ZN7rocprim17ROCPRIM_400000_NS6detail17trampoline_kernelINS0_14default_configENS1_27scan_by_key_config_selectorIiiEEZZNS1_16scan_by_key_implILNS1_25lookback_scan_determinismE0ELb0ES3_N6thrust23THRUST_200600_302600_NS6detail15normal_iteratorINS9_10device_ptrIiEEEESE_SE_iNS9_4plusIvEE19head_flag_predicateIiEiEE10hipError_tPvRmT2_T3_T4_T5_mT6_T7_P12ihipStream_tbENKUlT_T0_E_clISt17integral_constantIbLb0EESY_IbLb1EEEEDaSU_SV_EUlSU_E_NS1_11comp_targetILNS1_3genE10ELNS1_11target_archE1201ELNS1_3gpuE5ELNS1_3repE0EEENS1_30default_config_static_selectorELNS0_4arch9wavefront6targetE1EEEvT1_,comdat
	.protected	_ZN7rocprim17ROCPRIM_400000_NS6detail17trampoline_kernelINS0_14default_configENS1_27scan_by_key_config_selectorIiiEEZZNS1_16scan_by_key_implILNS1_25lookback_scan_determinismE0ELb0ES3_N6thrust23THRUST_200600_302600_NS6detail15normal_iteratorINS9_10device_ptrIiEEEESE_SE_iNS9_4plusIvEE19head_flag_predicateIiEiEE10hipError_tPvRmT2_T3_T4_T5_mT6_T7_P12ihipStream_tbENKUlT_T0_E_clISt17integral_constantIbLb0EESY_IbLb1EEEEDaSU_SV_EUlSU_E_NS1_11comp_targetILNS1_3genE10ELNS1_11target_archE1201ELNS1_3gpuE5ELNS1_3repE0EEENS1_30default_config_static_selectorELNS0_4arch9wavefront6targetE1EEEvT1_ ; -- Begin function _ZN7rocprim17ROCPRIM_400000_NS6detail17trampoline_kernelINS0_14default_configENS1_27scan_by_key_config_selectorIiiEEZZNS1_16scan_by_key_implILNS1_25lookback_scan_determinismE0ELb0ES3_N6thrust23THRUST_200600_302600_NS6detail15normal_iteratorINS9_10device_ptrIiEEEESE_SE_iNS9_4plusIvEE19head_flag_predicateIiEiEE10hipError_tPvRmT2_T3_T4_T5_mT6_T7_P12ihipStream_tbENKUlT_T0_E_clISt17integral_constantIbLb0EESY_IbLb1EEEEDaSU_SV_EUlSU_E_NS1_11comp_targetILNS1_3genE10ELNS1_11target_archE1201ELNS1_3gpuE5ELNS1_3repE0EEENS1_30default_config_static_selectorELNS0_4arch9wavefront6targetE1EEEvT1_
	.globl	_ZN7rocprim17ROCPRIM_400000_NS6detail17trampoline_kernelINS0_14default_configENS1_27scan_by_key_config_selectorIiiEEZZNS1_16scan_by_key_implILNS1_25lookback_scan_determinismE0ELb0ES3_N6thrust23THRUST_200600_302600_NS6detail15normal_iteratorINS9_10device_ptrIiEEEESE_SE_iNS9_4plusIvEE19head_flag_predicateIiEiEE10hipError_tPvRmT2_T3_T4_T5_mT6_T7_P12ihipStream_tbENKUlT_T0_E_clISt17integral_constantIbLb0EESY_IbLb1EEEEDaSU_SV_EUlSU_E_NS1_11comp_targetILNS1_3genE10ELNS1_11target_archE1201ELNS1_3gpuE5ELNS1_3repE0EEENS1_30default_config_static_selectorELNS0_4arch9wavefront6targetE1EEEvT1_
	.p2align	8
	.type	_ZN7rocprim17ROCPRIM_400000_NS6detail17trampoline_kernelINS0_14default_configENS1_27scan_by_key_config_selectorIiiEEZZNS1_16scan_by_key_implILNS1_25lookback_scan_determinismE0ELb0ES3_N6thrust23THRUST_200600_302600_NS6detail15normal_iteratorINS9_10device_ptrIiEEEESE_SE_iNS9_4plusIvEE19head_flag_predicateIiEiEE10hipError_tPvRmT2_T3_T4_T5_mT6_T7_P12ihipStream_tbENKUlT_T0_E_clISt17integral_constantIbLb0EESY_IbLb1EEEEDaSU_SV_EUlSU_E_NS1_11comp_targetILNS1_3genE10ELNS1_11target_archE1201ELNS1_3gpuE5ELNS1_3repE0EEENS1_30default_config_static_selectorELNS0_4arch9wavefront6targetE1EEEvT1_,@function
_ZN7rocprim17ROCPRIM_400000_NS6detail17trampoline_kernelINS0_14default_configENS1_27scan_by_key_config_selectorIiiEEZZNS1_16scan_by_key_implILNS1_25lookback_scan_determinismE0ELb0ES3_N6thrust23THRUST_200600_302600_NS6detail15normal_iteratorINS9_10device_ptrIiEEEESE_SE_iNS9_4plusIvEE19head_flag_predicateIiEiEE10hipError_tPvRmT2_T3_T4_T5_mT6_T7_P12ihipStream_tbENKUlT_T0_E_clISt17integral_constantIbLb0EESY_IbLb1EEEEDaSU_SV_EUlSU_E_NS1_11comp_targetILNS1_3genE10ELNS1_11target_archE1201ELNS1_3gpuE5ELNS1_3repE0EEENS1_30default_config_static_selectorELNS0_4arch9wavefront6targetE1EEEvT1_: ; @_ZN7rocprim17ROCPRIM_400000_NS6detail17trampoline_kernelINS0_14default_configENS1_27scan_by_key_config_selectorIiiEEZZNS1_16scan_by_key_implILNS1_25lookback_scan_determinismE0ELb0ES3_N6thrust23THRUST_200600_302600_NS6detail15normal_iteratorINS9_10device_ptrIiEEEESE_SE_iNS9_4plusIvEE19head_flag_predicateIiEiEE10hipError_tPvRmT2_T3_T4_T5_mT6_T7_P12ihipStream_tbENKUlT_T0_E_clISt17integral_constantIbLb0EESY_IbLb1EEEEDaSU_SV_EUlSU_E_NS1_11comp_targetILNS1_3genE10ELNS1_11target_archE1201ELNS1_3gpuE5ELNS1_3repE0EEENS1_30default_config_static_selectorELNS0_4arch9wavefront6targetE1EEEvT1_
; %bb.0:
	.section	.rodata,"a",@progbits
	.p2align	6, 0x0
	.amdhsa_kernel _ZN7rocprim17ROCPRIM_400000_NS6detail17trampoline_kernelINS0_14default_configENS1_27scan_by_key_config_selectorIiiEEZZNS1_16scan_by_key_implILNS1_25lookback_scan_determinismE0ELb0ES3_N6thrust23THRUST_200600_302600_NS6detail15normal_iteratorINS9_10device_ptrIiEEEESE_SE_iNS9_4plusIvEE19head_flag_predicateIiEiEE10hipError_tPvRmT2_T3_T4_T5_mT6_T7_P12ihipStream_tbENKUlT_T0_E_clISt17integral_constantIbLb0EESY_IbLb1EEEEDaSU_SV_EUlSU_E_NS1_11comp_targetILNS1_3genE10ELNS1_11target_archE1201ELNS1_3gpuE5ELNS1_3repE0EEENS1_30default_config_static_selectorELNS0_4arch9wavefront6targetE1EEEvT1_
		.amdhsa_group_segment_fixed_size 0
		.amdhsa_private_segment_fixed_size 0
		.amdhsa_kernarg_size 112
		.amdhsa_user_sgpr_count 6
		.amdhsa_user_sgpr_private_segment_buffer 1
		.amdhsa_user_sgpr_dispatch_ptr 0
		.amdhsa_user_sgpr_queue_ptr 0
		.amdhsa_user_sgpr_kernarg_segment_ptr 1
		.amdhsa_user_sgpr_dispatch_id 0
		.amdhsa_user_sgpr_flat_scratch_init 0
		.amdhsa_user_sgpr_kernarg_preload_length 0
		.amdhsa_user_sgpr_kernarg_preload_offset 0
		.amdhsa_user_sgpr_private_segment_size 0
		.amdhsa_uses_dynamic_stack 0
		.amdhsa_system_sgpr_private_segment_wavefront_offset 0
		.amdhsa_system_sgpr_workgroup_id_x 1
		.amdhsa_system_sgpr_workgroup_id_y 0
		.amdhsa_system_sgpr_workgroup_id_z 0
		.amdhsa_system_sgpr_workgroup_info 0
		.amdhsa_system_vgpr_workitem_id 0
		.amdhsa_next_free_vgpr 1
		.amdhsa_next_free_sgpr 0
		.amdhsa_accum_offset 4
		.amdhsa_reserve_vcc 0
		.amdhsa_reserve_flat_scratch 0
		.amdhsa_float_round_mode_32 0
		.amdhsa_float_round_mode_16_64 0
		.amdhsa_float_denorm_mode_32 3
		.amdhsa_float_denorm_mode_16_64 3
		.amdhsa_dx10_clamp 1
		.amdhsa_ieee_mode 1
		.amdhsa_fp16_overflow 0
		.amdhsa_tg_split 0
		.amdhsa_exception_fp_ieee_invalid_op 0
		.amdhsa_exception_fp_denorm_src 0
		.amdhsa_exception_fp_ieee_div_zero 0
		.amdhsa_exception_fp_ieee_overflow 0
		.amdhsa_exception_fp_ieee_underflow 0
		.amdhsa_exception_fp_ieee_inexact 0
		.amdhsa_exception_int_div_zero 0
	.end_amdhsa_kernel
	.section	.text._ZN7rocprim17ROCPRIM_400000_NS6detail17trampoline_kernelINS0_14default_configENS1_27scan_by_key_config_selectorIiiEEZZNS1_16scan_by_key_implILNS1_25lookback_scan_determinismE0ELb0ES3_N6thrust23THRUST_200600_302600_NS6detail15normal_iteratorINS9_10device_ptrIiEEEESE_SE_iNS9_4plusIvEE19head_flag_predicateIiEiEE10hipError_tPvRmT2_T3_T4_T5_mT6_T7_P12ihipStream_tbENKUlT_T0_E_clISt17integral_constantIbLb0EESY_IbLb1EEEEDaSU_SV_EUlSU_E_NS1_11comp_targetILNS1_3genE10ELNS1_11target_archE1201ELNS1_3gpuE5ELNS1_3repE0EEENS1_30default_config_static_selectorELNS0_4arch9wavefront6targetE1EEEvT1_,"axG",@progbits,_ZN7rocprim17ROCPRIM_400000_NS6detail17trampoline_kernelINS0_14default_configENS1_27scan_by_key_config_selectorIiiEEZZNS1_16scan_by_key_implILNS1_25lookback_scan_determinismE0ELb0ES3_N6thrust23THRUST_200600_302600_NS6detail15normal_iteratorINS9_10device_ptrIiEEEESE_SE_iNS9_4plusIvEE19head_flag_predicateIiEiEE10hipError_tPvRmT2_T3_T4_T5_mT6_T7_P12ihipStream_tbENKUlT_T0_E_clISt17integral_constantIbLb0EESY_IbLb1EEEEDaSU_SV_EUlSU_E_NS1_11comp_targetILNS1_3genE10ELNS1_11target_archE1201ELNS1_3gpuE5ELNS1_3repE0EEENS1_30default_config_static_selectorELNS0_4arch9wavefront6targetE1EEEvT1_,comdat
.Lfunc_end73:
	.size	_ZN7rocprim17ROCPRIM_400000_NS6detail17trampoline_kernelINS0_14default_configENS1_27scan_by_key_config_selectorIiiEEZZNS1_16scan_by_key_implILNS1_25lookback_scan_determinismE0ELb0ES3_N6thrust23THRUST_200600_302600_NS6detail15normal_iteratorINS9_10device_ptrIiEEEESE_SE_iNS9_4plusIvEE19head_flag_predicateIiEiEE10hipError_tPvRmT2_T3_T4_T5_mT6_T7_P12ihipStream_tbENKUlT_T0_E_clISt17integral_constantIbLb0EESY_IbLb1EEEEDaSU_SV_EUlSU_E_NS1_11comp_targetILNS1_3genE10ELNS1_11target_archE1201ELNS1_3gpuE5ELNS1_3repE0EEENS1_30default_config_static_selectorELNS0_4arch9wavefront6targetE1EEEvT1_, .Lfunc_end73-_ZN7rocprim17ROCPRIM_400000_NS6detail17trampoline_kernelINS0_14default_configENS1_27scan_by_key_config_selectorIiiEEZZNS1_16scan_by_key_implILNS1_25lookback_scan_determinismE0ELb0ES3_N6thrust23THRUST_200600_302600_NS6detail15normal_iteratorINS9_10device_ptrIiEEEESE_SE_iNS9_4plusIvEE19head_flag_predicateIiEiEE10hipError_tPvRmT2_T3_T4_T5_mT6_T7_P12ihipStream_tbENKUlT_T0_E_clISt17integral_constantIbLb0EESY_IbLb1EEEEDaSU_SV_EUlSU_E_NS1_11comp_targetILNS1_3genE10ELNS1_11target_archE1201ELNS1_3gpuE5ELNS1_3repE0EEENS1_30default_config_static_selectorELNS0_4arch9wavefront6targetE1EEEvT1_
                                        ; -- End function
	.section	.AMDGPU.csdata,"",@progbits
; Kernel info:
; codeLenInByte = 0
; NumSgprs: 4
; NumVgprs: 0
; NumAgprs: 0
; TotalNumVgprs: 0
; ScratchSize: 0
; MemoryBound: 0
; FloatMode: 240
; IeeeMode: 1
; LDSByteSize: 0 bytes/workgroup (compile time only)
; SGPRBlocks: 0
; VGPRBlocks: 0
; NumSGPRsForWavesPerEU: 4
; NumVGPRsForWavesPerEU: 1
; AccumOffset: 4
; Occupancy: 8
; WaveLimiterHint : 0
; COMPUTE_PGM_RSRC2:SCRATCH_EN: 0
; COMPUTE_PGM_RSRC2:USER_SGPR: 6
; COMPUTE_PGM_RSRC2:TRAP_HANDLER: 0
; COMPUTE_PGM_RSRC2:TGID_X_EN: 1
; COMPUTE_PGM_RSRC2:TGID_Y_EN: 0
; COMPUTE_PGM_RSRC2:TGID_Z_EN: 0
; COMPUTE_PGM_RSRC2:TIDIG_COMP_CNT: 0
; COMPUTE_PGM_RSRC3_GFX90A:ACCUM_OFFSET: 0
; COMPUTE_PGM_RSRC3_GFX90A:TG_SPLIT: 0
	.section	.text._ZN7rocprim17ROCPRIM_400000_NS6detail17trampoline_kernelINS0_14default_configENS1_27scan_by_key_config_selectorIiiEEZZNS1_16scan_by_key_implILNS1_25lookback_scan_determinismE0ELb0ES3_N6thrust23THRUST_200600_302600_NS6detail15normal_iteratorINS9_10device_ptrIiEEEESE_SE_iNS9_4plusIvEE19head_flag_predicateIiEiEE10hipError_tPvRmT2_T3_T4_T5_mT6_T7_P12ihipStream_tbENKUlT_T0_E_clISt17integral_constantIbLb0EESY_IbLb1EEEEDaSU_SV_EUlSU_E_NS1_11comp_targetILNS1_3genE5ELNS1_11target_archE942ELNS1_3gpuE9ELNS1_3repE0EEENS1_30default_config_static_selectorELNS0_4arch9wavefront6targetE1EEEvT1_,"axG",@progbits,_ZN7rocprim17ROCPRIM_400000_NS6detail17trampoline_kernelINS0_14default_configENS1_27scan_by_key_config_selectorIiiEEZZNS1_16scan_by_key_implILNS1_25lookback_scan_determinismE0ELb0ES3_N6thrust23THRUST_200600_302600_NS6detail15normal_iteratorINS9_10device_ptrIiEEEESE_SE_iNS9_4plusIvEE19head_flag_predicateIiEiEE10hipError_tPvRmT2_T3_T4_T5_mT6_T7_P12ihipStream_tbENKUlT_T0_E_clISt17integral_constantIbLb0EESY_IbLb1EEEEDaSU_SV_EUlSU_E_NS1_11comp_targetILNS1_3genE5ELNS1_11target_archE942ELNS1_3gpuE9ELNS1_3repE0EEENS1_30default_config_static_selectorELNS0_4arch9wavefront6targetE1EEEvT1_,comdat
	.protected	_ZN7rocprim17ROCPRIM_400000_NS6detail17trampoline_kernelINS0_14default_configENS1_27scan_by_key_config_selectorIiiEEZZNS1_16scan_by_key_implILNS1_25lookback_scan_determinismE0ELb0ES3_N6thrust23THRUST_200600_302600_NS6detail15normal_iteratorINS9_10device_ptrIiEEEESE_SE_iNS9_4plusIvEE19head_flag_predicateIiEiEE10hipError_tPvRmT2_T3_T4_T5_mT6_T7_P12ihipStream_tbENKUlT_T0_E_clISt17integral_constantIbLb0EESY_IbLb1EEEEDaSU_SV_EUlSU_E_NS1_11comp_targetILNS1_3genE5ELNS1_11target_archE942ELNS1_3gpuE9ELNS1_3repE0EEENS1_30default_config_static_selectorELNS0_4arch9wavefront6targetE1EEEvT1_ ; -- Begin function _ZN7rocprim17ROCPRIM_400000_NS6detail17trampoline_kernelINS0_14default_configENS1_27scan_by_key_config_selectorIiiEEZZNS1_16scan_by_key_implILNS1_25lookback_scan_determinismE0ELb0ES3_N6thrust23THRUST_200600_302600_NS6detail15normal_iteratorINS9_10device_ptrIiEEEESE_SE_iNS9_4plusIvEE19head_flag_predicateIiEiEE10hipError_tPvRmT2_T3_T4_T5_mT6_T7_P12ihipStream_tbENKUlT_T0_E_clISt17integral_constantIbLb0EESY_IbLb1EEEEDaSU_SV_EUlSU_E_NS1_11comp_targetILNS1_3genE5ELNS1_11target_archE942ELNS1_3gpuE9ELNS1_3repE0EEENS1_30default_config_static_selectorELNS0_4arch9wavefront6targetE1EEEvT1_
	.globl	_ZN7rocprim17ROCPRIM_400000_NS6detail17trampoline_kernelINS0_14default_configENS1_27scan_by_key_config_selectorIiiEEZZNS1_16scan_by_key_implILNS1_25lookback_scan_determinismE0ELb0ES3_N6thrust23THRUST_200600_302600_NS6detail15normal_iteratorINS9_10device_ptrIiEEEESE_SE_iNS9_4plusIvEE19head_flag_predicateIiEiEE10hipError_tPvRmT2_T3_T4_T5_mT6_T7_P12ihipStream_tbENKUlT_T0_E_clISt17integral_constantIbLb0EESY_IbLb1EEEEDaSU_SV_EUlSU_E_NS1_11comp_targetILNS1_3genE5ELNS1_11target_archE942ELNS1_3gpuE9ELNS1_3repE0EEENS1_30default_config_static_selectorELNS0_4arch9wavefront6targetE1EEEvT1_
	.p2align	8
	.type	_ZN7rocprim17ROCPRIM_400000_NS6detail17trampoline_kernelINS0_14default_configENS1_27scan_by_key_config_selectorIiiEEZZNS1_16scan_by_key_implILNS1_25lookback_scan_determinismE0ELb0ES3_N6thrust23THRUST_200600_302600_NS6detail15normal_iteratorINS9_10device_ptrIiEEEESE_SE_iNS9_4plusIvEE19head_flag_predicateIiEiEE10hipError_tPvRmT2_T3_T4_T5_mT6_T7_P12ihipStream_tbENKUlT_T0_E_clISt17integral_constantIbLb0EESY_IbLb1EEEEDaSU_SV_EUlSU_E_NS1_11comp_targetILNS1_3genE5ELNS1_11target_archE942ELNS1_3gpuE9ELNS1_3repE0EEENS1_30default_config_static_selectorELNS0_4arch9wavefront6targetE1EEEvT1_,@function
_ZN7rocprim17ROCPRIM_400000_NS6detail17trampoline_kernelINS0_14default_configENS1_27scan_by_key_config_selectorIiiEEZZNS1_16scan_by_key_implILNS1_25lookback_scan_determinismE0ELb0ES3_N6thrust23THRUST_200600_302600_NS6detail15normal_iteratorINS9_10device_ptrIiEEEESE_SE_iNS9_4plusIvEE19head_flag_predicateIiEiEE10hipError_tPvRmT2_T3_T4_T5_mT6_T7_P12ihipStream_tbENKUlT_T0_E_clISt17integral_constantIbLb0EESY_IbLb1EEEEDaSU_SV_EUlSU_E_NS1_11comp_targetILNS1_3genE5ELNS1_11target_archE942ELNS1_3gpuE9ELNS1_3repE0EEENS1_30default_config_static_selectorELNS0_4arch9wavefront6targetE1EEEvT1_: ; @_ZN7rocprim17ROCPRIM_400000_NS6detail17trampoline_kernelINS0_14default_configENS1_27scan_by_key_config_selectorIiiEEZZNS1_16scan_by_key_implILNS1_25lookback_scan_determinismE0ELb0ES3_N6thrust23THRUST_200600_302600_NS6detail15normal_iteratorINS9_10device_ptrIiEEEESE_SE_iNS9_4plusIvEE19head_flag_predicateIiEiEE10hipError_tPvRmT2_T3_T4_T5_mT6_T7_P12ihipStream_tbENKUlT_T0_E_clISt17integral_constantIbLb0EESY_IbLb1EEEEDaSU_SV_EUlSU_E_NS1_11comp_targetILNS1_3genE5ELNS1_11target_archE942ELNS1_3gpuE9ELNS1_3repE0EEENS1_30default_config_static_selectorELNS0_4arch9wavefront6targetE1EEEvT1_
; %bb.0:
	.section	.rodata,"a",@progbits
	.p2align	6, 0x0
	.amdhsa_kernel _ZN7rocprim17ROCPRIM_400000_NS6detail17trampoline_kernelINS0_14default_configENS1_27scan_by_key_config_selectorIiiEEZZNS1_16scan_by_key_implILNS1_25lookback_scan_determinismE0ELb0ES3_N6thrust23THRUST_200600_302600_NS6detail15normal_iteratorINS9_10device_ptrIiEEEESE_SE_iNS9_4plusIvEE19head_flag_predicateIiEiEE10hipError_tPvRmT2_T3_T4_T5_mT6_T7_P12ihipStream_tbENKUlT_T0_E_clISt17integral_constantIbLb0EESY_IbLb1EEEEDaSU_SV_EUlSU_E_NS1_11comp_targetILNS1_3genE5ELNS1_11target_archE942ELNS1_3gpuE9ELNS1_3repE0EEENS1_30default_config_static_selectorELNS0_4arch9wavefront6targetE1EEEvT1_
		.amdhsa_group_segment_fixed_size 0
		.amdhsa_private_segment_fixed_size 0
		.amdhsa_kernarg_size 112
		.amdhsa_user_sgpr_count 6
		.amdhsa_user_sgpr_private_segment_buffer 1
		.amdhsa_user_sgpr_dispatch_ptr 0
		.amdhsa_user_sgpr_queue_ptr 0
		.amdhsa_user_sgpr_kernarg_segment_ptr 1
		.amdhsa_user_sgpr_dispatch_id 0
		.amdhsa_user_sgpr_flat_scratch_init 0
		.amdhsa_user_sgpr_kernarg_preload_length 0
		.amdhsa_user_sgpr_kernarg_preload_offset 0
		.amdhsa_user_sgpr_private_segment_size 0
		.amdhsa_uses_dynamic_stack 0
		.amdhsa_system_sgpr_private_segment_wavefront_offset 0
		.amdhsa_system_sgpr_workgroup_id_x 1
		.amdhsa_system_sgpr_workgroup_id_y 0
		.amdhsa_system_sgpr_workgroup_id_z 0
		.amdhsa_system_sgpr_workgroup_info 0
		.amdhsa_system_vgpr_workitem_id 0
		.amdhsa_next_free_vgpr 1
		.amdhsa_next_free_sgpr 0
		.amdhsa_accum_offset 4
		.amdhsa_reserve_vcc 0
		.amdhsa_reserve_flat_scratch 0
		.amdhsa_float_round_mode_32 0
		.amdhsa_float_round_mode_16_64 0
		.amdhsa_float_denorm_mode_32 3
		.amdhsa_float_denorm_mode_16_64 3
		.amdhsa_dx10_clamp 1
		.amdhsa_ieee_mode 1
		.amdhsa_fp16_overflow 0
		.amdhsa_tg_split 0
		.amdhsa_exception_fp_ieee_invalid_op 0
		.amdhsa_exception_fp_denorm_src 0
		.amdhsa_exception_fp_ieee_div_zero 0
		.amdhsa_exception_fp_ieee_overflow 0
		.amdhsa_exception_fp_ieee_underflow 0
		.amdhsa_exception_fp_ieee_inexact 0
		.amdhsa_exception_int_div_zero 0
	.end_amdhsa_kernel
	.section	.text._ZN7rocprim17ROCPRIM_400000_NS6detail17trampoline_kernelINS0_14default_configENS1_27scan_by_key_config_selectorIiiEEZZNS1_16scan_by_key_implILNS1_25lookback_scan_determinismE0ELb0ES3_N6thrust23THRUST_200600_302600_NS6detail15normal_iteratorINS9_10device_ptrIiEEEESE_SE_iNS9_4plusIvEE19head_flag_predicateIiEiEE10hipError_tPvRmT2_T3_T4_T5_mT6_T7_P12ihipStream_tbENKUlT_T0_E_clISt17integral_constantIbLb0EESY_IbLb1EEEEDaSU_SV_EUlSU_E_NS1_11comp_targetILNS1_3genE5ELNS1_11target_archE942ELNS1_3gpuE9ELNS1_3repE0EEENS1_30default_config_static_selectorELNS0_4arch9wavefront6targetE1EEEvT1_,"axG",@progbits,_ZN7rocprim17ROCPRIM_400000_NS6detail17trampoline_kernelINS0_14default_configENS1_27scan_by_key_config_selectorIiiEEZZNS1_16scan_by_key_implILNS1_25lookback_scan_determinismE0ELb0ES3_N6thrust23THRUST_200600_302600_NS6detail15normal_iteratorINS9_10device_ptrIiEEEESE_SE_iNS9_4plusIvEE19head_flag_predicateIiEiEE10hipError_tPvRmT2_T3_T4_T5_mT6_T7_P12ihipStream_tbENKUlT_T0_E_clISt17integral_constantIbLb0EESY_IbLb1EEEEDaSU_SV_EUlSU_E_NS1_11comp_targetILNS1_3genE5ELNS1_11target_archE942ELNS1_3gpuE9ELNS1_3repE0EEENS1_30default_config_static_selectorELNS0_4arch9wavefront6targetE1EEEvT1_,comdat
.Lfunc_end74:
	.size	_ZN7rocprim17ROCPRIM_400000_NS6detail17trampoline_kernelINS0_14default_configENS1_27scan_by_key_config_selectorIiiEEZZNS1_16scan_by_key_implILNS1_25lookback_scan_determinismE0ELb0ES3_N6thrust23THRUST_200600_302600_NS6detail15normal_iteratorINS9_10device_ptrIiEEEESE_SE_iNS9_4plusIvEE19head_flag_predicateIiEiEE10hipError_tPvRmT2_T3_T4_T5_mT6_T7_P12ihipStream_tbENKUlT_T0_E_clISt17integral_constantIbLb0EESY_IbLb1EEEEDaSU_SV_EUlSU_E_NS1_11comp_targetILNS1_3genE5ELNS1_11target_archE942ELNS1_3gpuE9ELNS1_3repE0EEENS1_30default_config_static_selectorELNS0_4arch9wavefront6targetE1EEEvT1_, .Lfunc_end74-_ZN7rocprim17ROCPRIM_400000_NS6detail17trampoline_kernelINS0_14default_configENS1_27scan_by_key_config_selectorIiiEEZZNS1_16scan_by_key_implILNS1_25lookback_scan_determinismE0ELb0ES3_N6thrust23THRUST_200600_302600_NS6detail15normal_iteratorINS9_10device_ptrIiEEEESE_SE_iNS9_4plusIvEE19head_flag_predicateIiEiEE10hipError_tPvRmT2_T3_T4_T5_mT6_T7_P12ihipStream_tbENKUlT_T0_E_clISt17integral_constantIbLb0EESY_IbLb1EEEEDaSU_SV_EUlSU_E_NS1_11comp_targetILNS1_3genE5ELNS1_11target_archE942ELNS1_3gpuE9ELNS1_3repE0EEENS1_30default_config_static_selectorELNS0_4arch9wavefront6targetE1EEEvT1_
                                        ; -- End function
	.section	.AMDGPU.csdata,"",@progbits
; Kernel info:
; codeLenInByte = 0
; NumSgprs: 4
; NumVgprs: 0
; NumAgprs: 0
; TotalNumVgprs: 0
; ScratchSize: 0
; MemoryBound: 0
; FloatMode: 240
; IeeeMode: 1
; LDSByteSize: 0 bytes/workgroup (compile time only)
; SGPRBlocks: 0
; VGPRBlocks: 0
; NumSGPRsForWavesPerEU: 4
; NumVGPRsForWavesPerEU: 1
; AccumOffset: 4
; Occupancy: 8
; WaveLimiterHint : 0
; COMPUTE_PGM_RSRC2:SCRATCH_EN: 0
; COMPUTE_PGM_RSRC2:USER_SGPR: 6
; COMPUTE_PGM_RSRC2:TRAP_HANDLER: 0
; COMPUTE_PGM_RSRC2:TGID_X_EN: 1
; COMPUTE_PGM_RSRC2:TGID_Y_EN: 0
; COMPUTE_PGM_RSRC2:TGID_Z_EN: 0
; COMPUTE_PGM_RSRC2:TIDIG_COMP_CNT: 0
; COMPUTE_PGM_RSRC3_GFX90A:ACCUM_OFFSET: 0
; COMPUTE_PGM_RSRC3_GFX90A:TG_SPLIT: 0
	.section	.text._ZN7rocprim17ROCPRIM_400000_NS6detail17trampoline_kernelINS0_14default_configENS1_27scan_by_key_config_selectorIiiEEZZNS1_16scan_by_key_implILNS1_25lookback_scan_determinismE0ELb0ES3_N6thrust23THRUST_200600_302600_NS6detail15normal_iteratorINS9_10device_ptrIiEEEESE_SE_iNS9_4plusIvEE19head_flag_predicateIiEiEE10hipError_tPvRmT2_T3_T4_T5_mT6_T7_P12ihipStream_tbENKUlT_T0_E_clISt17integral_constantIbLb0EESY_IbLb1EEEEDaSU_SV_EUlSU_E_NS1_11comp_targetILNS1_3genE4ELNS1_11target_archE910ELNS1_3gpuE8ELNS1_3repE0EEENS1_30default_config_static_selectorELNS0_4arch9wavefront6targetE1EEEvT1_,"axG",@progbits,_ZN7rocprim17ROCPRIM_400000_NS6detail17trampoline_kernelINS0_14default_configENS1_27scan_by_key_config_selectorIiiEEZZNS1_16scan_by_key_implILNS1_25lookback_scan_determinismE0ELb0ES3_N6thrust23THRUST_200600_302600_NS6detail15normal_iteratorINS9_10device_ptrIiEEEESE_SE_iNS9_4plusIvEE19head_flag_predicateIiEiEE10hipError_tPvRmT2_T3_T4_T5_mT6_T7_P12ihipStream_tbENKUlT_T0_E_clISt17integral_constantIbLb0EESY_IbLb1EEEEDaSU_SV_EUlSU_E_NS1_11comp_targetILNS1_3genE4ELNS1_11target_archE910ELNS1_3gpuE8ELNS1_3repE0EEENS1_30default_config_static_selectorELNS0_4arch9wavefront6targetE1EEEvT1_,comdat
	.protected	_ZN7rocprim17ROCPRIM_400000_NS6detail17trampoline_kernelINS0_14default_configENS1_27scan_by_key_config_selectorIiiEEZZNS1_16scan_by_key_implILNS1_25lookback_scan_determinismE0ELb0ES3_N6thrust23THRUST_200600_302600_NS6detail15normal_iteratorINS9_10device_ptrIiEEEESE_SE_iNS9_4plusIvEE19head_flag_predicateIiEiEE10hipError_tPvRmT2_T3_T4_T5_mT6_T7_P12ihipStream_tbENKUlT_T0_E_clISt17integral_constantIbLb0EESY_IbLb1EEEEDaSU_SV_EUlSU_E_NS1_11comp_targetILNS1_3genE4ELNS1_11target_archE910ELNS1_3gpuE8ELNS1_3repE0EEENS1_30default_config_static_selectorELNS0_4arch9wavefront6targetE1EEEvT1_ ; -- Begin function _ZN7rocprim17ROCPRIM_400000_NS6detail17trampoline_kernelINS0_14default_configENS1_27scan_by_key_config_selectorIiiEEZZNS1_16scan_by_key_implILNS1_25lookback_scan_determinismE0ELb0ES3_N6thrust23THRUST_200600_302600_NS6detail15normal_iteratorINS9_10device_ptrIiEEEESE_SE_iNS9_4plusIvEE19head_flag_predicateIiEiEE10hipError_tPvRmT2_T3_T4_T5_mT6_T7_P12ihipStream_tbENKUlT_T0_E_clISt17integral_constantIbLb0EESY_IbLb1EEEEDaSU_SV_EUlSU_E_NS1_11comp_targetILNS1_3genE4ELNS1_11target_archE910ELNS1_3gpuE8ELNS1_3repE0EEENS1_30default_config_static_selectorELNS0_4arch9wavefront6targetE1EEEvT1_
	.globl	_ZN7rocprim17ROCPRIM_400000_NS6detail17trampoline_kernelINS0_14default_configENS1_27scan_by_key_config_selectorIiiEEZZNS1_16scan_by_key_implILNS1_25lookback_scan_determinismE0ELb0ES3_N6thrust23THRUST_200600_302600_NS6detail15normal_iteratorINS9_10device_ptrIiEEEESE_SE_iNS9_4plusIvEE19head_flag_predicateIiEiEE10hipError_tPvRmT2_T3_T4_T5_mT6_T7_P12ihipStream_tbENKUlT_T0_E_clISt17integral_constantIbLb0EESY_IbLb1EEEEDaSU_SV_EUlSU_E_NS1_11comp_targetILNS1_3genE4ELNS1_11target_archE910ELNS1_3gpuE8ELNS1_3repE0EEENS1_30default_config_static_selectorELNS0_4arch9wavefront6targetE1EEEvT1_
	.p2align	8
	.type	_ZN7rocprim17ROCPRIM_400000_NS6detail17trampoline_kernelINS0_14default_configENS1_27scan_by_key_config_selectorIiiEEZZNS1_16scan_by_key_implILNS1_25lookback_scan_determinismE0ELb0ES3_N6thrust23THRUST_200600_302600_NS6detail15normal_iteratorINS9_10device_ptrIiEEEESE_SE_iNS9_4plusIvEE19head_flag_predicateIiEiEE10hipError_tPvRmT2_T3_T4_T5_mT6_T7_P12ihipStream_tbENKUlT_T0_E_clISt17integral_constantIbLb0EESY_IbLb1EEEEDaSU_SV_EUlSU_E_NS1_11comp_targetILNS1_3genE4ELNS1_11target_archE910ELNS1_3gpuE8ELNS1_3repE0EEENS1_30default_config_static_selectorELNS0_4arch9wavefront6targetE1EEEvT1_,@function
_ZN7rocprim17ROCPRIM_400000_NS6detail17trampoline_kernelINS0_14default_configENS1_27scan_by_key_config_selectorIiiEEZZNS1_16scan_by_key_implILNS1_25lookback_scan_determinismE0ELb0ES3_N6thrust23THRUST_200600_302600_NS6detail15normal_iteratorINS9_10device_ptrIiEEEESE_SE_iNS9_4plusIvEE19head_flag_predicateIiEiEE10hipError_tPvRmT2_T3_T4_T5_mT6_T7_P12ihipStream_tbENKUlT_T0_E_clISt17integral_constantIbLb0EESY_IbLb1EEEEDaSU_SV_EUlSU_E_NS1_11comp_targetILNS1_3genE4ELNS1_11target_archE910ELNS1_3gpuE8ELNS1_3repE0EEENS1_30default_config_static_selectorELNS0_4arch9wavefront6targetE1EEEvT1_: ; @_ZN7rocprim17ROCPRIM_400000_NS6detail17trampoline_kernelINS0_14default_configENS1_27scan_by_key_config_selectorIiiEEZZNS1_16scan_by_key_implILNS1_25lookback_scan_determinismE0ELb0ES3_N6thrust23THRUST_200600_302600_NS6detail15normal_iteratorINS9_10device_ptrIiEEEESE_SE_iNS9_4plusIvEE19head_flag_predicateIiEiEE10hipError_tPvRmT2_T3_T4_T5_mT6_T7_P12ihipStream_tbENKUlT_T0_E_clISt17integral_constantIbLb0EESY_IbLb1EEEEDaSU_SV_EUlSU_E_NS1_11comp_targetILNS1_3genE4ELNS1_11target_archE910ELNS1_3gpuE8ELNS1_3repE0EEENS1_30default_config_static_selectorELNS0_4arch9wavefront6targetE1EEEvT1_
; %bb.0:
	s_load_dwordx4 s[48:51], s[4:5], 0x28
	s_load_dwordx2 s[56:57], s[4:5], 0x38
	v_cmp_ne_u32_e64 s[36:37], 0, v0
	v_cmp_eq_u32_e64 s[0:1], 0, v0
	s_and_saveexec_b64 s[2:3], s[0:1]
	s_cbranch_execz .LBB75_4
; %bb.1:
	s_mov_b64 s[8:9], exec
	v_mbcnt_lo_u32_b32 v1, s8, 0
	v_mbcnt_hi_u32_b32 v1, s9, v1
	v_cmp_eq_u32_e32 vcc, 0, v1
                                        ; implicit-def: $vgpr2
	s_and_saveexec_b64 s[6:7], vcc
	s_cbranch_execz .LBB75_3
; %bb.2:
	s_load_dwordx2 s[10:11], s[4:5], 0x68
	s_bcnt1_i32_b64 s8, s[8:9]
	v_mov_b32_e32 v2, 0
	v_mov_b32_e32 v3, s8
	s_waitcnt lgkmcnt(0)
	global_atomic_add v2, v2, v3, s[10:11] glc
.LBB75_3:
	s_or_b64 exec, exec, s[6:7]
	s_waitcnt vmcnt(0)
	v_readfirstlane_b32 s6, v2
	v_add_u32_e32 v1, s6, v1
	v_mov_b32_e32 v2, 0
	ds_write_b32 v2, v1
.LBB75_4:
	s_or_b64 exec, exec, s[2:3]
	s_load_dwordx8 s[40:47], s[4:5], 0x0
	s_load_dword s2, s[4:5], 0x40
	s_load_dwordx4 s[52:55], s[4:5], 0x48
	v_mov_b32_e32 v1, 0
	s_waitcnt lgkmcnt(0)
	s_barrier
	ds_read_b32 v1, v1
	s_lshl_b64 s[38:39], s[42:43], 2
	s_add_u32 s4, s40, s38
	s_addc_u32 s5, s41, s39
	s_add_u32 s6, s44, s38
	s_mul_i32 s3, s57, s2
	s_mul_hi_u32 s8, s56, s2
	s_waitcnt lgkmcnt(0)
	v_readfirstlane_b32 s51, v1
	s_addc_u32 s7, s45, s39
	s_add_i32 s8, s8, s3
	s_mul_i32 s9, s56, s2
	s_mov_b32 s3, 0
	s_mul_i32 s2, s51, 0xe00
	s_lshl_b64 s[40:41], s[2:3], 2
	s_add_u32 s34, s4, s40
	s_addc_u32 s35, s5, s41
	s_add_u32 s44, s6, s40
	s_addc_u32 s45, s7, s41
	v_mov_b32_e32 v3, s8
	v_add_co_u32_e32 v2, vcc, s9, v1
	s_add_u32 s4, s52, -1
	v_addc_co_u32_e32 v3, vcc, 0, v3, vcc
	s_addc_u32 s5, s53, -1
	v_cmp_le_u64_e64 s[2:3], s[4:5], v[2:3]
	s_mov_b64 s[12:13], -1
	s_and_b64 vcc, exec, s[2:3]
	s_mul_i32 s33, s4, 0xfffff200
	s_barrier
	s_barrier
	s_cbranch_vccz .LBB75_76
; %bb.5:
	v_pk_mov_b32 v[2:3], s[34:35], s[34:35] op_sel:[0,1]
	flat_load_dword v1, v[2:3]
	s_add_i32 s52, s33, s50
	v_cmp_gt_u32_e32 vcc, s52, v0
	s_waitcnt vmcnt(0) lgkmcnt(0)
	v_mov_b32_e32 v13, v1
	s_and_saveexec_b64 s[6:7], vcc
	s_cbranch_execz .LBB75_7
; %bb.6:
	v_lshlrev_b32_e32 v2, 2, v0
	v_mov_b32_e32 v3, s35
	v_add_co_u32_e64 v2, s[4:5], s34, v2
	v_addc_co_u32_e64 v3, s[4:5], 0, v3, s[4:5]
	flat_load_dword v13, v[2:3]
.LBB75_7:
	s_or_b64 exec, exec, s[6:7]
	v_or_b32_e32 v2, 0x100, v0
	v_cmp_gt_u32_e64 s[6:7], s52, v2
	v_mov_b32_e32 v14, v1
	s_and_saveexec_b64 s[8:9], s[6:7]
	s_cbranch_execz .LBB75_9
; %bb.8:
	v_lshlrev_b32_e32 v2, 2, v0
	v_mov_b32_e32 v3, s35
	v_add_co_u32_e64 v2, s[4:5], s34, v2
	v_addc_co_u32_e64 v3, s[4:5], 0, v3, s[4:5]
	flat_load_dword v14, v[2:3] offset:1024
.LBB75_9:
	s_or_b64 exec, exec, s[8:9]
	v_or_b32_e32 v2, 0x200, v0
	v_cmp_gt_u32_e64 s[8:9], s52, v2
	v_mov_b32_e32 v15, v1
	s_and_saveexec_b64 s[10:11], s[8:9]
	s_cbranch_execz .LBB75_11
; %bb.10:
	v_lshlrev_b32_e32 v2, 2, v0
	v_mov_b32_e32 v3, s35
	v_add_co_u32_e64 v2, s[4:5], s34, v2
	v_addc_co_u32_e64 v3, s[4:5], 0, v3, s[4:5]
	flat_load_dword v15, v[2:3] offset:2048
.LBB75_11:
	;; [unrolled: 13-line block ×3, first 2 shown]
	s_or_b64 exec, exec, s[12:13]
	v_or_b32_e32 v2, 0x400, v0
	v_cmp_gt_u32_e64 s[12:13], s52, v2
	v_lshlrev_b32_e32 v2, 2, v2
	v_mov_b32_e32 v17, v1
	s_and_saveexec_b64 s[14:15], s[12:13]
	s_cbranch_execz .LBB75_15
; %bb.14:
	v_mov_b32_e32 v3, s35
	v_add_co_u32_e64 v4, s[4:5], s34, v2
	v_addc_co_u32_e64 v5, s[4:5], 0, v3, s[4:5]
	flat_load_dword v17, v[4:5]
.LBB75_15:
	s_or_b64 exec, exec, s[14:15]
	v_or_b32_e32 v3, 0x500, v0
	v_cmp_gt_u32_e64 s[14:15], s52, v3
	v_lshlrev_b32_e32 v3, 2, v3
	v_mov_b32_e32 v18, v1
	s_and_saveexec_b64 s[16:17], s[14:15]
	s_cbranch_execz .LBB75_17
; %bb.16:
	v_mov_b32_e32 v5, s35
	v_add_co_u32_e64 v4, s[4:5], s34, v3
	v_addc_co_u32_e64 v5, s[4:5], 0, v5, s[4:5]
	flat_load_dword v18, v[4:5]
.LBB75_17:
	;; [unrolled: 13-line block ×9, first 2 shown]
	s_or_b64 exec, exec, s[30:31]
	v_or_b32_e32 v11, 0xd00, v0
	v_cmp_gt_u32_e64 s[30:31], s52, v11
	v_lshlrev_b32_e32 v11, 2, v11
	s_and_saveexec_b64 s[42:43], s[30:31]
	s_cbranch_execz .LBB75_33
; %bb.32:
	v_mov_b32_e32 v1, s35
	v_add_co_u32_e64 v26, s[4:5], s34, v11
	v_addc_co_u32_e64 v27, s[4:5], 0, v1, s[4:5]
	flat_load_dword v1, v[26:27]
.LBB75_33:
	s_or_b64 exec, exec, s[42:43]
	v_lshlrev_b32_e32 v12, 2, v0
	s_waitcnt vmcnt(0) lgkmcnt(0)
	ds_write2st64_b32 v12, v13, v14 offset1:4
	ds_write2st64_b32 v12, v15, v16 offset0:8 offset1:12
	ds_write2st64_b32 v12, v17, v18 offset0:16 offset1:20
	;; [unrolled: 1-line block ×6, first 2 shown]
	v_mad_u32_u24 v1, v0, 52, v12
	s_waitcnt lgkmcnt(0)
	s_barrier
	ds_read2_b64 v[26:29], v1 offset0:4 offset1:5
	ds_read_b64 v[42:43], v1 offset:48
	ds_read2_b64 v[34:37], v1 offset1:1
	ds_read2_b64 v[30:33], v1 offset0:2 offset1:3
	s_movk_i32 s4, 0xffcc
	v_mad_i32_i24 v13, v0, s4, v1
	s_waitcnt lgkmcnt(2)
	ds_write_b32 v13, v43 offset:14336
	s_waitcnt lgkmcnt(0)
	s_barrier
	s_barrier
	s_waitcnt lgkmcnt(0)
                                        ; implicit-def: $vgpr13
	s_and_saveexec_b64 s[4:5], vcc
	s_cbranch_execz .LBB75_109
; %bb.34:
	v_mov_b32_e32 v13, s45
	v_add_co_u32_e32 v14, vcc, s44, v12
	v_addc_co_u32_e32 v15, vcc, 0, v13, vcc
	flat_load_dword v13, v[14:15]
	s_or_b64 exec, exec, s[4:5]
                                        ; implicit-def: $vgpr14
	s_and_saveexec_b64 s[4:5], s[6:7]
	s_cbranch_execnz .LBB75_110
.LBB75_35:
	s_or_b64 exec, exec, s[4:5]
                                        ; implicit-def: $vgpr15
	s_and_saveexec_b64 s[4:5], s[8:9]
	s_cbranch_execz .LBB75_111
.LBB75_36:
	v_mov_b32_e32 v15, s45
	v_add_co_u32_e32 v16, vcc, s44, v12
	v_addc_co_u32_e32 v17, vcc, 0, v15, vcc
	flat_load_dword v15, v[16:17] offset:2048
	s_or_b64 exec, exec, s[4:5]
                                        ; implicit-def: $vgpr16
	s_and_saveexec_b64 s[4:5], s[10:11]
	s_cbranch_execnz .LBB75_112
.LBB75_37:
	s_or_b64 exec, exec, s[4:5]
                                        ; implicit-def: $vgpr17
	s_and_saveexec_b64 s[4:5], s[12:13]
	s_cbranch_execz .LBB75_113
.LBB75_38:
	v_mov_b32_e32 v17, s45
	v_add_co_u32_e32 v18, vcc, s44, v2
	v_addc_co_u32_e32 v19, vcc, 0, v17, vcc
	flat_load_dword v17, v[18:19]
	s_or_b64 exec, exec, s[4:5]
                                        ; implicit-def: $vgpr2
	s_and_saveexec_b64 s[4:5], s[14:15]
	s_cbranch_execnz .LBB75_114
.LBB75_39:
	s_or_b64 exec, exec, s[4:5]
                                        ; implicit-def: $vgpr3
	s_and_saveexec_b64 s[4:5], s[16:17]
	s_cbranch_execz .LBB75_115
.LBB75_40:
	v_mov_b32_e32 v3, s45
	v_add_co_u32_e32 v18, vcc, s44, v4
	v_addc_co_u32_e32 v19, vcc, 0, v3, vcc
	flat_load_dword v3, v[18:19]
	s_or_b64 exec, exec, s[4:5]
                                        ; implicit-def: $vgpr4
	s_and_saveexec_b64 s[4:5], s[18:19]
	s_cbranch_execnz .LBB75_116
.LBB75_41:
	s_or_b64 exec, exec, s[4:5]
                                        ; implicit-def: $vgpr5
	s_and_saveexec_b64 s[4:5], s[20:21]
	s_cbranch_execz .LBB75_117
.LBB75_42:
	v_mov_b32_e32 v5, s45
	v_add_co_u32_e32 v18, vcc, s44, v6
	v_addc_co_u32_e32 v19, vcc, 0, v5, vcc
	flat_load_dword v5, v[18:19]
	s_or_b64 exec, exec, s[4:5]
                                        ; implicit-def: $vgpr6
	s_and_saveexec_b64 s[4:5], s[22:23]
	s_cbranch_execnz .LBB75_118
.LBB75_43:
	s_or_b64 exec, exec, s[4:5]
                                        ; implicit-def: $vgpr7
	s_and_saveexec_b64 s[4:5], s[24:25]
	s_cbranch_execz .LBB75_119
.LBB75_44:
	v_mov_b32_e32 v7, s45
	v_add_co_u32_e32 v18, vcc, s44, v8
	v_addc_co_u32_e32 v19, vcc, 0, v7, vcc
	flat_load_dword v7, v[18:19]
	s_or_b64 exec, exec, s[4:5]
                                        ; implicit-def: $vgpr8
	s_and_saveexec_b64 s[4:5], s[26:27]
	s_cbranch_execnz .LBB75_120
.LBB75_45:
	s_or_b64 exec, exec, s[4:5]
                                        ; implicit-def: $vgpr9
	s_and_saveexec_b64 s[4:5], s[28:29]
	s_cbranch_execz .LBB75_47
.LBB75_46:
	v_mov_b32_e32 v9, s45
	v_add_co_u32_e32 v18, vcc, s44, v10
	v_addc_co_u32_e32 v19, vcc, 0, v9, vcc
	flat_load_dword v9, v[18:19]
.LBB75_47:
	s_or_b64 exec, exec, s[4:5]
	v_mul_u32_u24_e32 v44, 14, v0
                                        ; implicit-def: $vgpr10
	s_and_saveexec_b64 s[4:5], s[30:31]
	s_cbranch_execz .LBB75_49
; %bb.48:
	v_mov_b32_e32 v18, s45
	v_add_co_u32_e32 v10, vcc, s44, v11
	v_addc_co_u32_e32 v11, vcc, 0, v18, vcc
	flat_load_dword v10, v[10:11]
.LBB75_49:
	s_or_b64 exec, exec, s[4:5]
	s_mov_b32 s4, 0
	s_mov_b32 s5, s4
	s_waitcnt vmcnt(0) lgkmcnt(0)
	ds_write2st64_b32 v12, v13, v14 offset1:4
	ds_write2st64_b32 v12, v15, v16 offset0:8 offset1:12
	ds_write2st64_b32 v12, v17, v2 offset0:16 offset1:20
	ds_write2st64_b32 v12, v3, v4 offset0:24 offset1:28
	ds_write2st64_b32 v12, v5, v6 offset0:32 offset1:36
	ds_write2st64_b32 v12, v7, v8 offset0:40 offset1:44
	ds_write2st64_b32 v12, v9, v10 offset0:48 offset1:52
	s_mov_b32 s6, s4
	s_mov_b32 s7, s4
	;; [unrolled: 1-line block ×6, first 2 shown]
	v_pk_mov_b32 v[2:3], s[4:5], s[4:5] op_sel:[0,1]
	v_pk_mov_b32 v[8:9], s[10:11], s[10:11] op_sel:[0,1]
	;; [unrolled: 1-line block ×6, first 2 shown]
	v_cmp_gt_u32_e32 vcc, s52, v44
	s_mov_b64 s[12:13], 0
	v_pk_mov_b32 v[38:39], 0, 0
	s_mov_b64 s[16:17], 0
	v_pk_mov_b32 v[14:15], v[6:7], v[6:7] op_sel:[0,1]
	v_pk_mov_b32 v[12:13], v[4:5], v[4:5] op_sel:[0,1]
	;; [unrolled: 1-line block ×6, first 2 shown]
	s_waitcnt lgkmcnt(0)
	s_barrier
	s_waitcnt lgkmcnt(0)
                                        ; implicit-def: $vgpr45
	s_and_saveexec_b64 s[14:15], vcc
	s_cbranch_execz .LBB75_75
; %bb.50:
	v_or_b32_e32 v2, 1, v44
	ds_read_b32 v38, v1
	v_cmp_ne_u32_e32 vcc, 0, v34
	v_cndmask_b32_e64 v39, 0, 1, vcc
	v_cmp_gt_u32_e32 vcc, s52, v2
	v_pk_mov_b32 v[2:3], s[4:5], s[4:5] op_sel:[0,1]
	v_pk_mov_b32 v[8:9], s[10:11], s[10:11] op_sel:[0,1]
	;; [unrolled: 1-line block ×6, first 2 shown]
	s_mov_b64 s[18:19], 0
	v_pk_mov_b32 v[14:15], v[6:7], v[6:7] op_sel:[0,1]
	v_pk_mov_b32 v[12:13], v[4:5], v[4:5] op_sel:[0,1]
	;; [unrolled: 1-line block ×6, first 2 shown]
                                        ; implicit-def: $vgpr45
	s_and_saveexec_b64 s[16:17], vcc
	s_cbranch_execz .LBB75_74
; %bb.51:
	ds_read2_b32 v[40:41], v1 offset0:1 offset1:2
	s_mov_b32 s10, s4
	s_mov_b32 s11, s4
	;; [unrolled: 1-line block ×7, first 2 shown]
	v_pk_mov_b32 v[16:17], s[10:11], s[10:11] op_sel:[0,1]
	v_add_u32_e32 v2, 2, v44
	v_cmp_ne_u32_e32 vcc, 0, v35
	v_mov_b32_e32 v6, 0
	v_pk_mov_b32 v[14:15], s[8:9], s[8:9] op_sel:[0,1]
	v_pk_mov_b32 v[12:13], s[6:7], s[6:7] op_sel:[0,1]
	;; [unrolled: 1-line block ×4, first 2 shown]
	v_cndmask_b32_e64 v3, 0, 1, vcc
	v_cmp_gt_u32_e32 vcc, s52, v2
	s_waitcnt lgkmcnt(0)
	v_mov_b32_e32 v2, v40
	v_mov_b32_e32 v4, v6
	;; [unrolled: 1-line block ×6, first 2 shown]
	s_mov_b64 s[20:21], 0
	v_pk_mov_b32 v[22:23], v[14:15], v[14:15] op_sel:[0,1]
	v_pk_mov_b32 v[20:21], v[12:13], v[12:13] op_sel:[0,1]
	;; [unrolled: 1-line block ×3, first 2 shown]
                                        ; implicit-def: $vgpr45
	s_and_saveexec_b64 s[18:19], vcc
	s_cbranch_execz .LBB75_73
; %bb.52:
	v_pk_mov_b32 v[16:17], s[10:11], s[10:11] op_sel:[0,1]
	v_add_u32_e32 v2, 3, v44
	v_cmp_ne_u32_e32 vcc, 0, v36
	v_pk_mov_b32 v[14:15], s[8:9], s[8:9] op_sel:[0,1]
	v_pk_mov_b32 v[12:13], s[6:7], s[6:7] op_sel:[0,1]
	v_pk_mov_b32 v[10:11], s[4:5], s[4:5] op_sel:[0,1]
	v_pk_mov_b32 v[24:25], v[16:17], v[16:17] op_sel:[0,1]
	v_cndmask_b32_e64 v5, 0, 1, vcc
	v_cmp_gt_u32_e32 vcc, s52, v2
	v_mov_b32_e32 v2, v40
	v_mov_b32_e32 v4, v41
	;; [unrolled: 1-line block ×5, first 2 shown]
	s_mov_b64 s[22:23], 0
	v_pk_mov_b32 v[22:23], v[14:15], v[14:15] op_sel:[0,1]
	v_pk_mov_b32 v[20:21], v[12:13], v[12:13] op_sel:[0,1]
	;; [unrolled: 1-line block ×3, first 2 shown]
                                        ; implicit-def: $vgpr45
	s_and_saveexec_b64 s[20:21], vcc
	s_cbranch_execz .LBB75_72
; %bb.53:
	ds_read2_b32 v[34:35], v1 offset0:3 offset1:4
	s_mov_b32 s10, s4
	s_mov_b32 s11, s4
	;; [unrolled: 1-line block ×7, first 2 shown]
	v_pk_mov_b32 v[16:17], s[10:11], s[10:11] op_sel:[0,1]
	v_add_u32_e32 v6, 4, v44
	v_cmp_ne_u32_e32 vcc, 0, v37
	v_pk_mov_b32 v[14:15], s[8:9], s[8:9] op_sel:[0,1]
	v_pk_mov_b32 v[12:13], s[6:7], s[6:7] op_sel:[0,1]
	;; [unrolled: 1-line block ×4, first 2 shown]
	v_cndmask_b32_e64 v7, 0, 1, vcc
	v_cmp_gt_u32_e32 vcc, s52, v6
	s_waitcnt lgkmcnt(0)
	v_mov_b32_e32 v6, v34
	v_mov_b32_e32 v8, s4
	;; [unrolled: 1-line block ×3, first 2 shown]
	s_mov_b64 s[24:25], 0
	v_pk_mov_b32 v[22:23], v[14:15], v[14:15] op_sel:[0,1]
	v_pk_mov_b32 v[20:21], v[12:13], v[12:13] op_sel:[0,1]
	;; [unrolled: 1-line block ×3, first 2 shown]
                                        ; implicit-def: $vgpr45
	s_and_saveexec_b64 s[22:23], vcc
	s_cbranch_execz .LBB75_71
; %bb.54:
	v_pk_mov_b32 v[16:17], s[10:11], s[10:11] op_sel:[0,1]
	v_add_u32_e32 v8, 5, v44
	v_cmp_ne_u32_e32 vcc, 0, v30
	v_pk_mov_b32 v[14:15], s[8:9], s[8:9] op_sel:[0,1]
	v_pk_mov_b32 v[12:13], s[6:7], s[6:7] op_sel:[0,1]
	;; [unrolled: 1-line block ×4, first 2 shown]
	v_cndmask_b32_e64 v9, 0, 1, vcc
	v_cmp_gt_u32_e32 vcc, s52, v8
	v_mov_b32_e32 v8, v35
	s_mov_b64 s[26:27], 0
	v_pk_mov_b32 v[22:23], v[14:15], v[14:15] op_sel:[0,1]
	v_pk_mov_b32 v[20:21], v[12:13], v[12:13] op_sel:[0,1]
	;; [unrolled: 1-line block ×3, first 2 shown]
                                        ; implicit-def: $vgpr45
	s_and_saveexec_b64 s[24:25], vcc
	s_cbranch_execz .LBB75_70
; %bb.55:
	ds_read2_b32 v[34:35], v1 offset0:5 offset1:6
	s_mov_b32 s10, s4
	s_mov_b32 s11, s4
	v_add_u32_e32 v10, 6, v44
	v_cmp_ne_u32_e32 vcc, 0, v31
	v_mov_b32_e32 v14, 0
	s_mov_b32 s5, s4
	s_mov_b32 s6, s4
	;; [unrolled: 1-line block ×5, first 2 shown]
	v_pk_mov_b32 v[24:25], s[10:11], s[10:11] op_sel:[0,1]
	v_cndmask_b32_e64 v11, 0, 1, vcc
	v_cmp_gt_u32_e32 vcc, s52, v10
	s_waitcnt lgkmcnt(0)
	v_mov_b32_e32 v10, v34
	v_mov_b32_e32 v12, v14
	;; [unrolled: 1-line block ×6, first 2 shown]
	s_mov_b64 s[28:29], 0
	v_pk_mov_b32 v[22:23], s[8:9], s[8:9] op_sel:[0,1]
	v_pk_mov_b32 v[20:21], s[6:7], s[6:7] op_sel:[0,1]
	;; [unrolled: 1-line block ×3, first 2 shown]
                                        ; implicit-def: $vgpr45
	s_and_saveexec_b64 s[26:27], vcc
	s_cbranch_execz .LBB75_69
; %bb.56:
	v_add_u32_e32 v10, 7, v44
	v_cmp_ne_u32_e32 vcc, 0, v32
	v_pk_mov_b32 v[24:25], s[10:11], s[10:11] op_sel:[0,1]
	v_cndmask_b32_e64 v13, 0, 1, vcc
	v_cmp_gt_u32_e32 vcc, s52, v10
	v_mov_b32_e32 v10, v34
	v_mov_b32_e32 v12, v35
	;; [unrolled: 1-line block ×5, first 2 shown]
	s_mov_b64 s[30:31], 0
	v_pk_mov_b32 v[22:23], s[8:9], s[8:9] op_sel:[0,1]
	v_pk_mov_b32 v[20:21], s[6:7], s[6:7] op_sel:[0,1]
	;; [unrolled: 1-line block ×3, first 2 shown]
                                        ; implicit-def: $vgpr45
	s_and_saveexec_b64 s[28:29], vcc
	s_cbranch_execz .LBB75_68
; %bb.57:
	ds_read2_b32 v[30:31], v1 offset0:7 offset1:8
	s_mov_b32 s10, s4
	s_mov_b32 s11, s4
	v_add_u32_e32 v14, 8, v44
	v_cmp_ne_u32_e32 vcc, 0, v33
	s_mov_b32 s5, s4
	s_mov_b32 s6, s4
	s_mov_b32 s7, s4
	s_mov_b32 s8, s4
	s_mov_b32 s9, s4
	v_pk_mov_b32 v[24:25], s[10:11], s[10:11] op_sel:[0,1]
	v_cndmask_b32_e64 v15, 0, 1, vcc
	v_cmp_gt_u32_e32 vcc, s52, v14
	s_waitcnt lgkmcnt(0)
	v_mov_b32_e32 v14, v30
	v_mov_b32_e32 v16, s4
	;; [unrolled: 1-line block ×3, first 2 shown]
	s_mov_b64 s[42:43], 0
	v_pk_mov_b32 v[22:23], s[8:9], s[8:9] op_sel:[0,1]
	v_pk_mov_b32 v[20:21], s[6:7], s[6:7] op_sel:[0,1]
	;; [unrolled: 1-line block ×3, first 2 shown]
                                        ; implicit-def: $vgpr45
	s_and_saveexec_b64 s[30:31], vcc
	s_cbranch_execz .LBB75_67
; %bb.58:
	v_add_u32_e32 v16, 9, v44
	v_cmp_ne_u32_e32 vcc, 0, v26
	v_pk_mov_b32 v[24:25], s[10:11], s[10:11] op_sel:[0,1]
	v_cndmask_b32_e64 v17, 0, 1, vcc
	v_cmp_gt_u32_e32 vcc, s52, v16
	v_mov_b32_e32 v16, v31
	v_pk_mov_b32 v[22:23], s[8:9], s[8:9] op_sel:[0,1]
	v_pk_mov_b32 v[20:21], s[6:7], s[6:7] op_sel:[0,1]
	;; [unrolled: 1-line block ×3, first 2 shown]
                                        ; implicit-def: $vgpr45
	s_and_saveexec_b64 s[4:5], vcc
	s_cbranch_execz .LBB75_66
; %bb.59:
	ds_read2_b32 v[30:31], v1 offset0:9 offset1:10
	v_add_u32_e32 v18, 10, v44
	v_cmp_ne_u32_e32 vcc, 0, v27
	v_mov_b32_e32 v22, 0
	v_cndmask_b32_e64 v19, 0, 1, vcc
	v_cmp_gt_u32_e32 vcc, s52, v18
	s_waitcnt lgkmcnt(0)
	v_mov_b32_e32 v18, v30
	v_mov_b32_e32 v20, v22
	;; [unrolled: 1-line block ×6, first 2 shown]
	s_mov_b64 s[8:9], 0
                                        ; implicit-def: $vgpr45
	s_and_saveexec_b64 s[6:7], vcc
	s_cbranch_execz .LBB75_65
; %bb.60:
	v_add_u32_e32 v18, 11, v44
	v_cmp_ne_u32_e32 vcc, 0, v28
	v_cndmask_b32_e64 v21, 0, 1, vcc
	v_cmp_gt_u32_e32 vcc, s52, v18
	v_mov_b32_e32 v18, v30
	v_mov_b32_e32 v20, v31
	;; [unrolled: 1-line block ×5, first 2 shown]
	s_mov_b64 s[10:11], 0
                                        ; implicit-def: $vgpr45
	s_and_saveexec_b64 s[8:9], vcc
	s_cbranch_execz .LBB75_64
; %bb.61:
	ds_read2_b32 v[26:27], v1 offset0:11 offset1:12
	s_mov_b32 s10, 0
	v_add_u32_e32 v22, 12, v44
	v_cmp_ne_u32_e32 vcc, 0, v29
	v_cndmask_b32_e64 v23, 0, 1, vcc
	v_cmp_gt_u32_e32 vcc, s52, v22
	s_waitcnt lgkmcnt(0)
	v_mov_b32_e32 v22, v26
	v_mov_b32_e32 v24, s10
	;; [unrolled: 1-line block ×3, first 2 shown]
	s_mov_b64 s[10:11], 0
                                        ; implicit-def: $vgpr45
	s_and_saveexec_b64 s[42:43], vcc
	s_xor_b64 s[42:43], exec, s[42:43]
	s_cbranch_execz .LBB75_63
; %bb.62:
	ds_read_b32 v45, v1 offset:52
	v_add_u32_e32 v1, 13, v44
	v_cmp_ne_u32_e32 vcc, 0, v42
	v_cndmask_b32_e64 v25, 0, 1, vcc
	v_cmp_gt_u32_e32 vcc, s52, v1
	v_mov_b32_e32 v24, v27
	s_and_b64 s[10:11], vcc, exec
.LBB75_63:
	s_or_b64 exec, exec, s[42:43]
	s_and_b64 s[10:11], s[10:11], exec
.LBB75_64:
	s_or_b64 exec, exec, s[8:9]
	s_and_b64 s[8:9], s[10:11], exec
.LBB75_65:
	s_or_b64 exec, exec, s[6:7]
	s_and_b64 s[42:43], s[8:9], exec
.LBB75_66:
	s_or_b64 exec, exec, s[4:5]
	s_and_b64 s[42:43], s[42:43], exec
.LBB75_67:
	s_or_b64 exec, exec, s[30:31]
	s_and_b64 s[30:31], s[42:43], exec
.LBB75_68:
	s_or_b64 exec, exec, s[28:29]
	s_and_b64 s[28:29], s[30:31], exec
.LBB75_69:
	s_or_b64 exec, exec, s[26:27]
	s_and_b64 s[26:27], s[28:29], exec
.LBB75_70:
	s_or_b64 exec, exec, s[24:25]
	s_and_b64 s[24:25], s[26:27], exec
.LBB75_71:
	s_or_b64 exec, exec, s[22:23]
	s_and_b64 s[22:23], s[24:25], exec
.LBB75_72:
	s_or_b64 exec, exec, s[20:21]
	s_and_b64 s[20:21], s[22:23], exec
.LBB75_73:
	s_or_b64 exec, exec, s[18:19]
	s_and_b64 s[18:19], s[20:21], exec
.LBB75_74:
	s_or_b64 exec, exec, s[16:17]
	s_and_b64 s[16:17], s[18:19], exec
.LBB75_75:
	s_or_b64 exec, exec, s[14:15]
	s_and_b64 vcc, exec, s[12:13]
	v_lshlrev_b32_e32 v50, 2, v0
	s_cbranch_vccnz .LBB75_77
	s_branch .LBB75_78
.LBB75_76:
	s_mov_b64 s[16:17], 0
                                        ; implicit-def: $vgpr2_vgpr3_vgpr4_vgpr5_vgpr6_vgpr7_vgpr8_vgpr9
                                        ; implicit-def: $vgpr10_vgpr11_vgpr12_vgpr13_vgpr14_vgpr15_vgpr16_vgpr17
                                        ; implicit-def: $vgpr18_vgpr19_vgpr20_vgpr21_vgpr22_vgpr23_vgpr24_vgpr25
                                        ; implicit-def: $vgpr43
                                        ; implicit-def: $vgpr45
                                        ; implicit-def: $vgpr38_vgpr39
	s_and_b64 vcc, exec, s[12:13]
	v_lshlrev_b32_e32 v50, 2, v0
	s_cbranch_vccz .LBB75_78
.LBB75_77:
	v_mov_b32_e32 v1, s35
	v_add_co_u32_e32 v2, vcc, s34, v50
	v_addc_co_u32_e32 v3, vcc, 0, v1, vcc
	v_add_co_u32_e32 v4, vcc, 0x1000, v2
	v_addc_co_u32_e32 v5, vcc, 0, v3, vcc
	flat_load_dword v1, v[2:3]
	flat_load_dword v10, v[2:3] offset:1024
	flat_load_dword v11, v[2:3] offset:2048
	;; [unrolled: 1-line block ×3, first 2 shown]
	flat_load_dword v13, v[4:5]
	flat_load_dword v14, v[4:5] offset:1024
	flat_load_dword v15, v[4:5] offset:2048
	;; [unrolled: 1-line block ×3, first 2 shown]
	v_add_co_u32_e32 v4, vcc, 0x2000, v2
	v_addc_co_u32_e32 v5, vcc, 0, v3, vcc
	v_add_co_u32_e32 v2, vcc, 0x3000, v2
	v_addc_co_u32_e32 v3, vcc, 0, v3, vcc
	flat_load_dword v17, v[4:5]
	flat_load_dword v18, v[4:5] offset:1024
	flat_load_dword v19, v[4:5] offset:2048
	;; [unrolled: 1-line block ×3, first 2 shown]
	flat_load_dword v21, v[2:3]
	flat_load_dword v22, v[2:3] offset:1024
	v_mov_b32_e32 v3, s45
	v_add_co_u32_e32 v2, vcc, s44, v50
	s_movk_i32 s4, 0x1000
	v_addc_co_u32_e32 v3, vcc, 0, v3, vcc
	v_add_co_u32_e32 v4, vcc, s4, v2
	s_movk_i32 s5, 0x2000
	v_addc_co_u32_e32 v5, vcc, 0, v3, vcc
	v_add_co_u32_e32 v6, vcc, s5, v2
	s_movk_i32 s6, 0x3000
	v_mad_u32_u24 v36, v0, 52, v50
	s_movk_i32 s7, 0xffcc
	v_addc_co_u32_e32 v7, vcc, 0, v3, vcc
	v_mad_i32_i24 v26, v0, s7, v36
	v_add_co_u32_e32 v8, vcc, s6, v2
	v_addc_co_u32_e32 v9, vcc, 0, v3, vcc
	s_or_b64 s[16:17], s[16:17], exec
                                        ; implicit-def: $sgpr12_sgpr13
	s_waitcnt vmcnt(0) lgkmcnt(0)
	ds_write2st64_b32 v50, v1, v10 offset1:4
	ds_write2st64_b32 v50, v11, v12 offset0:8 offset1:12
	ds_write2st64_b32 v50, v13, v14 offset0:16 offset1:20
	;; [unrolled: 1-line block ×6, first 2 shown]
	s_waitcnt lgkmcnt(0)
	s_barrier
	ds_read2_b32 v[42:43], v36 offset1:13
	ds_read2_b32 v[18:19], v36 offset0:9 offset1:10
	ds_read2_b32 v[20:21], v36 offset0:11 offset1:12
	ds_read2_b32 v[10:11], v36 offset0:7 offset1:8
	ds_read2_b32 v[22:23], v36 offset0:1 offset1:2
	ds_read2_b32 v[12:13], v36 offset0:5 offset1:6
	ds_read2_b32 v[24:25], v36 offset0:3 offset1:4
	s_waitcnt lgkmcnt(6)
	ds_write_b32 v26, v43 offset:14336
	s_waitcnt lgkmcnt(0)
	s_barrier
	s_barrier
	flat_load_dword v1, v[2:3]
	flat_load_dword v14, v[2:3] offset:1024
	flat_load_dword v16, v[2:3] offset:2048
	flat_load_dword v26, v[2:3] offset:3072
	flat_load_dword v27, v[4:5]
	flat_load_dword v28, v[4:5] offset:1024
	flat_load_dword v29, v[4:5] offset:2048
	flat_load_dword v30, v[4:5] offset:3072
	flat_load_dword v31, v[6:7]
	flat_load_dword v32, v[6:7] offset:1024
	flat_load_dword v33, v[6:7] offset:2048
	flat_load_dword v34, v[6:7] offset:3072
	flat_load_dword v35, v[8:9]
	flat_load_dword v37, v[8:9] offset:1024
	v_cmp_ne_u32_e32 vcc, 0, v42
	v_cndmask_b32_e64 v39, 0, 1, vcc
	v_cmp_ne_u32_e32 vcc, 0, v11
	v_cndmask_b32_e64 v17, 0, 1, vcc
	;; [unrolled: 2-line block ×13, first 2 shown]
	s_waitcnt vmcnt(0) lgkmcnt(0)
	ds_write2st64_b32 v50, v1, v14 offset1:4
	ds_write2st64_b32 v50, v16, v26 offset0:8 offset1:12
	ds_write2st64_b32 v50, v27, v28 offset0:16 offset1:20
	;; [unrolled: 1-line block ×6, first 2 shown]
	s_waitcnt lgkmcnt(0)
	s_barrier
	ds_read2_b32 v[26:27], v36 offset0:7 offset1:8
	ds_read2_b32 v[28:29], v36 offset0:5 offset1:6
	;; [unrolled: 1-line block ×4, first 2 shown]
	ds_read2_b32 v[44:45], v36 offset1:13
	ds_read2_b32 v[34:35], v36 offset0:11 offset1:12
	ds_read2_b32 v[36:37], v36 offset0:9 offset1:10
	s_waitcnt lgkmcnt(5)
	v_mov_b32_e32 v10, v28
	s_waitcnt lgkmcnt(4)
	v_mov_b32_e32 v6, v30
	;; [unrolled: 2-line block ×4, first 2 shown]
	v_mov_b32_e32 v4, v33
	v_mov_b32_e32 v8, v31
	;; [unrolled: 1-line block ×5, first 2 shown]
	s_waitcnt lgkmcnt(0)
	v_mov_b32_e32 v18, v36
	v_mov_b32_e32 v20, v37
	;; [unrolled: 1-line block ×4, first 2 shown]
.LBB75_78:
	v_pk_mov_b32 v[40:41], s[12:13], s[12:13] op_sel:[0,1]
	s_and_saveexec_b64 s[4:5], s[16:17]
	s_cbranch_execz .LBB75_80
; %bb.79:
	v_cmp_ne_u32_e32 vcc, 0, v43
	v_cndmask_b32_e64 v41, 0, 1, vcc
	s_waitcnt lgkmcnt(0)
	v_mov_b32_e32 v40, v45
.LBB75_80:
	s_or_b64 exec, exec, s[4:5]
	s_mov_b32 s4, 0
	s_cmp_lg_u32 s51, 0
	v_mbcnt_lo_u32_b32 v52, -1, 0
	v_lshrrev_b32_e32 v1, 6, v0
	v_or_b32_e32 v51, 63, v0
	s_waitcnt lgkmcnt(0)
	s_barrier
	s_cbranch_scc0 .LBB75_121
; %bb.81:
	s_mov_b32 s5, 1
	v_cmp_gt_u64_e64 s[6:7], s[4:5], v[2:3]
	v_cndmask_b32_e64 v27, 0, v38, s[6:7]
	v_add_u32_e32 v27, v27, v2
	v_cmp_gt_u64_e64 s[8:9], s[4:5], v[4:5]
	v_cndmask_b32_e64 v27, 0, v27, s[8:9]
	v_add_u32_e32 v27, v27, v4
	;; [unrolled: 3-line block ×13, first 2 shown]
	v_or3_b32 v27, v41, v25, v23
	v_or3_b32 v27, v27, v21, v19
	;; [unrolled: 1-line block ×6, first 2 shown]
	v_mov_b32_e32 v26, 0
	v_and_b32_e32 v27, 1, v27
	v_cmp_eq_u64_e32 vcc, 0, v[26:27]
	v_cndmask_b32_e32 v26, 1, v39, vcc
	v_mbcnt_hi_u32_b32 v46, -1, v52
	v_mov_b32_dpp v29, v28 row_shr:1 row_mask:0xf bank_mask:0xf
	v_mov_b32_dpp v30, v26 row_shr:1 row_mask:0xf bank_mask:0xf
	v_cmp_eq_u32_e32 vcc, 0, v26
	v_and_b32_e32 v31, 1, v26
	v_and_b32_e32 v27, 15, v46
	v_cndmask_b32_e32 v29, 0, v29, vcc
	v_and_b32_e32 v30, 1, v30
	v_cmp_eq_u32_e32 vcc, 1, v31
	v_cndmask_b32_e64 v30, v30, 1, vcc
	v_cmp_eq_u32_e32 vcc, 0, v27
	v_cndmask_b32_e32 v26, v30, v26, vcc
	v_and_b32_e32 v31, 1, v26
	v_cmp_eq_u32_e64 s[4:5], 1, v31
	v_mov_b32_dpp v30, v26 row_shr:2 row_mask:0xf bank_mask:0xf
	v_and_b32_e32 v30, 1, v30
	v_cndmask_b32_e64 v30, v30, 1, s[4:5]
	v_cmp_lt_u32_e64 s[4:5], 1, v27
	v_cndmask_b32_e64 v29, v29, 0, vcc
	v_cmp_eq_u32_e32 vcc, 0, v26
	v_cndmask_b32_e64 v26, v26, v30, s[4:5]
	v_add_u32_e32 v28, v29, v28
	v_and_b32_e32 v31, 1, v26
	v_mov_b32_dpp v30, v26 row_shr:4 row_mask:0xf bank_mask:0xf
	v_mov_b32_dpp v29, v28 row_shr:2 row_mask:0xf bank_mask:0xf
	s_and_b64 vcc, s[4:5], vcc
	v_and_b32_e32 v30, 1, v30
	v_cmp_eq_u32_e64 s[4:5], 1, v31
	v_cndmask_b32_e32 v29, 0, v29, vcc
	v_cndmask_b32_e64 v30, v30, 1, s[4:5]
	v_cmp_lt_u32_e64 s[4:5], 3, v27
	v_add_u32_e32 v28, v29, v28
	v_cmp_eq_u32_e32 vcc, 0, v26
	v_cndmask_b32_e64 v26, v26, v30, s[4:5]
	v_mov_b32_dpp v29, v28 row_shr:4 row_mask:0xf bank_mask:0xf
	s_and_b64 vcc, s[4:5], vcc
	v_mov_b32_dpp v30, v26 row_shr:8 row_mask:0xf bank_mask:0xf
	v_and_b32_e32 v31, 1, v26
	v_cndmask_b32_e32 v29, 0, v29, vcc
	v_and_b32_e32 v30, 1, v30
	v_cmp_eq_u32_e64 s[4:5], 1, v31
	v_add_u32_e32 v28, v29, v28
	v_cmp_eq_u32_e32 vcc, 0, v26
	v_cndmask_b32_e64 v30, v30, 1, s[4:5]
	v_cmp_lt_u32_e64 s[4:5], 7, v27
	v_mov_b32_dpp v29, v28 row_shr:8 row_mask:0xf bank_mask:0xf
	s_and_b64 vcc, s[4:5], vcc
	v_cndmask_b32_e32 v27, 0, v29, vcc
	v_cndmask_b32_e64 v26, v26, v30, s[4:5]
	v_add_u32_e32 v27, v27, v28
	v_cmp_eq_u32_e32 vcc, 0, v26
	v_mov_b32_dpp v29, v26 row_bcast:15 row_mask:0xf bank_mask:0xf
	v_mov_b32_dpp v28, v27 row_bcast:15 row_mask:0xf bank_mask:0xf
	v_and_b32_e32 v32, 1, v26
	v_and_b32_e32 v31, 16, v46
	v_cndmask_b32_e32 v28, 0, v28, vcc
	v_and_b32_e32 v29, 1, v29
	v_cmp_eq_u32_e32 vcc, 1, v32
	v_bfe_i32 v30, v46, 4, 1
	v_cndmask_b32_e64 v29, v29, 1, vcc
	v_cmp_eq_u32_e32 vcc, 0, v31
	v_and_b32_e32 v28, v30, v28
	v_cndmask_b32_e32 v26, v29, v26, vcc
	v_add_u32_e32 v27, v28, v27
	v_and_b32_e32 v30, 1, v26
	v_mov_b32_dpp v28, v26 row_bcast:31 row_mask:0xf bank_mask:0xf
	v_and_b32_e32 v28, 1, v28
	v_cmp_eq_u32_e64 s[4:5], 1, v30
	v_cmp_eq_u32_e32 vcc, 0, v26
	v_cndmask_b32_e64 v28, v28, 1, s[4:5]
	v_cmp_lt_u32_e64 s[4:5], 31, v46
	v_mov_b32_dpp v29, v27 row_bcast:31 row_mask:0xf bank_mask:0xf
	s_and_b64 vcc, s[4:5], vcc
	v_cndmask_b32_e64 v28, v26, v28, s[4:5]
	v_cndmask_b32_e32 v26, 0, v29, vcc
	v_add_u32_e32 v29, v26, v27
	v_cmp_eq_u32_e32 vcc, v51, v0
	s_and_saveexec_b64 s[4:5], vcc
	s_cbranch_execz .LBB75_83
; %bb.82:
	v_lshlrev_b32_e32 v26, 3, v1
	ds_write_b32 v26, v29
	ds_write_b8 v26, v28 offset:4
.LBB75_83:
	s_or_b64 exec, exec, s[4:5]
	v_cmp_gt_u32_e32 vcc, 4, v0
	s_waitcnt lgkmcnt(0)
	s_barrier
	s_and_saveexec_b64 s[4:5], vcc
	s_cbranch_execz .LBB75_87
; %bb.84:
	v_lshlrev_b32_e32 v30, 3, v0
	ds_read_b64 v[26:27], v30
	v_and_b32_e32 v31, 3, v46
	v_cmp_ne_u32_e32 vcc, 0, v31
	s_waitcnt lgkmcnt(0)
	v_mov_b32_dpp v32, v26 row_shr:1 row_mask:0xf bank_mask:0xf
	v_mov_b32_dpp v34, v27 row_shr:1 row_mask:0xf bank_mask:0xf
	v_mov_b32_e32 v33, v27
	s_and_saveexec_b64 s[34:35], vcc
	s_cbranch_execz .LBB75_86
; %bb.85:
	v_and_b32_e32 v33, 1, v27
	v_and_b32_e32 v34, 1, v34
	v_cmp_eq_u32_e32 vcc, 1, v33
	v_mov_b32_e32 v33, 0
	v_cndmask_b32_e64 v34, v34, 1, vcc
	v_cmp_eq_u16_sdwa vcc, v27, v33 src0_sel:BYTE_0 src1_sel:DWORD
	v_cndmask_b32_e32 v32, 0, v32, vcc
	v_add_u32_e32 v26, v32, v26
	v_and_b32_e32 v32, 0xffff, v34
	s_movk_i32 s42, 0xff00
	v_and_or_b32 v33, v27, s42, v32
	v_mov_b32_e32 v27, v34
.LBB75_86:
	s_or_b64 exec, exec, s[34:35]
	v_mov_b32_dpp v33, v33 row_shr:2 row_mask:0xf bank_mask:0xf
	v_and_b32_e32 v34, 1, v27
	v_and_b32_e32 v33, 1, v33
	v_cmp_eq_u32_e32 vcc, 1, v34
	v_mov_b32_e32 v34, 0
	v_cndmask_b32_e64 v33, v33, 1, vcc
	v_cmp_eq_u16_sdwa s[34:35], v27, v34 src0_sel:BYTE_0 src1_sel:DWORD
	v_cmp_lt_u32_e32 vcc, 1, v31
	v_mov_b32_dpp v32, v26 row_shr:2 row_mask:0xf bank_mask:0xf
	v_cndmask_b32_e32 v27, v27, v33, vcc
	s_and_b64 vcc, vcc, s[34:35]
	v_cndmask_b32_e32 v31, 0, v32, vcc
	v_add_u32_e32 v26, v31, v26
	ds_write_b32 v30, v26
	ds_write_b8 v30, v27 offset:4
.LBB75_87:
	s_or_b64 exec, exec, s[4:5]
	v_cmp_gt_u32_e32 vcc, 64, v0
	v_cmp_lt_u32_e64 s[4:5], 63, v0
	v_mov_b32_e32 v42, 0
	v_mov_b32_e32 v43, 0
	s_waitcnt lgkmcnt(0)
	s_barrier
	s_and_saveexec_b64 s[34:35], s[4:5]
	s_cbranch_execz .LBB75_89
; %bb.88:
	v_lshl_add_u32 v26, v1, 3, -8
	ds_read_b32 v42, v26
	ds_read_u8 v43, v26 offset:4
	v_and_b32_e32 v27, 1, v28
	v_cmp_eq_u32_e64 s[4:5], 0, v28
	s_waitcnt lgkmcnt(1)
	v_cndmask_b32_e64 v26, 0, v42, s[4:5]
	v_cmp_eq_u32_e64 s[4:5], 1, v27
	v_add_u32_e32 v29, v26, v29
	s_waitcnt lgkmcnt(0)
	v_cndmask_b32_e64 v28, v43, 1, s[4:5]
.LBB75_89:
	s_or_b64 exec, exec, s[34:35]
	v_add_u32_e32 v26, -1, v46
	v_and_b32_e32 v27, 64, v46
	v_cmp_lt_i32_e64 s[4:5], v26, v27
	v_cndmask_b32_e64 v26, v26, v46, s[4:5]
	v_lshlrev_b32_e32 v26, 2, v26
	ds_bpermute_b32 v44, v26, v29
	ds_bpermute_b32 v45, v26, v28
	v_cmp_eq_u32_e64 s[34:35], 0, v46
	s_and_saveexec_b64 s[42:43], vcc
	s_cbranch_execz .LBB75_108
; %bb.90:
	v_mov_b32_e32 v29, 0
	ds_read_b64 v[26:27], v29 offset:24
	s_waitcnt lgkmcnt(0)
	v_readfirstlane_b32 s58, v27
	s_and_saveexec_b64 s[4:5], s[34:35]
	s_cbranch_execz .LBB75_92
; %bb.91:
	s_add_i32 s44, s51, 64
	s_mov_b32 s45, 0
	s_lshl_b64 s[52:53], s[44:45], 4
	s_add_u32 s52, s48, s52
	s_addc_u32 s53, s49, s53
	s_and_b32 s61, s58, 0xff000000
	s_mov_b32 s60, s45
	s_and_b32 s63, s58, 0xff0000
	s_mov_b32 s62, s45
	s_or_b64 s[60:61], s[62:63], s[60:61]
	s_and_b32 s63, s58, 0xff00
	s_or_b64 s[60:61], s[60:61], s[62:63]
	s_and_b32 s63, s58, 0xff
	s_or_b64 s[44:45], s[60:61], s[62:63]
	v_mov_b32_e32 v27, s45
	v_mov_b32_e32 v28, 1
	v_pk_mov_b32 v[30:31], s[52:53], s[52:53] op_sel:[0,1]
	;;#ASMSTART
	global_store_dwordx4 v[30:31], v[26:29] off	
s_waitcnt vmcnt(0)
	;;#ASMEND
.LBB75_92:
	s_or_b64 exec, exec, s[4:5]
	v_xad_u32 v34, v46, -1, s51
	v_add_u32_e32 v28, 64, v34
	v_lshlrev_b64 v[30:31], 4, v[28:29]
	v_mov_b32_e32 v27, s49
	v_add_co_u32_e32 v36, vcc, s48, v30
	v_addc_co_u32_e32 v37, vcc, v27, v31, vcc
	;;#ASMSTART
	global_load_dwordx4 v[30:33], v[36:37] off glc	
s_waitcnt vmcnt(0)
	;;#ASMEND
	v_and_b32_e32 v27, 0xff0000, v30
	v_or_b32_sdwa v27, v30, v27 dst_sel:DWORD dst_unused:UNUSED_PAD src0_sel:WORD_0 src1_sel:DWORD
	v_and_b32_e32 v28, 0xff000000, v30
	v_and_b32_e32 v30, 0xff, v31
	v_or3_b32 v31, 0, 0, v30
	v_or3_b32 v30, v27, v28, 0
	v_cmp_eq_u16_sdwa s[44:45], v32, v29 src0_sel:BYTE_0 src1_sel:DWORD
	s_and_saveexec_b64 s[4:5], s[44:45]
	s_cbranch_execz .LBB75_96
; %bb.93:
	s_mov_b64 s[44:45], 0
	v_mov_b32_e32 v27, 0
.LBB75_94:                              ; =>This Inner Loop Header: Depth=1
	;;#ASMSTART
	global_load_dwordx4 v[30:33], v[36:37] off glc	
s_waitcnt vmcnt(0)
	;;#ASMEND
	v_cmp_ne_u16_sdwa s[52:53], v32, v27 src0_sel:BYTE_0 src1_sel:DWORD
	s_or_b64 s[44:45], s[52:53], s[44:45]
	s_andn2_b64 exec, exec, s[44:45]
	s_cbranch_execnz .LBB75_94
; %bb.95:
	s_or_b64 exec, exec, s[44:45]
	v_and_b32_e32 v31, 0xff, v31
.LBB75_96:
	s_or_b64 exec, exec, s[4:5]
	v_mov_b32_e32 v27, 2
	v_cmp_eq_u16_sdwa s[4:5], v32, v27 src0_sel:BYTE_0 src1_sel:DWORD
	v_lshlrev_b64 v[28:29], v46, -1
	v_and_b32_e32 v33, s5, v29
	v_or_b32_e32 v33, 0x80000000, v33
	v_and_b32_e32 v35, s4, v28
	v_ffbl_b32_e32 v33, v33
	v_and_b32_e32 v47, 63, v46
	v_add_u32_e32 v33, 32, v33
	v_ffbl_b32_e32 v35, v35
	v_cmp_ne_u32_e32 vcc, 63, v47
	v_min_u32_e32 v33, v35, v33
	v_addc_co_u32_e32 v35, vcc, 0, v46, vcc
	v_lshlrev_b32_e32 v48, 2, v35
	ds_bpermute_b32 v35, v48, v31
	ds_bpermute_b32 v36, v48, v30
	s_mov_b32 s44, 0
	v_and_b32_e32 v37, 1, v31
	s_mov_b32 s45, 1
	s_waitcnt lgkmcnt(1)
	v_and_b32_e32 v35, 1, v35
	v_cmp_eq_u32_e32 vcc, 1, v37
	v_cndmask_b32_e64 v35, v35, 1, vcc
	v_cmp_gt_u64_e32 vcc, s[44:45], v[30:31]
	v_cmp_lt_u32_e64 s[4:5], v47, v33
	s_and_b64 vcc, s[4:5], vcc
	v_and_b32_e32 v37, 0xffff, v35
	v_cndmask_b32_e64 v54, v31, v35, s[4:5]
	s_waitcnt lgkmcnt(0)
	v_cndmask_b32_e32 v35, 0, v36, vcc
	v_cmp_gt_u32_e32 vcc, 62, v47
	v_cndmask_b32_e64 v36, 0, 1, vcc
	v_lshlrev_b32_e32 v36, 1, v36
	v_cndmask_b32_e64 v31, v31, v37, s[4:5]
	v_add_lshl_u32 v49, v36, v46, 2
	ds_bpermute_b32 v36, v49, v31
	v_add_u32_e32 v30, v35, v30
	ds_bpermute_b32 v37, v49, v30
	v_and_b32_e32 v35, 1, v54
	v_cmp_eq_u32_e32 vcc, 1, v35
	s_waitcnt lgkmcnt(1)
	v_and_b32_e32 v36, 1, v36
	v_mov_b32_e32 v35, 0
	v_add_u32_e32 v53, 2, v47
	v_cndmask_b32_e64 v36, v36, 1, vcc
	v_cmp_eq_u16_sdwa vcc, v54, v35 src0_sel:BYTE_0 src1_sel:DWORD
	v_and_b32_e32 v55, 0xffff, v36
	s_waitcnt lgkmcnt(0)
	v_cndmask_b32_e32 v37, 0, v37, vcc
	v_cmp_gt_u32_e32 vcc, v53, v33
	v_cndmask_b32_e32 v36, v36, v54, vcc
	v_cndmask_b32_e64 v37, v37, 0, vcc
	v_cndmask_b32_e32 v31, v55, v31, vcc
	v_cmp_gt_u32_e32 vcc, 60, v47
	v_cndmask_b32_e64 v54, 0, 1, vcc
	v_lshlrev_b32_e32 v54, 2, v54
	v_add_lshl_u32 v54, v54, v46, 2
	ds_bpermute_b32 v56, v54, v31
	v_add_u32_e32 v30, v37, v30
	ds_bpermute_b32 v37, v54, v30
	v_and_b32_e32 v57, 1, v36
	v_cmp_eq_u32_e32 vcc, 1, v57
	s_waitcnt lgkmcnt(1)
	v_and_b32_e32 v56, 1, v56
	v_add_u32_e32 v55, 4, v47
	v_cndmask_b32_e64 v56, v56, 1, vcc
	v_cmp_eq_u16_sdwa vcc, v36, v35 src0_sel:BYTE_0 src1_sel:DWORD
	v_and_b32_e32 v57, 0xffff, v56
	s_waitcnt lgkmcnt(0)
	v_cndmask_b32_e32 v37, 0, v37, vcc
	v_cmp_gt_u32_e32 vcc, v55, v33
	v_cndmask_b32_e32 v36, v56, v36, vcc
	v_cndmask_b32_e64 v37, v37, 0, vcc
	v_cndmask_b32_e32 v31, v57, v31, vcc
	v_cmp_gt_u32_e32 vcc, 56, v47
	v_cndmask_b32_e64 v56, 0, 1, vcc
	v_lshlrev_b32_e32 v56, 3, v56
	v_add_lshl_u32 v56, v56, v46, 2
	ds_bpermute_b32 v58, v56, v31
	v_add_u32_e32 v30, v37, v30
	ds_bpermute_b32 v37, v56, v30
	v_and_b32_e32 v59, 1, v36
	v_cmp_eq_u32_e32 vcc, 1, v59
	s_waitcnt lgkmcnt(1)
	v_and_b32_e32 v58, 1, v58
	;; [unrolled: 21-line block ×4, first 2 shown]
	v_add_u32_e32 v62, 32, v47
	v_cndmask_b32_e64 v31, v31, 1, vcc
	v_cmp_eq_u16_sdwa vcc, v36, v35 src0_sel:BYTE_0 src1_sel:DWORD
	s_waitcnt lgkmcnt(0)
	v_cndmask_b32_e32 v37, 0, v37, vcc
	v_cmp_gt_u32_e32 vcc, v62, v33
	v_cndmask_b32_e64 v33, v37, 0, vcc
	v_cndmask_b32_e32 v31, v31, v36, vcc
	v_add_u32_e32 v30, v33, v30
	s_branch .LBB75_98
.LBB75_97:                              ;   in Loop: Header=BB75_98 Depth=1
	s_or_b64 exec, exec, s[4:5]
	v_cmp_eq_u16_sdwa s[4:5], v32, v27 src0_sel:BYTE_0 src1_sel:DWORD
	v_and_b32_e32 v33, s5, v29
	ds_bpermute_b32 v37, v48, v31
	v_or_b32_e32 v33, 0x80000000, v33
	v_and_b32_e32 v36, s4, v28
	v_ffbl_b32_e32 v33, v33
	v_add_u32_e32 v33, 32, v33
	v_ffbl_b32_e32 v36, v36
	v_min_u32_e32 v33, v36, v33
	ds_bpermute_b32 v36, v48, v30
	v_and_b32_e32 v63, 1, v31
	s_waitcnt lgkmcnt(1)
	v_and_b32_e32 v37, 1, v37
	v_cmp_eq_u32_e32 vcc, 1, v63
	v_cndmask_b32_e64 v37, v37, 1, vcc
	v_cmp_gt_u64_e32 vcc, s[44:45], v[30:31]
	v_and_b32_e32 v63, 0xffff, v37
	v_cmp_lt_u32_e64 s[4:5], v47, v33
	v_cndmask_b32_e64 v37, v31, v37, s[4:5]
	v_cndmask_b32_e64 v31, v31, v63, s[4:5]
	s_and_b64 vcc, s[4:5], vcc
	ds_bpermute_b32 v63, v49, v31
	s_waitcnt lgkmcnt(1)
	v_cndmask_b32_e32 v36, 0, v36, vcc
	v_add_u32_e32 v30, v36, v30
	ds_bpermute_b32 v36, v49, v30
	v_and_b32_e32 v64, 1, v37
	s_waitcnt lgkmcnt(1)
	v_and_b32_e32 v63, 1, v63
	v_cmp_eq_u32_e32 vcc, 1, v64
	v_cndmask_b32_e64 v63, v63, 1, vcc
	v_cmp_eq_u16_sdwa vcc, v37, v35 src0_sel:BYTE_0 src1_sel:DWORD
	v_and_b32_e32 v64, 0xffff, v63
	s_waitcnt lgkmcnt(0)
	v_cndmask_b32_e32 v36, 0, v36, vcc
	v_cmp_gt_u32_e32 vcc, v53, v33
	v_cndmask_b32_e32 v31, v64, v31, vcc
	v_cndmask_b32_e32 v37, v63, v37, vcc
	ds_bpermute_b32 v63, v54, v31
	v_cndmask_b32_e64 v36, v36, 0, vcc
	v_add_u32_e32 v30, v36, v30
	ds_bpermute_b32 v36, v54, v30
	v_and_b32_e32 v64, 1, v37
	s_waitcnt lgkmcnt(1)
	v_and_b32_e32 v63, 1, v63
	v_cmp_eq_u32_e32 vcc, 1, v64
	v_cndmask_b32_e64 v63, v63, 1, vcc
	v_cmp_eq_u16_sdwa vcc, v37, v35 src0_sel:BYTE_0 src1_sel:DWORD
	v_and_b32_e32 v64, 0xffff, v63
	s_waitcnt lgkmcnt(0)
	v_cndmask_b32_e32 v36, 0, v36, vcc
	v_cmp_gt_u32_e32 vcc, v55, v33
	v_cndmask_b32_e32 v31, v64, v31, vcc
	v_cndmask_b32_e32 v37, v63, v37, vcc
	ds_bpermute_b32 v63, v56, v31
	v_cndmask_b32_e64 v36, v36, 0, vcc
	;; [unrolled: 16-line block ×3, first 2 shown]
	v_add_u32_e32 v30, v36, v30
	ds_bpermute_b32 v36, v58, v30
	v_and_b32_e32 v64, 1, v37
	s_waitcnt lgkmcnt(1)
	v_and_b32_e32 v63, 1, v63
	v_cmp_eq_u32_e32 vcc, 1, v64
	v_cndmask_b32_e64 v63, v63, 1, vcc
	v_cmp_eq_u16_sdwa vcc, v37, v35 src0_sel:BYTE_0 src1_sel:DWORD
	v_and_b32_e32 v64, 0xffff, v63
	s_waitcnt lgkmcnt(0)
	v_cndmask_b32_e32 v36, 0, v36, vcc
	v_cmp_gt_u32_e32 vcc, v59, v33
	v_cndmask_b32_e64 v36, v36, 0, vcc
	v_cndmask_b32_e32 v31, v64, v31, vcc
	ds_bpermute_b32 v31, v61, v31
	v_add_u32_e32 v30, v36, v30
	ds_bpermute_b32 v36, v61, v30
	v_cndmask_b32_e32 v37, v63, v37, vcc
	v_and_b32_e32 v63, 1, v37
	v_cmp_eq_u32_e32 vcc, 1, v63
	s_waitcnt lgkmcnt(1)
	v_cndmask_b32_e64 v31, v31, 1, vcc
	v_cmp_eq_u16_sdwa vcc, v37, v35 src0_sel:BYTE_0 src1_sel:DWORD
	s_waitcnt lgkmcnt(0)
	v_cndmask_b32_e32 v36, 0, v36, vcc
	v_cmp_gt_u32_e32 vcc, v62, v33
	v_cndmask_b32_e64 v33, v36, 0, vcc
	v_cndmask_b32_e32 v31, v31, v37, vcc
	v_add_u32_e32 v30, v33, v30
	v_cmp_eq_u16_sdwa vcc, v46, v35 src0_sel:BYTE_0 src1_sel:DWORD
	v_and_b32_e32 v33, 1, v46
	v_cndmask_b32_e32 v30, 0, v30, vcc
	v_and_b32_e32 v31, 1, v31
	v_cmp_eq_u32_e32 vcc, 1, v33
	v_subrev_u32_e32 v34, 64, v34
	v_add_u32_e32 v30, v30, v60
	v_cndmask_b32_e64 v31, v31, 1, vcc
.LBB75_98:                              ; =>This Loop Header: Depth=1
                                        ;     Child Loop BB75_101 Depth 2
	v_cmp_ne_u16_sdwa s[4:5], v32, v27 src0_sel:BYTE_0 src1_sel:DWORD
	v_mov_b32_e32 v46, v31
	v_cndmask_b32_e64 v31, 0, 1, s[4:5]
	;;#ASMSTART
	;;#ASMEND
	v_cmp_ne_u32_e32 vcc, 0, v31
	s_cmp_lg_u64 vcc, exec
	v_mov_b32_e32 v60, v30
	s_cbranch_scc1 .LBB75_103
; %bb.99:                               ;   in Loop: Header=BB75_98 Depth=1
	v_lshlrev_b64 v[30:31], 4, v[34:35]
	v_mov_b32_e32 v32, s49
	v_add_co_u32_e32 v36, vcc, s48, v30
	v_addc_co_u32_e32 v37, vcc, v32, v31, vcc
	;;#ASMSTART
	global_load_dwordx4 v[30:33], v[36:37] off glc	
s_waitcnt vmcnt(0)
	;;#ASMEND
	v_and_b32_e32 v33, 0xff0000, v30
	v_or_b32_sdwa v33, v30, v33 dst_sel:DWORD dst_unused:UNUSED_PAD src0_sel:WORD_0 src1_sel:DWORD
	v_and_b32_e32 v30, 0xff000000, v30
	v_and_b32_e32 v31, 0xff, v31
	v_or3_b32 v31, 0, 0, v31
	v_or3_b32 v30, v33, v30, 0
	v_cmp_eq_u16_sdwa s[52:53], v32, v35 src0_sel:BYTE_0 src1_sel:DWORD
	s_and_saveexec_b64 s[4:5], s[52:53]
	s_cbranch_execz .LBB75_97
; %bb.100:                              ;   in Loop: Header=BB75_98 Depth=1
	s_mov_b64 s[52:53], 0
.LBB75_101:                             ;   Parent Loop BB75_98 Depth=1
                                        ; =>  This Inner Loop Header: Depth=2
	;;#ASMSTART
	global_load_dwordx4 v[30:33], v[36:37] off glc	
s_waitcnt vmcnt(0)
	;;#ASMEND
	v_cmp_ne_u16_sdwa s[60:61], v32, v35 src0_sel:BYTE_0 src1_sel:DWORD
	s_or_b64 s[52:53], s[60:61], s[52:53]
	s_andn2_b64 exec, exec, s[52:53]
	s_cbranch_execnz .LBB75_101
; %bb.102:                              ;   in Loop: Header=BB75_98 Depth=1
	s_or_b64 exec, exec, s[52:53]
	v_and_b32_e32 v31, 0xff, v31
	s_branch .LBB75_97
.LBB75_103:                             ;   in Loop: Header=BB75_98 Depth=1
                                        ; implicit-def: $vgpr31
                                        ; implicit-def: $vgpr30
                                        ; implicit-def: $vgpr32
	s_cbranch_execz .LBB75_98
; %bb.104:
	s_and_saveexec_b64 s[4:5], s[34:35]
	s_cbranch_execz .LBB75_106
; %bb.105:
	s_and_b32 s44, s58, 0xff
	s_cmp_eq_u32 s44, 0
	s_cselect_b64 vcc, -1, 0
	s_bitcmp1_b32 s58, 0
	s_mov_b32 s45, 0
	s_cselect_b64 s[52:53], -1, 0
	s_add_i32 s44, s51, 64
	s_lshl_b64 s[44:45], s[44:45], 4
	v_cndmask_b32_e32 v27, 0, v60, vcc
	s_add_u32 s44, s48, s44
	v_add_u32_e32 v26, v27, v26
	v_and_b32_e32 v27, 1, v46
	s_addc_u32 s45, s49, s45
	v_mov_b32_e32 v29, 0
	v_cndmask_b32_e64 v27, v27, 1, s[52:53]
	v_mov_b32_e32 v28, 2
	v_pk_mov_b32 v[30:31], s[44:45], s[44:45] op_sel:[0,1]
	;;#ASMSTART
	global_store_dwordx4 v[30:31], v[26:29] off	
s_waitcnt vmcnt(0)
	;;#ASMEND
.LBB75_106:
	s_or_b64 exec, exec, s[4:5]
	s_and_b64 exec, exec, s[0:1]
	s_cbranch_execz .LBB75_108
; %bb.107:
	v_mov_b32_e32 v26, 0
	ds_write_b32 v26, v60 offset:24
	ds_write_b8 v26, v46 offset:28
.LBB75_108:
	s_or_b64 exec, exec, s[42:43]
	s_mov_b32 s4, 0
	v_mov_b32_e32 v28, 0
	s_mov_b32 s5, 1
	s_waitcnt lgkmcnt(0)
	v_cndmask_b32_e64 v26, v45, v43, s[34:35]
	v_cndmask_b32_e64 v27, v44, v42, s[34:35]
	s_barrier
	ds_read_b32 v29, v28 offset:24
	v_cmp_gt_u64_e32 vcc, s[4:5], v[38:39]
	v_and_b32_e32 v30, 1, v39
	v_cndmask_b32_e32 v27, 0, v27, vcc
	v_and_b32_e32 v26, 1, v26
	v_cmp_eq_u32_e32 vcc, 1, v30
	v_cndmask_b32_e64 v26, v26, 1, vcc
	v_cndmask_b32_e64 v26, v26, v39, s[0:1]
	v_cmp_eq_u16_sdwa vcc, v26, v28 src0_sel:BYTE_0 src1_sel:DWORD
	v_cndmask_b32_e64 v27, v27, 0, s[0:1]
	s_waitcnt lgkmcnt(0)
	v_cndmask_b32_e32 v26, 0, v29, vcc
	v_add3_u32 v26, v27, v38, v26
	v_cndmask_b32_e64 v27, 0, v26, s[6:7]
	v_add_u32_e32 v27, v27, v2
	v_cndmask_b32_e64 v28, 0, v27, s[8:9]
	v_add_u32_e32 v42, v28, v4
	;; [unrolled: 2-line block ×13, first 2 shown]
	s_branch .LBB75_137
.LBB75_109:
	s_or_b64 exec, exec, s[4:5]
                                        ; implicit-def: $vgpr14
	s_and_saveexec_b64 s[4:5], s[6:7]
	s_cbranch_execz .LBB75_35
.LBB75_110:
	v_mov_b32_e32 v15, s45
	v_add_co_u32_e32 v14, vcc, s44, v12
	v_addc_co_u32_e32 v15, vcc, 0, v15, vcc
	flat_load_dword v14, v[14:15] offset:1024
	s_or_b64 exec, exec, s[4:5]
                                        ; implicit-def: $vgpr15
	s_and_saveexec_b64 s[4:5], s[8:9]
	s_cbranch_execnz .LBB75_36
.LBB75_111:
	s_or_b64 exec, exec, s[4:5]
                                        ; implicit-def: $vgpr16
	s_and_saveexec_b64 s[4:5], s[10:11]
	s_cbranch_execz .LBB75_37
.LBB75_112:
	v_mov_b32_e32 v17, s45
	v_add_co_u32_e32 v16, vcc, s44, v12
	v_addc_co_u32_e32 v17, vcc, 0, v17, vcc
	flat_load_dword v16, v[16:17] offset:3072
	s_or_b64 exec, exec, s[4:5]
                                        ; implicit-def: $vgpr17
	s_and_saveexec_b64 s[4:5], s[12:13]
	s_cbranch_execnz .LBB75_38
.LBB75_113:
	s_or_b64 exec, exec, s[4:5]
                                        ; implicit-def: $vgpr2
	s_and_saveexec_b64 s[4:5], s[14:15]
	s_cbranch_execz .LBB75_39
.LBB75_114:
	v_mov_b32_e32 v18, s45
	v_add_co_u32_e32 v2, vcc, s44, v3
	v_addc_co_u32_e32 v3, vcc, 0, v18, vcc
	flat_load_dword v2, v[2:3]
	s_or_b64 exec, exec, s[4:5]
                                        ; implicit-def: $vgpr3
	s_and_saveexec_b64 s[4:5], s[16:17]
	s_cbranch_execnz .LBB75_40
.LBB75_115:
	s_or_b64 exec, exec, s[4:5]
                                        ; implicit-def: $vgpr4
	s_and_saveexec_b64 s[4:5], s[18:19]
	s_cbranch_execz .LBB75_41
.LBB75_116:
	v_mov_b32_e32 v18, s45
	v_add_co_u32_e32 v4, vcc, s44, v5
	v_addc_co_u32_e32 v5, vcc, 0, v18, vcc
	flat_load_dword v4, v[4:5]
	s_or_b64 exec, exec, s[4:5]
                                        ; implicit-def: $vgpr5
	s_and_saveexec_b64 s[4:5], s[20:21]
	s_cbranch_execnz .LBB75_42
.LBB75_117:
	s_or_b64 exec, exec, s[4:5]
                                        ; implicit-def: $vgpr6
	s_and_saveexec_b64 s[4:5], s[22:23]
	s_cbranch_execz .LBB75_43
.LBB75_118:
	v_mov_b32_e32 v18, s45
	v_add_co_u32_e32 v6, vcc, s44, v7
	v_addc_co_u32_e32 v7, vcc, 0, v18, vcc
	flat_load_dword v6, v[6:7]
	s_or_b64 exec, exec, s[4:5]
                                        ; implicit-def: $vgpr7
	s_and_saveexec_b64 s[4:5], s[24:25]
	s_cbranch_execnz .LBB75_44
.LBB75_119:
	s_or_b64 exec, exec, s[4:5]
                                        ; implicit-def: $vgpr8
	s_and_saveexec_b64 s[4:5], s[26:27]
	s_cbranch_execz .LBB75_45
.LBB75_120:
	v_mov_b32_e32 v18, s45
	v_add_co_u32_e32 v8, vcc, s44, v9
	v_addc_co_u32_e32 v9, vcc, 0, v18, vcc
	flat_load_dword v8, v[8:9]
	s_or_b64 exec, exec, s[4:5]
                                        ; implicit-def: $vgpr9
	s_and_saveexec_b64 s[4:5], s[28:29]
	s_cbranch_execz .LBB75_47
	s_branch .LBB75_46
.LBB75_121:
                                        ; implicit-def: $vgpr49
                                        ; implicit-def: $vgpr47
                                        ; implicit-def: $vgpr45
                                        ; implicit-def: $vgpr43
                                        ; implicit-def: $vgpr34_vgpr35_vgpr36_vgpr37
                                        ; implicit-def: $vgpr30_vgpr31_vgpr32_vgpr33
                                        ; implicit-def: $vgpr26_vgpr27_vgpr28_vgpr29
	s_cbranch_execz .LBB75_137
; %bb.122:
	s_cmp_lg_u64 s[56:57], 0
	s_cselect_b32 s9, s55, 0
	s_cselect_b32 s8, s54, 0
	s_cmp_lg_u64 s[8:9], 0
	s_cselect_b64 s[6:7], -1, 0
	s_mov_b32 s4, 0
	s_and_b64 s[10:11], s[0:1], s[6:7]
	s_and_saveexec_b64 s[6:7], s[10:11]
	s_cbranch_execz .LBB75_124
; %bb.123:
	v_mov_b32_e32 v26, 0
	global_load_dword v28, v26, s[8:9]
	global_load_ubyte v29, v26, s[8:9] offset:4
	s_mov_b32 s5, 1
	v_and_b32_e32 v27, 1, v39
	v_cmp_gt_u64_e32 vcc, s[4:5], v[38:39]
	s_waitcnt vmcnt(1)
	v_cndmask_b32_e32 v28, 0, v28, vcc
	s_waitcnt vmcnt(0)
	v_and_b32_e32 v29, 1, v29
	v_cmp_eq_u64_e32 vcc, 0, v[26:27]
	v_add_u32_e32 v38, v28, v38
	v_cndmask_b32_e32 v39, 1, v29, vcc
.LBB75_124:
	s_or_b64 exec, exec, s[6:7]
	s_mov_b32 s5, 1
	v_cmp_gt_u64_e32 vcc, s[4:5], v[2:3]
	v_cndmask_b32_e32 v26, 0, v38, vcc
	v_add_u32_e32 v27, v26, v2
	v_cmp_gt_u64_e64 s[6:7], s[4:5], v[4:5]
	v_cndmask_b32_e64 v26, 0, v27, s[6:7]
	v_add_u32_e32 v42, v26, v4
	v_cmp_gt_u64_e64 s[8:9], s[4:5], v[6:7]
	v_cndmask_b32_e64 v26, 0, v42, s[8:9]
	;; [unrolled: 3-line block ×6, first 2 shown]
	v_add_u32_e32 v45, v26, v14
	v_cmp_gt_u64_e64 s[18:19], s[4:5], v[16:17]
	v_mov_b32_e32 v28, 0
	v_cndmask_b32_e64 v26, 0, v45, s[18:19]
	v_or3_b32 v7, v23, v15, v7
	v_add_u32_e32 v34, v26, v16
	v_cmp_gt_u64_e64 s[20:21], s[4:5], v[18:19]
	v_or3_b32 v9, v25, v17, v9
	v_and_b32_e32 v55, 1, v7
	v_mov_b32_e32 v54, v28
	v_cndmask_b32_e64 v26, 0, v34, s[20:21]
	v_or3_b32 v3, v19, v11, v3
	v_and_b32_e32 v37, 1, v9
	v_mov_b32_e32 v36, v28
	v_cmp_ne_u64_e64 s[30:31], 0, v[54:55]
	v_add_u32_e32 v35, v26, v18
	v_cmp_gt_u64_e64 s[22:23], s[4:5], v[20:21]
	v_or3_b32 v5, v21, v13, v5
	v_and_b32_e32 v29, 1, v3
	v_cndmask_b32_e64 v3, 0, 1, s[30:31]
	v_cmp_ne_u64_e64 s[30:31], 0, v[36:37]
	v_cndmask_b32_e64 v26, 0, v35, s[22:23]
	v_and_b32_e32 v33, 1, v5
	v_mov_b32_e32 v32, v28
	v_cndmask_b32_e64 v5, 0, 1, s[30:31]
	v_add_u32_e32 v46, v26, v20
	v_cmp_gt_u64_e64 s[24:25], s[4:5], v[22:23]
	v_lshlrev_b16_e32 v3, 2, v3
	v_lshlrev_b16_e32 v5, 3, v5
	v_cmp_ne_u64_e64 s[30:31], 0, v[32:33]
	v_cndmask_b32_e64 v26, 0, v46, s[24:25]
	v_or_b32_e32 v3, v5, v3
	v_cndmask_b32_e64 v5, 0, 1, s[30:31]
	v_cmp_ne_u64_e64 s[30:31], 0, v[28:29]
	v_add_u32_e32 v47, v26, v22
	v_cmp_gt_u64_e64 s[26:27], s[4:5], v[24:25]
	v_lshlrev_b16_e32 v5, 1, v5
	v_cndmask_b32_e64 v7, 0, 1, s[30:31]
	v_cndmask_b32_e64 v26, 0, v47, s[26:27]
	v_or_b32_e32 v5, v7, v5
	v_add_u32_e32 v48, v26, v24
	v_cmp_gt_u64_e64 s[28:29], s[4:5], v[40:41]
	v_and_b32_e32 v5, 3, v5
	v_cndmask_b32_e64 v26, 0, v48, s[28:29]
	v_or_b32_e32 v3, v5, v3
	v_add_u32_e32 v49, v26, v40
	v_and_b32_e32 v26, 1, v41
	v_and_b32_e32 v3, 15, v3
	v_cmp_eq_u32_e64 s[4:5], 1, v26
	v_cmp_ne_u16_e64 s[30:31], 0, v3
	s_or_b64 s[4:5], s[4:5], s[30:31]
	v_cndmask_b32_e64 v5, v39, 1, s[4:5]
	v_mbcnt_hi_u32_b32 v3, -1, v52
	v_mov_b32_dpp v9, v49 row_shr:1 row_mask:0xf bank_mask:0xf
	v_mov_b32_dpp v11, v5 row_shr:1 row_mask:0xf bank_mask:0xf
	v_cmp_eq_u32_e64 s[4:5], 0, v5
	v_and_b32_e32 v13, 1, v5
	v_and_b32_e32 v7, 15, v3
	v_cndmask_b32_e64 v9, 0, v9, s[4:5]
	v_and_b32_e32 v11, 1, v11
	v_cmp_eq_u32_e64 s[4:5], 1, v13
	v_cndmask_b32_e64 v11, v11, 1, s[4:5]
	v_cmp_eq_u32_e64 s[4:5], 0, v7
	v_cndmask_b32_e64 v5, v11, v5, s[4:5]
	v_and_b32_e32 v15, 1, v5
	v_cmp_eq_u32_e64 s[30:31], 1, v15
	v_mov_b32_dpp v13, v5 row_shr:2 row_mask:0xf bank_mask:0xf
	v_and_b32_e32 v13, 1, v13
	v_cndmask_b32_e64 v13, v13, 1, s[30:31]
	v_cmp_lt_u32_e64 s[30:31], 1, v7
	v_cndmask_b32_e64 v9, v9, 0, s[4:5]
	v_cmp_eq_u32_e64 s[4:5], 0, v5
	v_cndmask_b32_e64 v5, v5, v13, s[30:31]
	v_add_u32_e32 v9, v49, v9
	v_and_b32_e32 v15, 1, v5
	v_mov_b32_dpp v13, v5 row_shr:4 row_mask:0xf bank_mask:0xf
	v_mov_b32_dpp v11, v9 row_shr:2 row_mask:0xf bank_mask:0xf
	s_and_b64 s[4:5], s[30:31], s[4:5]
	v_and_b32_e32 v13, 1, v13
	v_cmp_eq_u32_e64 s[30:31], 1, v15
	v_cndmask_b32_e64 v11, 0, v11, s[4:5]
	v_cndmask_b32_e64 v13, v13, 1, s[30:31]
	v_cmp_lt_u32_e64 s[30:31], 3, v7
	v_add_u32_e32 v9, v9, v11
	v_cmp_eq_u32_e64 s[4:5], 0, v5
	v_cndmask_b32_e64 v5, v5, v13, s[30:31]
	v_mov_b32_dpp v11, v9 row_shr:4 row_mask:0xf bank_mask:0xf
	s_and_b64 s[4:5], s[30:31], s[4:5]
	v_mov_b32_dpp v13, v5 row_shr:8 row_mask:0xf bank_mask:0xf
	v_and_b32_e32 v15, 1, v5
	v_cndmask_b32_e64 v11, 0, v11, s[4:5]
	v_and_b32_e32 v13, 1, v13
	v_cmp_eq_u32_e64 s[30:31], 1, v15
	v_add_u32_e32 v9, v9, v11
	v_cmp_eq_u32_e64 s[4:5], 0, v5
	v_cndmask_b32_e64 v13, v13, 1, s[30:31]
	v_cmp_lt_u32_e64 s[30:31], 7, v7
	v_mov_b32_dpp v11, v9 row_shr:8 row_mask:0xf bank_mask:0xf
	s_and_b64 s[4:5], s[30:31], s[4:5]
	v_cndmask_b32_e64 v7, 0, v11, s[4:5]
	v_cndmask_b32_e64 v5, v5, v13, s[30:31]
	v_add_u32_e32 v7, v9, v7
	v_cmp_eq_u32_e64 s[4:5], 0, v5
	v_mov_b32_dpp v11, v5 row_bcast:15 row_mask:0xf bank_mask:0xf
	v_mov_b32_dpp v9, v7 row_bcast:15 row_mask:0xf bank_mask:0xf
	v_and_b32_e32 v17, 1, v5
	v_and_b32_e32 v15, 16, v3
	v_cndmask_b32_e64 v9, 0, v9, s[4:5]
	v_and_b32_e32 v11, 1, v11
	v_cmp_eq_u32_e64 s[4:5], 1, v17
	v_bfe_i32 v13, v3, 4, 1
	v_cndmask_b32_e64 v11, v11, 1, s[4:5]
	v_cmp_eq_u32_e64 s[4:5], 0, v15
	v_and_b32_e32 v9, v13, v9
	v_cndmask_b32_e64 v5, v11, v5, s[4:5]
	v_add_u32_e32 v9, v7, v9
	v_and_b32_e32 v13, 1, v5
	v_mov_b32_dpp v7, v5 row_bcast:31 row_mask:0xf bank_mask:0xf
	v_and_b32_e32 v7, 1, v7
	v_cmp_eq_u32_e64 s[30:31], 1, v13
	v_cmp_eq_u32_e64 s[4:5], 0, v5
	v_cndmask_b32_e64 v7, v7, 1, s[30:31]
	v_cmp_lt_u32_e64 s[30:31], 31, v3
	v_mov_b32_dpp v11, v9 row_bcast:31 row_mask:0xf bank_mask:0xf
	s_and_b64 s[4:5], s[30:31], s[4:5]
	v_cndmask_b32_e64 v7, v5, v7, s[30:31]
	v_cndmask_b32_e64 v5, 0, v11, s[4:5]
	v_add_u32_e32 v5, v9, v5
	v_cmp_eq_u32_e64 s[4:5], v51, v0
	s_and_saveexec_b64 s[30:31], s[4:5]
	s_cbranch_execz .LBB75_126
; %bb.125:
	v_lshlrev_b32_e32 v9, 3, v1
	ds_write_b32 v9, v5
	ds_write_b8 v9, v7 offset:4
.LBB75_126:
	s_or_b64 exec, exec, s[30:31]
	v_cmp_gt_u32_e64 s[4:5], 4, v0
	s_waitcnt lgkmcnt(0)
	s_barrier
	s_and_saveexec_b64 s[30:31], s[4:5]
	s_cbranch_execz .LBB75_130
; %bb.127:
	v_lshlrev_b32_e32 v9, 3, v0
	ds_read_b64 v[28:29], v9
	v_and_b32_e32 v11, 3, v3
	v_cmp_ne_u32_e64 s[4:5], 0, v11
	s_waitcnt lgkmcnt(0)
	v_mov_b32_dpp v13, v28 row_shr:1 row_mask:0xf bank_mask:0xf
	v_mov_b32_dpp v17, v29 row_shr:1 row_mask:0xf bank_mask:0xf
	v_mov_b32_e32 v15, v29
	s_and_saveexec_b64 s[34:35], s[4:5]
	s_cbranch_execz .LBB75_129
; %bb.128:
	v_and_b32_e32 v15, 1, v29
	v_and_b32_e32 v17, 1, v17
	v_cmp_eq_u32_e64 s[4:5], 1, v15
	v_mov_b32_e32 v15, 0
	v_cndmask_b32_e64 v17, v17, 1, s[4:5]
	v_cmp_eq_u16_sdwa s[4:5], v29, v15 src0_sel:BYTE_0 src1_sel:DWORD
	v_cndmask_b32_e64 v13, 0, v13, s[4:5]
	v_add_u32_e32 v28, v13, v28
	v_and_b32_e32 v13, 0xffff, v17
	s_movk_i32 s4, 0xff00
	v_and_or_b32 v15, v29, s4, v13
	v_mov_b32_e32 v29, v17
.LBB75_129:
	s_or_b64 exec, exec, s[34:35]
	v_mov_b32_dpp v15, v15 row_shr:2 row_mask:0xf bank_mask:0xf
	v_and_b32_e32 v17, 1, v29
	v_and_b32_e32 v15, 1, v15
	v_cmp_eq_u32_e64 s[4:5], 1, v17
	v_mov_b32_e32 v17, 0
	v_cndmask_b32_e64 v15, v15, 1, s[4:5]
	v_cmp_eq_u16_sdwa s[34:35], v29, v17 src0_sel:BYTE_0 src1_sel:DWORD
	v_cmp_lt_u32_e64 s[4:5], 1, v11
	v_mov_b32_dpp v13, v28 row_shr:2 row_mask:0xf bank_mask:0xf
	v_cndmask_b32_e64 v11, v29, v15, s[4:5]
	s_and_b64 s[4:5], s[4:5], s[34:35]
	v_cndmask_b32_e64 v13, 0, v13, s[4:5]
	v_add_u32_e32 v13, v13, v28
	ds_write_b32 v9, v13
	ds_write_b8 v9, v11 offset:4
.LBB75_130:
	s_or_b64 exec, exec, s[30:31]
	v_cmp_lt_u32_e64 s[4:5], 63, v0
	v_mov_b32_e32 v9, 0
	s_waitcnt lgkmcnt(0)
	s_barrier
	s_and_saveexec_b64 s[30:31], s[4:5]
	s_cbranch_execz .LBB75_132
; %bb.131:
	v_lshl_add_u32 v1, v1, 3, -8
	ds_read_b32 v9, v1
	v_cmp_eq_u32_e64 s[4:5], 0, v7
	s_waitcnt lgkmcnt(0)
	v_cndmask_b32_e64 v1, 0, v9, s[4:5]
	v_add_u32_e32 v5, v1, v5
.LBB75_132:
	s_or_b64 exec, exec, s[30:31]
	v_add_u32_e32 v1, -1, v3
	v_and_b32_e32 v7, 64, v3
	v_cmp_lt_i32_e64 s[4:5], v1, v7
	v_cndmask_b32_e64 v1, v1, v3, s[4:5]
	v_lshlrev_b32_e32 v1, 2, v1
	ds_bpermute_b32 v1, v1, v5
	s_and_saveexec_b64 s[30:31], s[36:37]
	s_cbranch_execz .LBB75_134
; %bb.133:
	v_and_b32_e32 v27, 0xff, v39
	v_mov_b32_e32 v26, 0
	v_cmp_eq_u32_e64 s[4:5], 0, v3
	s_waitcnt lgkmcnt(0)
	v_cndmask_b32_e64 v1, v1, v9, s[4:5]
	v_cmp_eq_u64_e64 s[4:5], 0, v[26:27]
	v_cndmask_b32_e64 v1, 0, v1, s[4:5]
	v_add_u32_e32 v38, v1, v38
	v_cndmask_b32_e32 v1, 0, v38, vcc
	v_add_u32_e32 v27, v1, v2
	v_cndmask_b32_e64 v1, 0, v27, s[6:7]
	v_add_u32_e32 v42, v1, v4
	v_cndmask_b32_e64 v1, 0, v42, s[8:9]
	;; [unrolled: 2-line block ×12, first 2 shown]
	v_add_u32_e32 v49, v1, v40
	;;#ASMSTART
	;;#ASMEND
.LBB75_134:
	s_or_b64 exec, exec, s[30:31]
	s_and_saveexec_b64 s[4:5], s[0:1]
	s_cbranch_execz .LBB75_136
; %bb.135:
	v_mov_b32_e32 v5, 0
	ds_read_b32 v2, v5 offset:24
	ds_read_u8 v3, v5 offset:28
	s_add_u32 s0, s48, 0x400
	s_addc_u32 s1, s49, 0
	v_mov_b32_e32 v4, 2
	v_pk_mov_b32 v[6:7], s[0:1], s[0:1] op_sel:[0,1]
	s_waitcnt lgkmcnt(0)
	;;#ASMSTART
	global_store_dwordx4 v[6:7], v[2:5] off	
s_waitcnt vmcnt(0)
	;;#ASMEND
.LBB75_136:
	s_or_b64 exec, exec, s[4:5]
	v_mov_b32_e32 v26, v38
.LBB75_137:
	s_add_u32 s0, s46, s38
	s_addc_u32 s1, s47, s39
	s_add_u32 s4, s0, s40
	s_waitcnt lgkmcnt(0)
	v_mul_u32_u24_e32 v1, 14, v0
	s_addc_u32 s5, s1, s41
	s_and_b64 vcc, exec, s[2:3]
	v_lshlrev_b32_e32 v2, 2, v1
	s_cbranch_vccz .LBB75_165
; %bb.138:
	s_movk_i32 s0, 0xffcc
	v_mad_i32_i24 v3, v0, s0, v2
	s_barrier
	ds_write2_b64 v2, v[26:27], v[42:43] offset1:1
	ds_write2_b64 v2, v[30:31], v[44:45] offset0:2 offset1:3
	ds_write2_b64 v2, v[34:35], v[46:47] offset0:4 offset1:5
	ds_write_b64 v2, v[48:49] offset:48
	s_waitcnt lgkmcnt(0)
	s_barrier
	ds_read2st64_b32 v[16:17], v3 offset0:4 offset1:8
	ds_read2st64_b32 v[14:15], v3 offset0:12 offset1:16
	;; [unrolled: 1-line block ×6, first 2 shown]
	ds_read_b32 v3, v3 offset:13312
	v_mov_b32_e32 v7, s5
	v_add_co_u32_e32 v6, vcc, s4, v50
	s_add_i32 s33, s33, s50
	v_addc_co_u32_e32 v7, vcc, 0, v7, vcc
	v_mov_b32_e32 v1, 0
	v_cmp_gt_u32_e32 vcc, s33, v0
	s_and_saveexec_b64 s[0:1], vcc
	s_cbranch_execz .LBB75_140
; %bb.139:
	v_mul_i32_i24_e32 v18, 0xffffffcc, v0
	v_add_u32_e32 v18, v2, v18
	ds_read_b32 v18, v18
	s_waitcnt lgkmcnt(0)
	flat_store_dword v[6:7], v18
.LBB75_140:
	s_or_b64 exec, exec, s[0:1]
	v_or_b32_e32 v18, 0x100, v0
	v_cmp_gt_u32_e32 vcc, s33, v18
	s_and_saveexec_b64 s[0:1], vcc
	s_cbranch_execz .LBB75_142
; %bb.141:
	s_waitcnt lgkmcnt(0)
	flat_store_dword v[6:7], v16 offset:1024
.LBB75_142:
	s_or_b64 exec, exec, s[0:1]
	s_waitcnt lgkmcnt(0)
	v_or_b32_e32 v16, 0x200, v0
	v_cmp_gt_u32_e32 vcc, s33, v16
	s_and_saveexec_b64 s[0:1], vcc
	s_cbranch_execz .LBB75_144
; %bb.143:
	flat_store_dword v[6:7], v17 offset:2048
.LBB75_144:
	s_or_b64 exec, exec, s[0:1]
	v_or_b32_e32 v16, 0x300, v0
	v_cmp_gt_u32_e32 vcc, s33, v16
	s_and_saveexec_b64 s[0:1], vcc
	s_cbranch_execz .LBB75_146
; %bb.145:
	flat_store_dword v[6:7], v14 offset:3072
.LBB75_146:
	s_or_b64 exec, exec, s[0:1]
	v_or_b32_e32 v14, 0x400, v0
	v_cmp_gt_u32_e32 vcc, s33, v14
	s_and_saveexec_b64 s[0:1], vcc
	s_cbranch_execz .LBB75_148
; %bb.147:
	v_add_co_u32_e32 v16, vcc, 0x1000, v6
	v_addc_co_u32_e32 v17, vcc, 0, v7, vcc
	flat_store_dword v[16:17], v15
.LBB75_148:
	s_or_b64 exec, exec, s[0:1]
	v_or_b32_e32 v14, 0x500, v0
	v_cmp_gt_u32_e32 vcc, s33, v14
	s_and_saveexec_b64 s[0:1], vcc
	s_cbranch_execz .LBB75_150
; %bb.149:
	v_add_co_u32_e32 v14, vcc, 0x1000, v6
	v_addc_co_u32_e32 v15, vcc, 0, v7, vcc
	flat_store_dword v[14:15], v12 offset:1024
.LBB75_150:
	s_or_b64 exec, exec, s[0:1]
	v_or_b32_e32 v12, 0x600, v0
	v_cmp_gt_u32_e32 vcc, s33, v12
	s_and_saveexec_b64 s[0:1], vcc
	s_cbranch_execz .LBB75_152
; %bb.151:
	v_add_co_u32_e32 v14, vcc, 0x1000, v6
	v_addc_co_u32_e32 v15, vcc, 0, v7, vcc
	flat_store_dword v[14:15], v13 offset:2048
.LBB75_152:
	;; [unrolled: 10-line block ×3, first 2 shown]
	s_or_b64 exec, exec, s[0:1]
	v_or_b32_e32 v10, 0x800, v0
	v_cmp_gt_u32_e32 vcc, s33, v10
	s_and_saveexec_b64 s[0:1], vcc
	s_cbranch_execz .LBB75_156
; %bb.155:
	v_add_co_u32_e32 v12, vcc, 0x2000, v6
	v_addc_co_u32_e32 v13, vcc, 0, v7, vcc
	flat_store_dword v[12:13], v11
.LBB75_156:
	s_or_b64 exec, exec, s[0:1]
	v_or_b32_e32 v10, 0x900, v0
	v_cmp_gt_u32_e32 vcc, s33, v10
	s_and_saveexec_b64 s[0:1], vcc
	s_cbranch_execz .LBB75_158
; %bb.157:
	v_add_co_u32_e32 v10, vcc, 0x2000, v6
	v_addc_co_u32_e32 v11, vcc, 0, v7, vcc
	flat_store_dword v[10:11], v8 offset:1024
.LBB75_158:
	s_or_b64 exec, exec, s[0:1]
	v_or_b32_e32 v8, 0xa00, v0
	v_cmp_gt_u32_e32 vcc, s33, v8
	s_and_saveexec_b64 s[0:1], vcc
	s_cbranch_execz .LBB75_160
; %bb.159:
	v_add_co_u32_e32 v10, vcc, 0x2000, v6
	v_addc_co_u32_e32 v11, vcc, 0, v7, vcc
	flat_store_dword v[10:11], v9 offset:2048
.LBB75_160:
	s_or_b64 exec, exec, s[0:1]
	v_or_b32_e32 v8, 0xb00, v0
	v_cmp_gt_u32_e32 vcc, s33, v8
	s_and_saveexec_b64 s[0:1], vcc
	s_cbranch_execz .LBB75_162
; %bb.161:
	v_add_co_u32_e32 v8, vcc, 0x2000, v6
	v_addc_co_u32_e32 v9, vcc, 0, v7, vcc
	flat_store_dword v[8:9], v4 offset:3072
.LBB75_162:
	s_or_b64 exec, exec, s[0:1]
	v_or_b32_e32 v4, 0xc00, v0
	v_cmp_gt_u32_e32 vcc, s33, v4
	s_and_saveexec_b64 s[0:1], vcc
	s_cbranch_execz .LBB75_164
; %bb.163:
	v_add_co_u32_e32 v6, vcc, 0x3000, v6
	v_addc_co_u32_e32 v7, vcc, 0, v7, vcc
	flat_store_dword v[6:7], v5
.LBB75_164:
	s_or_b64 exec, exec, s[0:1]
	v_or_b32_e32 v4, 0xd00, v0
	v_cmp_gt_u32_e64 s[0:1], s33, v4
	s_branch .LBB75_167
.LBB75_165:
	s_mov_b64 s[0:1], 0
                                        ; implicit-def: $vgpr3
	s_cbranch_execz .LBB75_167
; %bb.166:
	s_movk_i32 s2, 0xffcc
	s_waitcnt lgkmcnt(0)
	s_barrier
	ds_write2_b64 v2, v[26:27], v[42:43] offset1:1
	ds_write2_b64 v2, v[30:31], v[44:45] offset0:2 offset1:3
	ds_write2_b64 v2, v[34:35], v[46:47] offset0:4 offset1:5
	ds_write_b64 v2, v[48:49] offset:48
	v_mad_i32_i24 v2, v0, s2, v2
	v_mov_b32_e32 v17, s5
	v_add_co_u32_e32 v16, vcc, s4, v50
	s_waitcnt lgkmcnt(0)
	s_barrier
	ds_read2st64_b32 v[4:5], v2 offset1:4
	ds_read2st64_b32 v[6:7], v2 offset0:8 offset1:12
	ds_read2st64_b32 v[8:9], v2 offset0:16 offset1:20
	ds_read2st64_b32 v[10:11], v2 offset0:24 offset1:28
	ds_read2st64_b32 v[12:13], v2 offset0:32 offset1:36
	ds_read2st64_b32 v[14:15], v2 offset0:40 offset1:44
	ds_read2st64_b32 v[2:3], v2 offset0:48 offset1:52
	v_addc_co_u32_e32 v17, vcc, 0, v17, vcc
	s_movk_i32 s2, 0x1000
	s_waitcnt lgkmcnt(0)
	flat_store_dword v[16:17], v4
	flat_store_dword v[16:17], v5 offset:1024
	flat_store_dword v[16:17], v6 offset:2048
	;; [unrolled: 1-line block ×3, first 2 shown]
	v_add_co_u32_e32 v4, vcc, s2, v16
	v_addc_co_u32_e32 v5, vcc, 0, v17, vcc
	flat_store_dword v[4:5], v8
	flat_store_dword v[4:5], v9 offset:1024
	flat_store_dword v[4:5], v10 offset:2048
	;; [unrolled: 1-line block ×3, first 2 shown]
	v_add_co_u32_e32 v4, vcc, 0x2000, v16
	v_addc_co_u32_e32 v5, vcc, 0, v17, vcc
	flat_store_dword v[4:5], v12
	flat_store_dword v[4:5], v13 offset:1024
	flat_store_dword v[4:5], v14 offset:2048
	;; [unrolled: 1-line block ×3, first 2 shown]
	v_add_co_u32_e32 v4, vcc, 0x3000, v16
	v_mov_b32_e32 v1, 0
	v_addc_co_u32_e32 v5, vcc, 0, v17, vcc
	s_or_b64 s[0:1], s[0:1], exec
	flat_store_dword v[4:5], v2
.LBB75_167:
	s_and_saveexec_b64 s[2:3], s[0:1]
	s_cbranch_execz .LBB75_169
; %bb.168:
	v_lshlrev_b64 v[0:1], 2, v[0:1]
	v_mov_b32_e32 v2, s5
	v_add_co_u32_e32 v0, vcc, s4, v0
	v_addc_co_u32_e32 v1, vcc, v2, v1, vcc
	v_add_co_u32_e32 v0, vcc, 0x3000, v0
	v_addc_co_u32_e32 v1, vcc, 0, v1, vcc
	flat_store_dword v[0:1], v3 offset:1024
	s_endpgm
.LBB75_169:
	s_endpgm
	.section	.rodata,"a",@progbits
	.p2align	6, 0x0
	.amdhsa_kernel _ZN7rocprim17ROCPRIM_400000_NS6detail17trampoline_kernelINS0_14default_configENS1_27scan_by_key_config_selectorIiiEEZZNS1_16scan_by_key_implILNS1_25lookback_scan_determinismE0ELb0ES3_N6thrust23THRUST_200600_302600_NS6detail15normal_iteratorINS9_10device_ptrIiEEEESE_SE_iNS9_4plusIvEE19head_flag_predicateIiEiEE10hipError_tPvRmT2_T3_T4_T5_mT6_T7_P12ihipStream_tbENKUlT_T0_E_clISt17integral_constantIbLb0EESY_IbLb1EEEEDaSU_SV_EUlSU_E_NS1_11comp_targetILNS1_3genE4ELNS1_11target_archE910ELNS1_3gpuE8ELNS1_3repE0EEENS1_30default_config_static_selectorELNS0_4arch9wavefront6targetE1EEEvT1_
		.amdhsa_group_segment_fixed_size 16384
		.amdhsa_private_segment_fixed_size 0
		.amdhsa_kernarg_size 112
		.amdhsa_user_sgpr_count 6
		.amdhsa_user_sgpr_private_segment_buffer 1
		.amdhsa_user_sgpr_dispatch_ptr 0
		.amdhsa_user_sgpr_queue_ptr 0
		.amdhsa_user_sgpr_kernarg_segment_ptr 1
		.amdhsa_user_sgpr_dispatch_id 0
		.amdhsa_user_sgpr_flat_scratch_init 0
		.amdhsa_user_sgpr_kernarg_preload_length 0
		.amdhsa_user_sgpr_kernarg_preload_offset 0
		.amdhsa_user_sgpr_private_segment_size 0
		.amdhsa_uses_dynamic_stack 0
		.amdhsa_system_sgpr_private_segment_wavefront_offset 0
		.amdhsa_system_sgpr_workgroup_id_x 1
		.amdhsa_system_sgpr_workgroup_id_y 0
		.amdhsa_system_sgpr_workgroup_id_z 0
		.amdhsa_system_sgpr_workgroup_info 0
		.amdhsa_system_vgpr_workitem_id 0
		.amdhsa_next_free_vgpr 65
		.amdhsa_next_free_sgpr 64
		.amdhsa_accum_offset 68
		.amdhsa_reserve_vcc 1
		.amdhsa_reserve_flat_scratch 0
		.amdhsa_float_round_mode_32 0
		.amdhsa_float_round_mode_16_64 0
		.amdhsa_float_denorm_mode_32 3
		.amdhsa_float_denorm_mode_16_64 3
		.amdhsa_dx10_clamp 1
		.amdhsa_ieee_mode 1
		.amdhsa_fp16_overflow 0
		.amdhsa_tg_split 0
		.amdhsa_exception_fp_ieee_invalid_op 0
		.amdhsa_exception_fp_denorm_src 0
		.amdhsa_exception_fp_ieee_div_zero 0
		.amdhsa_exception_fp_ieee_overflow 0
		.amdhsa_exception_fp_ieee_underflow 0
		.amdhsa_exception_fp_ieee_inexact 0
		.amdhsa_exception_int_div_zero 0
	.end_amdhsa_kernel
	.section	.text._ZN7rocprim17ROCPRIM_400000_NS6detail17trampoline_kernelINS0_14default_configENS1_27scan_by_key_config_selectorIiiEEZZNS1_16scan_by_key_implILNS1_25lookback_scan_determinismE0ELb0ES3_N6thrust23THRUST_200600_302600_NS6detail15normal_iteratorINS9_10device_ptrIiEEEESE_SE_iNS9_4plusIvEE19head_flag_predicateIiEiEE10hipError_tPvRmT2_T3_T4_T5_mT6_T7_P12ihipStream_tbENKUlT_T0_E_clISt17integral_constantIbLb0EESY_IbLb1EEEEDaSU_SV_EUlSU_E_NS1_11comp_targetILNS1_3genE4ELNS1_11target_archE910ELNS1_3gpuE8ELNS1_3repE0EEENS1_30default_config_static_selectorELNS0_4arch9wavefront6targetE1EEEvT1_,"axG",@progbits,_ZN7rocprim17ROCPRIM_400000_NS6detail17trampoline_kernelINS0_14default_configENS1_27scan_by_key_config_selectorIiiEEZZNS1_16scan_by_key_implILNS1_25lookback_scan_determinismE0ELb0ES3_N6thrust23THRUST_200600_302600_NS6detail15normal_iteratorINS9_10device_ptrIiEEEESE_SE_iNS9_4plusIvEE19head_flag_predicateIiEiEE10hipError_tPvRmT2_T3_T4_T5_mT6_T7_P12ihipStream_tbENKUlT_T0_E_clISt17integral_constantIbLb0EESY_IbLb1EEEEDaSU_SV_EUlSU_E_NS1_11comp_targetILNS1_3genE4ELNS1_11target_archE910ELNS1_3gpuE8ELNS1_3repE0EEENS1_30default_config_static_selectorELNS0_4arch9wavefront6targetE1EEEvT1_,comdat
.Lfunc_end75:
	.size	_ZN7rocprim17ROCPRIM_400000_NS6detail17trampoline_kernelINS0_14default_configENS1_27scan_by_key_config_selectorIiiEEZZNS1_16scan_by_key_implILNS1_25lookback_scan_determinismE0ELb0ES3_N6thrust23THRUST_200600_302600_NS6detail15normal_iteratorINS9_10device_ptrIiEEEESE_SE_iNS9_4plusIvEE19head_flag_predicateIiEiEE10hipError_tPvRmT2_T3_T4_T5_mT6_T7_P12ihipStream_tbENKUlT_T0_E_clISt17integral_constantIbLb0EESY_IbLb1EEEEDaSU_SV_EUlSU_E_NS1_11comp_targetILNS1_3genE4ELNS1_11target_archE910ELNS1_3gpuE8ELNS1_3repE0EEENS1_30default_config_static_selectorELNS0_4arch9wavefront6targetE1EEEvT1_, .Lfunc_end75-_ZN7rocprim17ROCPRIM_400000_NS6detail17trampoline_kernelINS0_14default_configENS1_27scan_by_key_config_selectorIiiEEZZNS1_16scan_by_key_implILNS1_25lookback_scan_determinismE0ELb0ES3_N6thrust23THRUST_200600_302600_NS6detail15normal_iteratorINS9_10device_ptrIiEEEESE_SE_iNS9_4plusIvEE19head_flag_predicateIiEiEE10hipError_tPvRmT2_T3_T4_T5_mT6_T7_P12ihipStream_tbENKUlT_T0_E_clISt17integral_constantIbLb0EESY_IbLb1EEEEDaSU_SV_EUlSU_E_NS1_11comp_targetILNS1_3genE4ELNS1_11target_archE910ELNS1_3gpuE8ELNS1_3repE0EEENS1_30default_config_static_selectorELNS0_4arch9wavefront6targetE1EEEvT1_
                                        ; -- End function
	.section	.AMDGPU.csdata,"",@progbits
; Kernel info:
; codeLenInByte = 10836
; NumSgprs: 68
; NumVgprs: 65
; NumAgprs: 0
; TotalNumVgprs: 65
; ScratchSize: 0
; MemoryBound: 0
; FloatMode: 240
; IeeeMode: 1
; LDSByteSize: 16384 bytes/workgroup (compile time only)
; SGPRBlocks: 8
; VGPRBlocks: 8
; NumSGPRsForWavesPerEU: 68
; NumVGPRsForWavesPerEU: 65
; AccumOffset: 68
; Occupancy: 4
; WaveLimiterHint : 1
; COMPUTE_PGM_RSRC2:SCRATCH_EN: 0
; COMPUTE_PGM_RSRC2:USER_SGPR: 6
; COMPUTE_PGM_RSRC2:TRAP_HANDLER: 0
; COMPUTE_PGM_RSRC2:TGID_X_EN: 1
; COMPUTE_PGM_RSRC2:TGID_Y_EN: 0
; COMPUTE_PGM_RSRC2:TGID_Z_EN: 0
; COMPUTE_PGM_RSRC2:TIDIG_COMP_CNT: 0
; COMPUTE_PGM_RSRC3_GFX90A:ACCUM_OFFSET: 16
; COMPUTE_PGM_RSRC3_GFX90A:TG_SPLIT: 0
	.section	.text._ZN7rocprim17ROCPRIM_400000_NS6detail17trampoline_kernelINS0_14default_configENS1_27scan_by_key_config_selectorIiiEEZZNS1_16scan_by_key_implILNS1_25lookback_scan_determinismE0ELb0ES3_N6thrust23THRUST_200600_302600_NS6detail15normal_iteratorINS9_10device_ptrIiEEEESE_SE_iNS9_4plusIvEE19head_flag_predicateIiEiEE10hipError_tPvRmT2_T3_T4_T5_mT6_T7_P12ihipStream_tbENKUlT_T0_E_clISt17integral_constantIbLb0EESY_IbLb1EEEEDaSU_SV_EUlSU_E_NS1_11comp_targetILNS1_3genE3ELNS1_11target_archE908ELNS1_3gpuE7ELNS1_3repE0EEENS1_30default_config_static_selectorELNS0_4arch9wavefront6targetE1EEEvT1_,"axG",@progbits,_ZN7rocprim17ROCPRIM_400000_NS6detail17trampoline_kernelINS0_14default_configENS1_27scan_by_key_config_selectorIiiEEZZNS1_16scan_by_key_implILNS1_25lookback_scan_determinismE0ELb0ES3_N6thrust23THRUST_200600_302600_NS6detail15normal_iteratorINS9_10device_ptrIiEEEESE_SE_iNS9_4plusIvEE19head_flag_predicateIiEiEE10hipError_tPvRmT2_T3_T4_T5_mT6_T7_P12ihipStream_tbENKUlT_T0_E_clISt17integral_constantIbLb0EESY_IbLb1EEEEDaSU_SV_EUlSU_E_NS1_11comp_targetILNS1_3genE3ELNS1_11target_archE908ELNS1_3gpuE7ELNS1_3repE0EEENS1_30default_config_static_selectorELNS0_4arch9wavefront6targetE1EEEvT1_,comdat
	.protected	_ZN7rocprim17ROCPRIM_400000_NS6detail17trampoline_kernelINS0_14default_configENS1_27scan_by_key_config_selectorIiiEEZZNS1_16scan_by_key_implILNS1_25lookback_scan_determinismE0ELb0ES3_N6thrust23THRUST_200600_302600_NS6detail15normal_iteratorINS9_10device_ptrIiEEEESE_SE_iNS9_4plusIvEE19head_flag_predicateIiEiEE10hipError_tPvRmT2_T3_T4_T5_mT6_T7_P12ihipStream_tbENKUlT_T0_E_clISt17integral_constantIbLb0EESY_IbLb1EEEEDaSU_SV_EUlSU_E_NS1_11comp_targetILNS1_3genE3ELNS1_11target_archE908ELNS1_3gpuE7ELNS1_3repE0EEENS1_30default_config_static_selectorELNS0_4arch9wavefront6targetE1EEEvT1_ ; -- Begin function _ZN7rocprim17ROCPRIM_400000_NS6detail17trampoline_kernelINS0_14default_configENS1_27scan_by_key_config_selectorIiiEEZZNS1_16scan_by_key_implILNS1_25lookback_scan_determinismE0ELb0ES3_N6thrust23THRUST_200600_302600_NS6detail15normal_iteratorINS9_10device_ptrIiEEEESE_SE_iNS9_4plusIvEE19head_flag_predicateIiEiEE10hipError_tPvRmT2_T3_T4_T5_mT6_T7_P12ihipStream_tbENKUlT_T0_E_clISt17integral_constantIbLb0EESY_IbLb1EEEEDaSU_SV_EUlSU_E_NS1_11comp_targetILNS1_3genE3ELNS1_11target_archE908ELNS1_3gpuE7ELNS1_3repE0EEENS1_30default_config_static_selectorELNS0_4arch9wavefront6targetE1EEEvT1_
	.globl	_ZN7rocprim17ROCPRIM_400000_NS6detail17trampoline_kernelINS0_14default_configENS1_27scan_by_key_config_selectorIiiEEZZNS1_16scan_by_key_implILNS1_25lookback_scan_determinismE0ELb0ES3_N6thrust23THRUST_200600_302600_NS6detail15normal_iteratorINS9_10device_ptrIiEEEESE_SE_iNS9_4plusIvEE19head_flag_predicateIiEiEE10hipError_tPvRmT2_T3_T4_T5_mT6_T7_P12ihipStream_tbENKUlT_T0_E_clISt17integral_constantIbLb0EESY_IbLb1EEEEDaSU_SV_EUlSU_E_NS1_11comp_targetILNS1_3genE3ELNS1_11target_archE908ELNS1_3gpuE7ELNS1_3repE0EEENS1_30default_config_static_selectorELNS0_4arch9wavefront6targetE1EEEvT1_
	.p2align	8
	.type	_ZN7rocprim17ROCPRIM_400000_NS6detail17trampoline_kernelINS0_14default_configENS1_27scan_by_key_config_selectorIiiEEZZNS1_16scan_by_key_implILNS1_25lookback_scan_determinismE0ELb0ES3_N6thrust23THRUST_200600_302600_NS6detail15normal_iteratorINS9_10device_ptrIiEEEESE_SE_iNS9_4plusIvEE19head_flag_predicateIiEiEE10hipError_tPvRmT2_T3_T4_T5_mT6_T7_P12ihipStream_tbENKUlT_T0_E_clISt17integral_constantIbLb0EESY_IbLb1EEEEDaSU_SV_EUlSU_E_NS1_11comp_targetILNS1_3genE3ELNS1_11target_archE908ELNS1_3gpuE7ELNS1_3repE0EEENS1_30default_config_static_selectorELNS0_4arch9wavefront6targetE1EEEvT1_,@function
_ZN7rocprim17ROCPRIM_400000_NS6detail17trampoline_kernelINS0_14default_configENS1_27scan_by_key_config_selectorIiiEEZZNS1_16scan_by_key_implILNS1_25lookback_scan_determinismE0ELb0ES3_N6thrust23THRUST_200600_302600_NS6detail15normal_iteratorINS9_10device_ptrIiEEEESE_SE_iNS9_4plusIvEE19head_flag_predicateIiEiEE10hipError_tPvRmT2_T3_T4_T5_mT6_T7_P12ihipStream_tbENKUlT_T0_E_clISt17integral_constantIbLb0EESY_IbLb1EEEEDaSU_SV_EUlSU_E_NS1_11comp_targetILNS1_3genE3ELNS1_11target_archE908ELNS1_3gpuE7ELNS1_3repE0EEENS1_30default_config_static_selectorELNS0_4arch9wavefront6targetE1EEEvT1_: ; @_ZN7rocprim17ROCPRIM_400000_NS6detail17trampoline_kernelINS0_14default_configENS1_27scan_by_key_config_selectorIiiEEZZNS1_16scan_by_key_implILNS1_25lookback_scan_determinismE0ELb0ES3_N6thrust23THRUST_200600_302600_NS6detail15normal_iteratorINS9_10device_ptrIiEEEESE_SE_iNS9_4plusIvEE19head_flag_predicateIiEiEE10hipError_tPvRmT2_T3_T4_T5_mT6_T7_P12ihipStream_tbENKUlT_T0_E_clISt17integral_constantIbLb0EESY_IbLb1EEEEDaSU_SV_EUlSU_E_NS1_11comp_targetILNS1_3genE3ELNS1_11target_archE908ELNS1_3gpuE7ELNS1_3repE0EEENS1_30default_config_static_selectorELNS0_4arch9wavefront6targetE1EEEvT1_
; %bb.0:
	.section	.rodata,"a",@progbits
	.p2align	6, 0x0
	.amdhsa_kernel _ZN7rocprim17ROCPRIM_400000_NS6detail17trampoline_kernelINS0_14default_configENS1_27scan_by_key_config_selectorIiiEEZZNS1_16scan_by_key_implILNS1_25lookback_scan_determinismE0ELb0ES3_N6thrust23THRUST_200600_302600_NS6detail15normal_iteratorINS9_10device_ptrIiEEEESE_SE_iNS9_4plusIvEE19head_flag_predicateIiEiEE10hipError_tPvRmT2_T3_T4_T5_mT6_T7_P12ihipStream_tbENKUlT_T0_E_clISt17integral_constantIbLb0EESY_IbLb1EEEEDaSU_SV_EUlSU_E_NS1_11comp_targetILNS1_3genE3ELNS1_11target_archE908ELNS1_3gpuE7ELNS1_3repE0EEENS1_30default_config_static_selectorELNS0_4arch9wavefront6targetE1EEEvT1_
		.amdhsa_group_segment_fixed_size 0
		.amdhsa_private_segment_fixed_size 0
		.amdhsa_kernarg_size 112
		.amdhsa_user_sgpr_count 6
		.amdhsa_user_sgpr_private_segment_buffer 1
		.amdhsa_user_sgpr_dispatch_ptr 0
		.amdhsa_user_sgpr_queue_ptr 0
		.amdhsa_user_sgpr_kernarg_segment_ptr 1
		.amdhsa_user_sgpr_dispatch_id 0
		.amdhsa_user_sgpr_flat_scratch_init 0
		.amdhsa_user_sgpr_kernarg_preload_length 0
		.amdhsa_user_sgpr_kernarg_preload_offset 0
		.amdhsa_user_sgpr_private_segment_size 0
		.amdhsa_uses_dynamic_stack 0
		.amdhsa_system_sgpr_private_segment_wavefront_offset 0
		.amdhsa_system_sgpr_workgroup_id_x 1
		.amdhsa_system_sgpr_workgroup_id_y 0
		.amdhsa_system_sgpr_workgroup_id_z 0
		.amdhsa_system_sgpr_workgroup_info 0
		.amdhsa_system_vgpr_workitem_id 0
		.amdhsa_next_free_vgpr 1
		.amdhsa_next_free_sgpr 0
		.amdhsa_accum_offset 4
		.amdhsa_reserve_vcc 0
		.amdhsa_reserve_flat_scratch 0
		.amdhsa_float_round_mode_32 0
		.amdhsa_float_round_mode_16_64 0
		.amdhsa_float_denorm_mode_32 3
		.amdhsa_float_denorm_mode_16_64 3
		.amdhsa_dx10_clamp 1
		.amdhsa_ieee_mode 1
		.amdhsa_fp16_overflow 0
		.amdhsa_tg_split 0
		.amdhsa_exception_fp_ieee_invalid_op 0
		.amdhsa_exception_fp_denorm_src 0
		.amdhsa_exception_fp_ieee_div_zero 0
		.amdhsa_exception_fp_ieee_overflow 0
		.amdhsa_exception_fp_ieee_underflow 0
		.amdhsa_exception_fp_ieee_inexact 0
		.amdhsa_exception_int_div_zero 0
	.end_amdhsa_kernel
	.section	.text._ZN7rocprim17ROCPRIM_400000_NS6detail17trampoline_kernelINS0_14default_configENS1_27scan_by_key_config_selectorIiiEEZZNS1_16scan_by_key_implILNS1_25lookback_scan_determinismE0ELb0ES3_N6thrust23THRUST_200600_302600_NS6detail15normal_iteratorINS9_10device_ptrIiEEEESE_SE_iNS9_4plusIvEE19head_flag_predicateIiEiEE10hipError_tPvRmT2_T3_T4_T5_mT6_T7_P12ihipStream_tbENKUlT_T0_E_clISt17integral_constantIbLb0EESY_IbLb1EEEEDaSU_SV_EUlSU_E_NS1_11comp_targetILNS1_3genE3ELNS1_11target_archE908ELNS1_3gpuE7ELNS1_3repE0EEENS1_30default_config_static_selectorELNS0_4arch9wavefront6targetE1EEEvT1_,"axG",@progbits,_ZN7rocprim17ROCPRIM_400000_NS6detail17trampoline_kernelINS0_14default_configENS1_27scan_by_key_config_selectorIiiEEZZNS1_16scan_by_key_implILNS1_25lookback_scan_determinismE0ELb0ES3_N6thrust23THRUST_200600_302600_NS6detail15normal_iteratorINS9_10device_ptrIiEEEESE_SE_iNS9_4plusIvEE19head_flag_predicateIiEiEE10hipError_tPvRmT2_T3_T4_T5_mT6_T7_P12ihipStream_tbENKUlT_T0_E_clISt17integral_constantIbLb0EESY_IbLb1EEEEDaSU_SV_EUlSU_E_NS1_11comp_targetILNS1_3genE3ELNS1_11target_archE908ELNS1_3gpuE7ELNS1_3repE0EEENS1_30default_config_static_selectorELNS0_4arch9wavefront6targetE1EEEvT1_,comdat
.Lfunc_end76:
	.size	_ZN7rocprim17ROCPRIM_400000_NS6detail17trampoline_kernelINS0_14default_configENS1_27scan_by_key_config_selectorIiiEEZZNS1_16scan_by_key_implILNS1_25lookback_scan_determinismE0ELb0ES3_N6thrust23THRUST_200600_302600_NS6detail15normal_iteratorINS9_10device_ptrIiEEEESE_SE_iNS9_4plusIvEE19head_flag_predicateIiEiEE10hipError_tPvRmT2_T3_T4_T5_mT6_T7_P12ihipStream_tbENKUlT_T0_E_clISt17integral_constantIbLb0EESY_IbLb1EEEEDaSU_SV_EUlSU_E_NS1_11comp_targetILNS1_3genE3ELNS1_11target_archE908ELNS1_3gpuE7ELNS1_3repE0EEENS1_30default_config_static_selectorELNS0_4arch9wavefront6targetE1EEEvT1_, .Lfunc_end76-_ZN7rocprim17ROCPRIM_400000_NS6detail17trampoline_kernelINS0_14default_configENS1_27scan_by_key_config_selectorIiiEEZZNS1_16scan_by_key_implILNS1_25lookback_scan_determinismE0ELb0ES3_N6thrust23THRUST_200600_302600_NS6detail15normal_iteratorINS9_10device_ptrIiEEEESE_SE_iNS9_4plusIvEE19head_flag_predicateIiEiEE10hipError_tPvRmT2_T3_T4_T5_mT6_T7_P12ihipStream_tbENKUlT_T0_E_clISt17integral_constantIbLb0EESY_IbLb1EEEEDaSU_SV_EUlSU_E_NS1_11comp_targetILNS1_3genE3ELNS1_11target_archE908ELNS1_3gpuE7ELNS1_3repE0EEENS1_30default_config_static_selectorELNS0_4arch9wavefront6targetE1EEEvT1_
                                        ; -- End function
	.section	.AMDGPU.csdata,"",@progbits
; Kernel info:
; codeLenInByte = 0
; NumSgprs: 4
; NumVgprs: 0
; NumAgprs: 0
; TotalNumVgprs: 0
; ScratchSize: 0
; MemoryBound: 0
; FloatMode: 240
; IeeeMode: 1
; LDSByteSize: 0 bytes/workgroup (compile time only)
; SGPRBlocks: 0
; VGPRBlocks: 0
; NumSGPRsForWavesPerEU: 4
; NumVGPRsForWavesPerEU: 1
; AccumOffset: 4
; Occupancy: 8
; WaveLimiterHint : 0
; COMPUTE_PGM_RSRC2:SCRATCH_EN: 0
; COMPUTE_PGM_RSRC2:USER_SGPR: 6
; COMPUTE_PGM_RSRC2:TRAP_HANDLER: 0
; COMPUTE_PGM_RSRC2:TGID_X_EN: 1
; COMPUTE_PGM_RSRC2:TGID_Y_EN: 0
; COMPUTE_PGM_RSRC2:TGID_Z_EN: 0
; COMPUTE_PGM_RSRC2:TIDIG_COMP_CNT: 0
; COMPUTE_PGM_RSRC3_GFX90A:ACCUM_OFFSET: 0
; COMPUTE_PGM_RSRC3_GFX90A:TG_SPLIT: 0
	.section	.text._ZN7rocprim17ROCPRIM_400000_NS6detail17trampoline_kernelINS0_14default_configENS1_27scan_by_key_config_selectorIiiEEZZNS1_16scan_by_key_implILNS1_25lookback_scan_determinismE0ELb0ES3_N6thrust23THRUST_200600_302600_NS6detail15normal_iteratorINS9_10device_ptrIiEEEESE_SE_iNS9_4plusIvEE19head_flag_predicateIiEiEE10hipError_tPvRmT2_T3_T4_T5_mT6_T7_P12ihipStream_tbENKUlT_T0_E_clISt17integral_constantIbLb0EESY_IbLb1EEEEDaSU_SV_EUlSU_E_NS1_11comp_targetILNS1_3genE2ELNS1_11target_archE906ELNS1_3gpuE6ELNS1_3repE0EEENS1_30default_config_static_selectorELNS0_4arch9wavefront6targetE1EEEvT1_,"axG",@progbits,_ZN7rocprim17ROCPRIM_400000_NS6detail17trampoline_kernelINS0_14default_configENS1_27scan_by_key_config_selectorIiiEEZZNS1_16scan_by_key_implILNS1_25lookback_scan_determinismE0ELb0ES3_N6thrust23THRUST_200600_302600_NS6detail15normal_iteratorINS9_10device_ptrIiEEEESE_SE_iNS9_4plusIvEE19head_flag_predicateIiEiEE10hipError_tPvRmT2_T3_T4_T5_mT6_T7_P12ihipStream_tbENKUlT_T0_E_clISt17integral_constantIbLb0EESY_IbLb1EEEEDaSU_SV_EUlSU_E_NS1_11comp_targetILNS1_3genE2ELNS1_11target_archE906ELNS1_3gpuE6ELNS1_3repE0EEENS1_30default_config_static_selectorELNS0_4arch9wavefront6targetE1EEEvT1_,comdat
	.protected	_ZN7rocprim17ROCPRIM_400000_NS6detail17trampoline_kernelINS0_14default_configENS1_27scan_by_key_config_selectorIiiEEZZNS1_16scan_by_key_implILNS1_25lookback_scan_determinismE0ELb0ES3_N6thrust23THRUST_200600_302600_NS6detail15normal_iteratorINS9_10device_ptrIiEEEESE_SE_iNS9_4plusIvEE19head_flag_predicateIiEiEE10hipError_tPvRmT2_T3_T4_T5_mT6_T7_P12ihipStream_tbENKUlT_T0_E_clISt17integral_constantIbLb0EESY_IbLb1EEEEDaSU_SV_EUlSU_E_NS1_11comp_targetILNS1_3genE2ELNS1_11target_archE906ELNS1_3gpuE6ELNS1_3repE0EEENS1_30default_config_static_selectorELNS0_4arch9wavefront6targetE1EEEvT1_ ; -- Begin function _ZN7rocprim17ROCPRIM_400000_NS6detail17trampoline_kernelINS0_14default_configENS1_27scan_by_key_config_selectorIiiEEZZNS1_16scan_by_key_implILNS1_25lookback_scan_determinismE0ELb0ES3_N6thrust23THRUST_200600_302600_NS6detail15normal_iteratorINS9_10device_ptrIiEEEESE_SE_iNS9_4plusIvEE19head_flag_predicateIiEiEE10hipError_tPvRmT2_T3_T4_T5_mT6_T7_P12ihipStream_tbENKUlT_T0_E_clISt17integral_constantIbLb0EESY_IbLb1EEEEDaSU_SV_EUlSU_E_NS1_11comp_targetILNS1_3genE2ELNS1_11target_archE906ELNS1_3gpuE6ELNS1_3repE0EEENS1_30default_config_static_selectorELNS0_4arch9wavefront6targetE1EEEvT1_
	.globl	_ZN7rocprim17ROCPRIM_400000_NS6detail17trampoline_kernelINS0_14default_configENS1_27scan_by_key_config_selectorIiiEEZZNS1_16scan_by_key_implILNS1_25lookback_scan_determinismE0ELb0ES3_N6thrust23THRUST_200600_302600_NS6detail15normal_iteratorINS9_10device_ptrIiEEEESE_SE_iNS9_4plusIvEE19head_flag_predicateIiEiEE10hipError_tPvRmT2_T3_T4_T5_mT6_T7_P12ihipStream_tbENKUlT_T0_E_clISt17integral_constantIbLb0EESY_IbLb1EEEEDaSU_SV_EUlSU_E_NS1_11comp_targetILNS1_3genE2ELNS1_11target_archE906ELNS1_3gpuE6ELNS1_3repE0EEENS1_30default_config_static_selectorELNS0_4arch9wavefront6targetE1EEEvT1_
	.p2align	8
	.type	_ZN7rocprim17ROCPRIM_400000_NS6detail17trampoline_kernelINS0_14default_configENS1_27scan_by_key_config_selectorIiiEEZZNS1_16scan_by_key_implILNS1_25lookback_scan_determinismE0ELb0ES3_N6thrust23THRUST_200600_302600_NS6detail15normal_iteratorINS9_10device_ptrIiEEEESE_SE_iNS9_4plusIvEE19head_flag_predicateIiEiEE10hipError_tPvRmT2_T3_T4_T5_mT6_T7_P12ihipStream_tbENKUlT_T0_E_clISt17integral_constantIbLb0EESY_IbLb1EEEEDaSU_SV_EUlSU_E_NS1_11comp_targetILNS1_3genE2ELNS1_11target_archE906ELNS1_3gpuE6ELNS1_3repE0EEENS1_30default_config_static_selectorELNS0_4arch9wavefront6targetE1EEEvT1_,@function
_ZN7rocprim17ROCPRIM_400000_NS6detail17trampoline_kernelINS0_14default_configENS1_27scan_by_key_config_selectorIiiEEZZNS1_16scan_by_key_implILNS1_25lookback_scan_determinismE0ELb0ES3_N6thrust23THRUST_200600_302600_NS6detail15normal_iteratorINS9_10device_ptrIiEEEESE_SE_iNS9_4plusIvEE19head_flag_predicateIiEiEE10hipError_tPvRmT2_T3_T4_T5_mT6_T7_P12ihipStream_tbENKUlT_T0_E_clISt17integral_constantIbLb0EESY_IbLb1EEEEDaSU_SV_EUlSU_E_NS1_11comp_targetILNS1_3genE2ELNS1_11target_archE906ELNS1_3gpuE6ELNS1_3repE0EEENS1_30default_config_static_selectorELNS0_4arch9wavefront6targetE1EEEvT1_: ; @_ZN7rocprim17ROCPRIM_400000_NS6detail17trampoline_kernelINS0_14default_configENS1_27scan_by_key_config_selectorIiiEEZZNS1_16scan_by_key_implILNS1_25lookback_scan_determinismE0ELb0ES3_N6thrust23THRUST_200600_302600_NS6detail15normal_iteratorINS9_10device_ptrIiEEEESE_SE_iNS9_4plusIvEE19head_flag_predicateIiEiEE10hipError_tPvRmT2_T3_T4_T5_mT6_T7_P12ihipStream_tbENKUlT_T0_E_clISt17integral_constantIbLb0EESY_IbLb1EEEEDaSU_SV_EUlSU_E_NS1_11comp_targetILNS1_3genE2ELNS1_11target_archE906ELNS1_3gpuE6ELNS1_3repE0EEENS1_30default_config_static_selectorELNS0_4arch9wavefront6targetE1EEEvT1_
; %bb.0:
	.section	.rodata,"a",@progbits
	.p2align	6, 0x0
	.amdhsa_kernel _ZN7rocprim17ROCPRIM_400000_NS6detail17trampoline_kernelINS0_14default_configENS1_27scan_by_key_config_selectorIiiEEZZNS1_16scan_by_key_implILNS1_25lookback_scan_determinismE0ELb0ES3_N6thrust23THRUST_200600_302600_NS6detail15normal_iteratorINS9_10device_ptrIiEEEESE_SE_iNS9_4plusIvEE19head_flag_predicateIiEiEE10hipError_tPvRmT2_T3_T4_T5_mT6_T7_P12ihipStream_tbENKUlT_T0_E_clISt17integral_constantIbLb0EESY_IbLb1EEEEDaSU_SV_EUlSU_E_NS1_11comp_targetILNS1_3genE2ELNS1_11target_archE906ELNS1_3gpuE6ELNS1_3repE0EEENS1_30default_config_static_selectorELNS0_4arch9wavefront6targetE1EEEvT1_
		.amdhsa_group_segment_fixed_size 0
		.amdhsa_private_segment_fixed_size 0
		.amdhsa_kernarg_size 112
		.amdhsa_user_sgpr_count 6
		.amdhsa_user_sgpr_private_segment_buffer 1
		.amdhsa_user_sgpr_dispatch_ptr 0
		.amdhsa_user_sgpr_queue_ptr 0
		.amdhsa_user_sgpr_kernarg_segment_ptr 1
		.amdhsa_user_sgpr_dispatch_id 0
		.amdhsa_user_sgpr_flat_scratch_init 0
		.amdhsa_user_sgpr_kernarg_preload_length 0
		.amdhsa_user_sgpr_kernarg_preload_offset 0
		.amdhsa_user_sgpr_private_segment_size 0
		.amdhsa_uses_dynamic_stack 0
		.amdhsa_system_sgpr_private_segment_wavefront_offset 0
		.amdhsa_system_sgpr_workgroup_id_x 1
		.amdhsa_system_sgpr_workgroup_id_y 0
		.amdhsa_system_sgpr_workgroup_id_z 0
		.amdhsa_system_sgpr_workgroup_info 0
		.amdhsa_system_vgpr_workitem_id 0
		.amdhsa_next_free_vgpr 1
		.amdhsa_next_free_sgpr 0
		.amdhsa_accum_offset 4
		.amdhsa_reserve_vcc 0
		.amdhsa_reserve_flat_scratch 0
		.amdhsa_float_round_mode_32 0
		.amdhsa_float_round_mode_16_64 0
		.amdhsa_float_denorm_mode_32 3
		.amdhsa_float_denorm_mode_16_64 3
		.amdhsa_dx10_clamp 1
		.amdhsa_ieee_mode 1
		.amdhsa_fp16_overflow 0
		.amdhsa_tg_split 0
		.amdhsa_exception_fp_ieee_invalid_op 0
		.amdhsa_exception_fp_denorm_src 0
		.amdhsa_exception_fp_ieee_div_zero 0
		.amdhsa_exception_fp_ieee_overflow 0
		.amdhsa_exception_fp_ieee_underflow 0
		.amdhsa_exception_fp_ieee_inexact 0
		.amdhsa_exception_int_div_zero 0
	.end_amdhsa_kernel
	.section	.text._ZN7rocprim17ROCPRIM_400000_NS6detail17trampoline_kernelINS0_14default_configENS1_27scan_by_key_config_selectorIiiEEZZNS1_16scan_by_key_implILNS1_25lookback_scan_determinismE0ELb0ES3_N6thrust23THRUST_200600_302600_NS6detail15normal_iteratorINS9_10device_ptrIiEEEESE_SE_iNS9_4plusIvEE19head_flag_predicateIiEiEE10hipError_tPvRmT2_T3_T4_T5_mT6_T7_P12ihipStream_tbENKUlT_T0_E_clISt17integral_constantIbLb0EESY_IbLb1EEEEDaSU_SV_EUlSU_E_NS1_11comp_targetILNS1_3genE2ELNS1_11target_archE906ELNS1_3gpuE6ELNS1_3repE0EEENS1_30default_config_static_selectorELNS0_4arch9wavefront6targetE1EEEvT1_,"axG",@progbits,_ZN7rocprim17ROCPRIM_400000_NS6detail17trampoline_kernelINS0_14default_configENS1_27scan_by_key_config_selectorIiiEEZZNS1_16scan_by_key_implILNS1_25lookback_scan_determinismE0ELb0ES3_N6thrust23THRUST_200600_302600_NS6detail15normal_iteratorINS9_10device_ptrIiEEEESE_SE_iNS9_4plusIvEE19head_flag_predicateIiEiEE10hipError_tPvRmT2_T3_T4_T5_mT6_T7_P12ihipStream_tbENKUlT_T0_E_clISt17integral_constantIbLb0EESY_IbLb1EEEEDaSU_SV_EUlSU_E_NS1_11comp_targetILNS1_3genE2ELNS1_11target_archE906ELNS1_3gpuE6ELNS1_3repE0EEENS1_30default_config_static_selectorELNS0_4arch9wavefront6targetE1EEEvT1_,comdat
.Lfunc_end77:
	.size	_ZN7rocprim17ROCPRIM_400000_NS6detail17trampoline_kernelINS0_14default_configENS1_27scan_by_key_config_selectorIiiEEZZNS1_16scan_by_key_implILNS1_25lookback_scan_determinismE0ELb0ES3_N6thrust23THRUST_200600_302600_NS6detail15normal_iteratorINS9_10device_ptrIiEEEESE_SE_iNS9_4plusIvEE19head_flag_predicateIiEiEE10hipError_tPvRmT2_T3_T4_T5_mT6_T7_P12ihipStream_tbENKUlT_T0_E_clISt17integral_constantIbLb0EESY_IbLb1EEEEDaSU_SV_EUlSU_E_NS1_11comp_targetILNS1_3genE2ELNS1_11target_archE906ELNS1_3gpuE6ELNS1_3repE0EEENS1_30default_config_static_selectorELNS0_4arch9wavefront6targetE1EEEvT1_, .Lfunc_end77-_ZN7rocprim17ROCPRIM_400000_NS6detail17trampoline_kernelINS0_14default_configENS1_27scan_by_key_config_selectorIiiEEZZNS1_16scan_by_key_implILNS1_25lookback_scan_determinismE0ELb0ES3_N6thrust23THRUST_200600_302600_NS6detail15normal_iteratorINS9_10device_ptrIiEEEESE_SE_iNS9_4plusIvEE19head_flag_predicateIiEiEE10hipError_tPvRmT2_T3_T4_T5_mT6_T7_P12ihipStream_tbENKUlT_T0_E_clISt17integral_constantIbLb0EESY_IbLb1EEEEDaSU_SV_EUlSU_E_NS1_11comp_targetILNS1_3genE2ELNS1_11target_archE906ELNS1_3gpuE6ELNS1_3repE0EEENS1_30default_config_static_selectorELNS0_4arch9wavefront6targetE1EEEvT1_
                                        ; -- End function
	.section	.AMDGPU.csdata,"",@progbits
; Kernel info:
; codeLenInByte = 0
; NumSgprs: 4
; NumVgprs: 0
; NumAgprs: 0
; TotalNumVgprs: 0
; ScratchSize: 0
; MemoryBound: 0
; FloatMode: 240
; IeeeMode: 1
; LDSByteSize: 0 bytes/workgroup (compile time only)
; SGPRBlocks: 0
; VGPRBlocks: 0
; NumSGPRsForWavesPerEU: 4
; NumVGPRsForWavesPerEU: 1
; AccumOffset: 4
; Occupancy: 8
; WaveLimiterHint : 0
; COMPUTE_PGM_RSRC2:SCRATCH_EN: 0
; COMPUTE_PGM_RSRC2:USER_SGPR: 6
; COMPUTE_PGM_RSRC2:TRAP_HANDLER: 0
; COMPUTE_PGM_RSRC2:TGID_X_EN: 1
; COMPUTE_PGM_RSRC2:TGID_Y_EN: 0
; COMPUTE_PGM_RSRC2:TGID_Z_EN: 0
; COMPUTE_PGM_RSRC2:TIDIG_COMP_CNT: 0
; COMPUTE_PGM_RSRC3_GFX90A:ACCUM_OFFSET: 0
; COMPUTE_PGM_RSRC3_GFX90A:TG_SPLIT: 0
	.section	.text._ZN7rocprim17ROCPRIM_400000_NS6detail17trampoline_kernelINS0_14default_configENS1_27scan_by_key_config_selectorIiiEEZZNS1_16scan_by_key_implILNS1_25lookback_scan_determinismE0ELb0ES3_N6thrust23THRUST_200600_302600_NS6detail15normal_iteratorINS9_10device_ptrIiEEEESE_SE_iNS9_4plusIvEE19head_flag_predicateIiEiEE10hipError_tPvRmT2_T3_T4_T5_mT6_T7_P12ihipStream_tbENKUlT_T0_E_clISt17integral_constantIbLb0EESY_IbLb1EEEEDaSU_SV_EUlSU_E_NS1_11comp_targetILNS1_3genE10ELNS1_11target_archE1200ELNS1_3gpuE4ELNS1_3repE0EEENS1_30default_config_static_selectorELNS0_4arch9wavefront6targetE1EEEvT1_,"axG",@progbits,_ZN7rocprim17ROCPRIM_400000_NS6detail17trampoline_kernelINS0_14default_configENS1_27scan_by_key_config_selectorIiiEEZZNS1_16scan_by_key_implILNS1_25lookback_scan_determinismE0ELb0ES3_N6thrust23THRUST_200600_302600_NS6detail15normal_iteratorINS9_10device_ptrIiEEEESE_SE_iNS9_4plusIvEE19head_flag_predicateIiEiEE10hipError_tPvRmT2_T3_T4_T5_mT6_T7_P12ihipStream_tbENKUlT_T0_E_clISt17integral_constantIbLb0EESY_IbLb1EEEEDaSU_SV_EUlSU_E_NS1_11comp_targetILNS1_3genE10ELNS1_11target_archE1200ELNS1_3gpuE4ELNS1_3repE0EEENS1_30default_config_static_selectorELNS0_4arch9wavefront6targetE1EEEvT1_,comdat
	.protected	_ZN7rocprim17ROCPRIM_400000_NS6detail17trampoline_kernelINS0_14default_configENS1_27scan_by_key_config_selectorIiiEEZZNS1_16scan_by_key_implILNS1_25lookback_scan_determinismE0ELb0ES3_N6thrust23THRUST_200600_302600_NS6detail15normal_iteratorINS9_10device_ptrIiEEEESE_SE_iNS9_4plusIvEE19head_flag_predicateIiEiEE10hipError_tPvRmT2_T3_T4_T5_mT6_T7_P12ihipStream_tbENKUlT_T0_E_clISt17integral_constantIbLb0EESY_IbLb1EEEEDaSU_SV_EUlSU_E_NS1_11comp_targetILNS1_3genE10ELNS1_11target_archE1200ELNS1_3gpuE4ELNS1_3repE0EEENS1_30default_config_static_selectorELNS0_4arch9wavefront6targetE1EEEvT1_ ; -- Begin function _ZN7rocprim17ROCPRIM_400000_NS6detail17trampoline_kernelINS0_14default_configENS1_27scan_by_key_config_selectorIiiEEZZNS1_16scan_by_key_implILNS1_25lookback_scan_determinismE0ELb0ES3_N6thrust23THRUST_200600_302600_NS6detail15normal_iteratorINS9_10device_ptrIiEEEESE_SE_iNS9_4plusIvEE19head_flag_predicateIiEiEE10hipError_tPvRmT2_T3_T4_T5_mT6_T7_P12ihipStream_tbENKUlT_T0_E_clISt17integral_constantIbLb0EESY_IbLb1EEEEDaSU_SV_EUlSU_E_NS1_11comp_targetILNS1_3genE10ELNS1_11target_archE1200ELNS1_3gpuE4ELNS1_3repE0EEENS1_30default_config_static_selectorELNS0_4arch9wavefront6targetE1EEEvT1_
	.globl	_ZN7rocprim17ROCPRIM_400000_NS6detail17trampoline_kernelINS0_14default_configENS1_27scan_by_key_config_selectorIiiEEZZNS1_16scan_by_key_implILNS1_25lookback_scan_determinismE0ELb0ES3_N6thrust23THRUST_200600_302600_NS6detail15normal_iteratorINS9_10device_ptrIiEEEESE_SE_iNS9_4plusIvEE19head_flag_predicateIiEiEE10hipError_tPvRmT2_T3_T4_T5_mT6_T7_P12ihipStream_tbENKUlT_T0_E_clISt17integral_constantIbLb0EESY_IbLb1EEEEDaSU_SV_EUlSU_E_NS1_11comp_targetILNS1_3genE10ELNS1_11target_archE1200ELNS1_3gpuE4ELNS1_3repE0EEENS1_30default_config_static_selectorELNS0_4arch9wavefront6targetE1EEEvT1_
	.p2align	8
	.type	_ZN7rocprim17ROCPRIM_400000_NS6detail17trampoline_kernelINS0_14default_configENS1_27scan_by_key_config_selectorIiiEEZZNS1_16scan_by_key_implILNS1_25lookback_scan_determinismE0ELb0ES3_N6thrust23THRUST_200600_302600_NS6detail15normal_iteratorINS9_10device_ptrIiEEEESE_SE_iNS9_4plusIvEE19head_flag_predicateIiEiEE10hipError_tPvRmT2_T3_T4_T5_mT6_T7_P12ihipStream_tbENKUlT_T0_E_clISt17integral_constantIbLb0EESY_IbLb1EEEEDaSU_SV_EUlSU_E_NS1_11comp_targetILNS1_3genE10ELNS1_11target_archE1200ELNS1_3gpuE4ELNS1_3repE0EEENS1_30default_config_static_selectorELNS0_4arch9wavefront6targetE1EEEvT1_,@function
_ZN7rocprim17ROCPRIM_400000_NS6detail17trampoline_kernelINS0_14default_configENS1_27scan_by_key_config_selectorIiiEEZZNS1_16scan_by_key_implILNS1_25lookback_scan_determinismE0ELb0ES3_N6thrust23THRUST_200600_302600_NS6detail15normal_iteratorINS9_10device_ptrIiEEEESE_SE_iNS9_4plusIvEE19head_flag_predicateIiEiEE10hipError_tPvRmT2_T3_T4_T5_mT6_T7_P12ihipStream_tbENKUlT_T0_E_clISt17integral_constantIbLb0EESY_IbLb1EEEEDaSU_SV_EUlSU_E_NS1_11comp_targetILNS1_3genE10ELNS1_11target_archE1200ELNS1_3gpuE4ELNS1_3repE0EEENS1_30default_config_static_selectorELNS0_4arch9wavefront6targetE1EEEvT1_: ; @_ZN7rocprim17ROCPRIM_400000_NS6detail17trampoline_kernelINS0_14default_configENS1_27scan_by_key_config_selectorIiiEEZZNS1_16scan_by_key_implILNS1_25lookback_scan_determinismE0ELb0ES3_N6thrust23THRUST_200600_302600_NS6detail15normal_iteratorINS9_10device_ptrIiEEEESE_SE_iNS9_4plusIvEE19head_flag_predicateIiEiEE10hipError_tPvRmT2_T3_T4_T5_mT6_T7_P12ihipStream_tbENKUlT_T0_E_clISt17integral_constantIbLb0EESY_IbLb1EEEEDaSU_SV_EUlSU_E_NS1_11comp_targetILNS1_3genE10ELNS1_11target_archE1200ELNS1_3gpuE4ELNS1_3repE0EEENS1_30default_config_static_selectorELNS0_4arch9wavefront6targetE1EEEvT1_
; %bb.0:
	.section	.rodata,"a",@progbits
	.p2align	6, 0x0
	.amdhsa_kernel _ZN7rocprim17ROCPRIM_400000_NS6detail17trampoline_kernelINS0_14default_configENS1_27scan_by_key_config_selectorIiiEEZZNS1_16scan_by_key_implILNS1_25lookback_scan_determinismE0ELb0ES3_N6thrust23THRUST_200600_302600_NS6detail15normal_iteratorINS9_10device_ptrIiEEEESE_SE_iNS9_4plusIvEE19head_flag_predicateIiEiEE10hipError_tPvRmT2_T3_T4_T5_mT6_T7_P12ihipStream_tbENKUlT_T0_E_clISt17integral_constantIbLb0EESY_IbLb1EEEEDaSU_SV_EUlSU_E_NS1_11comp_targetILNS1_3genE10ELNS1_11target_archE1200ELNS1_3gpuE4ELNS1_3repE0EEENS1_30default_config_static_selectorELNS0_4arch9wavefront6targetE1EEEvT1_
		.amdhsa_group_segment_fixed_size 0
		.amdhsa_private_segment_fixed_size 0
		.amdhsa_kernarg_size 112
		.amdhsa_user_sgpr_count 6
		.amdhsa_user_sgpr_private_segment_buffer 1
		.amdhsa_user_sgpr_dispatch_ptr 0
		.amdhsa_user_sgpr_queue_ptr 0
		.amdhsa_user_sgpr_kernarg_segment_ptr 1
		.amdhsa_user_sgpr_dispatch_id 0
		.amdhsa_user_sgpr_flat_scratch_init 0
		.amdhsa_user_sgpr_kernarg_preload_length 0
		.amdhsa_user_sgpr_kernarg_preload_offset 0
		.amdhsa_user_sgpr_private_segment_size 0
		.amdhsa_uses_dynamic_stack 0
		.amdhsa_system_sgpr_private_segment_wavefront_offset 0
		.amdhsa_system_sgpr_workgroup_id_x 1
		.amdhsa_system_sgpr_workgroup_id_y 0
		.amdhsa_system_sgpr_workgroup_id_z 0
		.amdhsa_system_sgpr_workgroup_info 0
		.amdhsa_system_vgpr_workitem_id 0
		.amdhsa_next_free_vgpr 1
		.amdhsa_next_free_sgpr 0
		.amdhsa_accum_offset 4
		.amdhsa_reserve_vcc 0
		.amdhsa_reserve_flat_scratch 0
		.amdhsa_float_round_mode_32 0
		.amdhsa_float_round_mode_16_64 0
		.amdhsa_float_denorm_mode_32 3
		.amdhsa_float_denorm_mode_16_64 3
		.amdhsa_dx10_clamp 1
		.amdhsa_ieee_mode 1
		.amdhsa_fp16_overflow 0
		.amdhsa_tg_split 0
		.amdhsa_exception_fp_ieee_invalid_op 0
		.amdhsa_exception_fp_denorm_src 0
		.amdhsa_exception_fp_ieee_div_zero 0
		.amdhsa_exception_fp_ieee_overflow 0
		.amdhsa_exception_fp_ieee_underflow 0
		.amdhsa_exception_fp_ieee_inexact 0
		.amdhsa_exception_int_div_zero 0
	.end_amdhsa_kernel
	.section	.text._ZN7rocprim17ROCPRIM_400000_NS6detail17trampoline_kernelINS0_14default_configENS1_27scan_by_key_config_selectorIiiEEZZNS1_16scan_by_key_implILNS1_25lookback_scan_determinismE0ELb0ES3_N6thrust23THRUST_200600_302600_NS6detail15normal_iteratorINS9_10device_ptrIiEEEESE_SE_iNS9_4plusIvEE19head_flag_predicateIiEiEE10hipError_tPvRmT2_T3_T4_T5_mT6_T7_P12ihipStream_tbENKUlT_T0_E_clISt17integral_constantIbLb0EESY_IbLb1EEEEDaSU_SV_EUlSU_E_NS1_11comp_targetILNS1_3genE10ELNS1_11target_archE1200ELNS1_3gpuE4ELNS1_3repE0EEENS1_30default_config_static_selectorELNS0_4arch9wavefront6targetE1EEEvT1_,"axG",@progbits,_ZN7rocprim17ROCPRIM_400000_NS6detail17trampoline_kernelINS0_14default_configENS1_27scan_by_key_config_selectorIiiEEZZNS1_16scan_by_key_implILNS1_25lookback_scan_determinismE0ELb0ES3_N6thrust23THRUST_200600_302600_NS6detail15normal_iteratorINS9_10device_ptrIiEEEESE_SE_iNS9_4plusIvEE19head_flag_predicateIiEiEE10hipError_tPvRmT2_T3_T4_T5_mT6_T7_P12ihipStream_tbENKUlT_T0_E_clISt17integral_constantIbLb0EESY_IbLb1EEEEDaSU_SV_EUlSU_E_NS1_11comp_targetILNS1_3genE10ELNS1_11target_archE1200ELNS1_3gpuE4ELNS1_3repE0EEENS1_30default_config_static_selectorELNS0_4arch9wavefront6targetE1EEEvT1_,comdat
.Lfunc_end78:
	.size	_ZN7rocprim17ROCPRIM_400000_NS6detail17trampoline_kernelINS0_14default_configENS1_27scan_by_key_config_selectorIiiEEZZNS1_16scan_by_key_implILNS1_25lookback_scan_determinismE0ELb0ES3_N6thrust23THRUST_200600_302600_NS6detail15normal_iteratorINS9_10device_ptrIiEEEESE_SE_iNS9_4plusIvEE19head_flag_predicateIiEiEE10hipError_tPvRmT2_T3_T4_T5_mT6_T7_P12ihipStream_tbENKUlT_T0_E_clISt17integral_constantIbLb0EESY_IbLb1EEEEDaSU_SV_EUlSU_E_NS1_11comp_targetILNS1_3genE10ELNS1_11target_archE1200ELNS1_3gpuE4ELNS1_3repE0EEENS1_30default_config_static_selectorELNS0_4arch9wavefront6targetE1EEEvT1_, .Lfunc_end78-_ZN7rocprim17ROCPRIM_400000_NS6detail17trampoline_kernelINS0_14default_configENS1_27scan_by_key_config_selectorIiiEEZZNS1_16scan_by_key_implILNS1_25lookback_scan_determinismE0ELb0ES3_N6thrust23THRUST_200600_302600_NS6detail15normal_iteratorINS9_10device_ptrIiEEEESE_SE_iNS9_4plusIvEE19head_flag_predicateIiEiEE10hipError_tPvRmT2_T3_T4_T5_mT6_T7_P12ihipStream_tbENKUlT_T0_E_clISt17integral_constantIbLb0EESY_IbLb1EEEEDaSU_SV_EUlSU_E_NS1_11comp_targetILNS1_3genE10ELNS1_11target_archE1200ELNS1_3gpuE4ELNS1_3repE0EEENS1_30default_config_static_selectorELNS0_4arch9wavefront6targetE1EEEvT1_
                                        ; -- End function
	.section	.AMDGPU.csdata,"",@progbits
; Kernel info:
; codeLenInByte = 0
; NumSgprs: 4
; NumVgprs: 0
; NumAgprs: 0
; TotalNumVgprs: 0
; ScratchSize: 0
; MemoryBound: 0
; FloatMode: 240
; IeeeMode: 1
; LDSByteSize: 0 bytes/workgroup (compile time only)
; SGPRBlocks: 0
; VGPRBlocks: 0
; NumSGPRsForWavesPerEU: 4
; NumVGPRsForWavesPerEU: 1
; AccumOffset: 4
; Occupancy: 8
; WaveLimiterHint : 0
; COMPUTE_PGM_RSRC2:SCRATCH_EN: 0
; COMPUTE_PGM_RSRC2:USER_SGPR: 6
; COMPUTE_PGM_RSRC2:TRAP_HANDLER: 0
; COMPUTE_PGM_RSRC2:TGID_X_EN: 1
; COMPUTE_PGM_RSRC2:TGID_Y_EN: 0
; COMPUTE_PGM_RSRC2:TGID_Z_EN: 0
; COMPUTE_PGM_RSRC2:TIDIG_COMP_CNT: 0
; COMPUTE_PGM_RSRC3_GFX90A:ACCUM_OFFSET: 0
; COMPUTE_PGM_RSRC3_GFX90A:TG_SPLIT: 0
	.section	.text._ZN7rocprim17ROCPRIM_400000_NS6detail17trampoline_kernelINS0_14default_configENS1_27scan_by_key_config_selectorIiiEEZZNS1_16scan_by_key_implILNS1_25lookback_scan_determinismE0ELb0ES3_N6thrust23THRUST_200600_302600_NS6detail15normal_iteratorINS9_10device_ptrIiEEEESE_SE_iNS9_4plusIvEE19head_flag_predicateIiEiEE10hipError_tPvRmT2_T3_T4_T5_mT6_T7_P12ihipStream_tbENKUlT_T0_E_clISt17integral_constantIbLb0EESY_IbLb1EEEEDaSU_SV_EUlSU_E_NS1_11comp_targetILNS1_3genE9ELNS1_11target_archE1100ELNS1_3gpuE3ELNS1_3repE0EEENS1_30default_config_static_selectorELNS0_4arch9wavefront6targetE1EEEvT1_,"axG",@progbits,_ZN7rocprim17ROCPRIM_400000_NS6detail17trampoline_kernelINS0_14default_configENS1_27scan_by_key_config_selectorIiiEEZZNS1_16scan_by_key_implILNS1_25lookback_scan_determinismE0ELb0ES3_N6thrust23THRUST_200600_302600_NS6detail15normal_iteratorINS9_10device_ptrIiEEEESE_SE_iNS9_4plusIvEE19head_flag_predicateIiEiEE10hipError_tPvRmT2_T3_T4_T5_mT6_T7_P12ihipStream_tbENKUlT_T0_E_clISt17integral_constantIbLb0EESY_IbLb1EEEEDaSU_SV_EUlSU_E_NS1_11comp_targetILNS1_3genE9ELNS1_11target_archE1100ELNS1_3gpuE3ELNS1_3repE0EEENS1_30default_config_static_selectorELNS0_4arch9wavefront6targetE1EEEvT1_,comdat
	.protected	_ZN7rocprim17ROCPRIM_400000_NS6detail17trampoline_kernelINS0_14default_configENS1_27scan_by_key_config_selectorIiiEEZZNS1_16scan_by_key_implILNS1_25lookback_scan_determinismE0ELb0ES3_N6thrust23THRUST_200600_302600_NS6detail15normal_iteratorINS9_10device_ptrIiEEEESE_SE_iNS9_4plusIvEE19head_flag_predicateIiEiEE10hipError_tPvRmT2_T3_T4_T5_mT6_T7_P12ihipStream_tbENKUlT_T0_E_clISt17integral_constantIbLb0EESY_IbLb1EEEEDaSU_SV_EUlSU_E_NS1_11comp_targetILNS1_3genE9ELNS1_11target_archE1100ELNS1_3gpuE3ELNS1_3repE0EEENS1_30default_config_static_selectorELNS0_4arch9wavefront6targetE1EEEvT1_ ; -- Begin function _ZN7rocprim17ROCPRIM_400000_NS6detail17trampoline_kernelINS0_14default_configENS1_27scan_by_key_config_selectorIiiEEZZNS1_16scan_by_key_implILNS1_25lookback_scan_determinismE0ELb0ES3_N6thrust23THRUST_200600_302600_NS6detail15normal_iteratorINS9_10device_ptrIiEEEESE_SE_iNS9_4plusIvEE19head_flag_predicateIiEiEE10hipError_tPvRmT2_T3_T4_T5_mT6_T7_P12ihipStream_tbENKUlT_T0_E_clISt17integral_constantIbLb0EESY_IbLb1EEEEDaSU_SV_EUlSU_E_NS1_11comp_targetILNS1_3genE9ELNS1_11target_archE1100ELNS1_3gpuE3ELNS1_3repE0EEENS1_30default_config_static_selectorELNS0_4arch9wavefront6targetE1EEEvT1_
	.globl	_ZN7rocprim17ROCPRIM_400000_NS6detail17trampoline_kernelINS0_14default_configENS1_27scan_by_key_config_selectorIiiEEZZNS1_16scan_by_key_implILNS1_25lookback_scan_determinismE0ELb0ES3_N6thrust23THRUST_200600_302600_NS6detail15normal_iteratorINS9_10device_ptrIiEEEESE_SE_iNS9_4plusIvEE19head_flag_predicateIiEiEE10hipError_tPvRmT2_T3_T4_T5_mT6_T7_P12ihipStream_tbENKUlT_T0_E_clISt17integral_constantIbLb0EESY_IbLb1EEEEDaSU_SV_EUlSU_E_NS1_11comp_targetILNS1_3genE9ELNS1_11target_archE1100ELNS1_3gpuE3ELNS1_3repE0EEENS1_30default_config_static_selectorELNS0_4arch9wavefront6targetE1EEEvT1_
	.p2align	8
	.type	_ZN7rocprim17ROCPRIM_400000_NS6detail17trampoline_kernelINS0_14default_configENS1_27scan_by_key_config_selectorIiiEEZZNS1_16scan_by_key_implILNS1_25lookback_scan_determinismE0ELb0ES3_N6thrust23THRUST_200600_302600_NS6detail15normal_iteratorINS9_10device_ptrIiEEEESE_SE_iNS9_4plusIvEE19head_flag_predicateIiEiEE10hipError_tPvRmT2_T3_T4_T5_mT6_T7_P12ihipStream_tbENKUlT_T0_E_clISt17integral_constantIbLb0EESY_IbLb1EEEEDaSU_SV_EUlSU_E_NS1_11comp_targetILNS1_3genE9ELNS1_11target_archE1100ELNS1_3gpuE3ELNS1_3repE0EEENS1_30default_config_static_selectorELNS0_4arch9wavefront6targetE1EEEvT1_,@function
_ZN7rocprim17ROCPRIM_400000_NS6detail17trampoline_kernelINS0_14default_configENS1_27scan_by_key_config_selectorIiiEEZZNS1_16scan_by_key_implILNS1_25lookback_scan_determinismE0ELb0ES3_N6thrust23THRUST_200600_302600_NS6detail15normal_iteratorINS9_10device_ptrIiEEEESE_SE_iNS9_4plusIvEE19head_flag_predicateIiEiEE10hipError_tPvRmT2_T3_T4_T5_mT6_T7_P12ihipStream_tbENKUlT_T0_E_clISt17integral_constantIbLb0EESY_IbLb1EEEEDaSU_SV_EUlSU_E_NS1_11comp_targetILNS1_3genE9ELNS1_11target_archE1100ELNS1_3gpuE3ELNS1_3repE0EEENS1_30default_config_static_selectorELNS0_4arch9wavefront6targetE1EEEvT1_: ; @_ZN7rocprim17ROCPRIM_400000_NS6detail17trampoline_kernelINS0_14default_configENS1_27scan_by_key_config_selectorIiiEEZZNS1_16scan_by_key_implILNS1_25lookback_scan_determinismE0ELb0ES3_N6thrust23THRUST_200600_302600_NS6detail15normal_iteratorINS9_10device_ptrIiEEEESE_SE_iNS9_4plusIvEE19head_flag_predicateIiEiEE10hipError_tPvRmT2_T3_T4_T5_mT6_T7_P12ihipStream_tbENKUlT_T0_E_clISt17integral_constantIbLb0EESY_IbLb1EEEEDaSU_SV_EUlSU_E_NS1_11comp_targetILNS1_3genE9ELNS1_11target_archE1100ELNS1_3gpuE3ELNS1_3repE0EEENS1_30default_config_static_selectorELNS0_4arch9wavefront6targetE1EEEvT1_
; %bb.0:
	.section	.rodata,"a",@progbits
	.p2align	6, 0x0
	.amdhsa_kernel _ZN7rocprim17ROCPRIM_400000_NS6detail17trampoline_kernelINS0_14default_configENS1_27scan_by_key_config_selectorIiiEEZZNS1_16scan_by_key_implILNS1_25lookback_scan_determinismE0ELb0ES3_N6thrust23THRUST_200600_302600_NS6detail15normal_iteratorINS9_10device_ptrIiEEEESE_SE_iNS9_4plusIvEE19head_flag_predicateIiEiEE10hipError_tPvRmT2_T3_T4_T5_mT6_T7_P12ihipStream_tbENKUlT_T0_E_clISt17integral_constantIbLb0EESY_IbLb1EEEEDaSU_SV_EUlSU_E_NS1_11comp_targetILNS1_3genE9ELNS1_11target_archE1100ELNS1_3gpuE3ELNS1_3repE0EEENS1_30default_config_static_selectorELNS0_4arch9wavefront6targetE1EEEvT1_
		.amdhsa_group_segment_fixed_size 0
		.amdhsa_private_segment_fixed_size 0
		.amdhsa_kernarg_size 112
		.amdhsa_user_sgpr_count 6
		.amdhsa_user_sgpr_private_segment_buffer 1
		.amdhsa_user_sgpr_dispatch_ptr 0
		.amdhsa_user_sgpr_queue_ptr 0
		.amdhsa_user_sgpr_kernarg_segment_ptr 1
		.amdhsa_user_sgpr_dispatch_id 0
		.amdhsa_user_sgpr_flat_scratch_init 0
		.amdhsa_user_sgpr_kernarg_preload_length 0
		.amdhsa_user_sgpr_kernarg_preload_offset 0
		.amdhsa_user_sgpr_private_segment_size 0
		.amdhsa_uses_dynamic_stack 0
		.amdhsa_system_sgpr_private_segment_wavefront_offset 0
		.amdhsa_system_sgpr_workgroup_id_x 1
		.amdhsa_system_sgpr_workgroup_id_y 0
		.amdhsa_system_sgpr_workgroup_id_z 0
		.amdhsa_system_sgpr_workgroup_info 0
		.amdhsa_system_vgpr_workitem_id 0
		.amdhsa_next_free_vgpr 1
		.amdhsa_next_free_sgpr 0
		.amdhsa_accum_offset 4
		.amdhsa_reserve_vcc 0
		.amdhsa_reserve_flat_scratch 0
		.amdhsa_float_round_mode_32 0
		.amdhsa_float_round_mode_16_64 0
		.amdhsa_float_denorm_mode_32 3
		.amdhsa_float_denorm_mode_16_64 3
		.amdhsa_dx10_clamp 1
		.amdhsa_ieee_mode 1
		.amdhsa_fp16_overflow 0
		.amdhsa_tg_split 0
		.amdhsa_exception_fp_ieee_invalid_op 0
		.amdhsa_exception_fp_denorm_src 0
		.amdhsa_exception_fp_ieee_div_zero 0
		.amdhsa_exception_fp_ieee_overflow 0
		.amdhsa_exception_fp_ieee_underflow 0
		.amdhsa_exception_fp_ieee_inexact 0
		.amdhsa_exception_int_div_zero 0
	.end_amdhsa_kernel
	.section	.text._ZN7rocprim17ROCPRIM_400000_NS6detail17trampoline_kernelINS0_14default_configENS1_27scan_by_key_config_selectorIiiEEZZNS1_16scan_by_key_implILNS1_25lookback_scan_determinismE0ELb0ES3_N6thrust23THRUST_200600_302600_NS6detail15normal_iteratorINS9_10device_ptrIiEEEESE_SE_iNS9_4plusIvEE19head_flag_predicateIiEiEE10hipError_tPvRmT2_T3_T4_T5_mT6_T7_P12ihipStream_tbENKUlT_T0_E_clISt17integral_constantIbLb0EESY_IbLb1EEEEDaSU_SV_EUlSU_E_NS1_11comp_targetILNS1_3genE9ELNS1_11target_archE1100ELNS1_3gpuE3ELNS1_3repE0EEENS1_30default_config_static_selectorELNS0_4arch9wavefront6targetE1EEEvT1_,"axG",@progbits,_ZN7rocprim17ROCPRIM_400000_NS6detail17trampoline_kernelINS0_14default_configENS1_27scan_by_key_config_selectorIiiEEZZNS1_16scan_by_key_implILNS1_25lookback_scan_determinismE0ELb0ES3_N6thrust23THRUST_200600_302600_NS6detail15normal_iteratorINS9_10device_ptrIiEEEESE_SE_iNS9_4plusIvEE19head_flag_predicateIiEiEE10hipError_tPvRmT2_T3_T4_T5_mT6_T7_P12ihipStream_tbENKUlT_T0_E_clISt17integral_constantIbLb0EESY_IbLb1EEEEDaSU_SV_EUlSU_E_NS1_11comp_targetILNS1_3genE9ELNS1_11target_archE1100ELNS1_3gpuE3ELNS1_3repE0EEENS1_30default_config_static_selectorELNS0_4arch9wavefront6targetE1EEEvT1_,comdat
.Lfunc_end79:
	.size	_ZN7rocprim17ROCPRIM_400000_NS6detail17trampoline_kernelINS0_14default_configENS1_27scan_by_key_config_selectorIiiEEZZNS1_16scan_by_key_implILNS1_25lookback_scan_determinismE0ELb0ES3_N6thrust23THRUST_200600_302600_NS6detail15normal_iteratorINS9_10device_ptrIiEEEESE_SE_iNS9_4plusIvEE19head_flag_predicateIiEiEE10hipError_tPvRmT2_T3_T4_T5_mT6_T7_P12ihipStream_tbENKUlT_T0_E_clISt17integral_constantIbLb0EESY_IbLb1EEEEDaSU_SV_EUlSU_E_NS1_11comp_targetILNS1_3genE9ELNS1_11target_archE1100ELNS1_3gpuE3ELNS1_3repE0EEENS1_30default_config_static_selectorELNS0_4arch9wavefront6targetE1EEEvT1_, .Lfunc_end79-_ZN7rocprim17ROCPRIM_400000_NS6detail17trampoline_kernelINS0_14default_configENS1_27scan_by_key_config_selectorIiiEEZZNS1_16scan_by_key_implILNS1_25lookback_scan_determinismE0ELb0ES3_N6thrust23THRUST_200600_302600_NS6detail15normal_iteratorINS9_10device_ptrIiEEEESE_SE_iNS9_4plusIvEE19head_flag_predicateIiEiEE10hipError_tPvRmT2_T3_T4_T5_mT6_T7_P12ihipStream_tbENKUlT_T0_E_clISt17integral_constantIbLb0EESY_IbLb1EEEEDaSU_SV_EUlSU_E_NS1_11comp_targetILNS1_3genE9ELNS1_11target_archE1100ELNS1_3gpuE3ELNS1_3repE0EEENS1_30default_config_static_selectorELNS0_4arch9wavefront6targetE1EEEvT1_
                                        ; -- End function
	.section	.AMDGPU.csdata,"",@progbits
; Kernel info:
; codeLenInByte = 0
; NumSgprs: 4
; NumVgprs: 0
; NumAgprs: 0
; TotalNumVgprs: 0
; ScratchSize: 0
; MemoryBound: 0
; FloatMode: 240
; IeeeMode: 1
; LDSByteSize: 0 bytes/workgroup (compile time only)
; SGPRBlocks: 0
; VGPRBlocks: 0
; NumSGPRsForWavesPerEU: 4
; NumVGPRsForWavesPerEU: 1
; AccumOffset: 4
; Occupancy: 8
; WaveLimiterHint : 0
; COMPUTE_PGM_RSRC2:SCRATCH_EN: 0
; COMPUTE_PGM_RSRC2:USER_SGPR: 6
; COMPUTE_PGM_RSRC2:TRAP_HANDLER: 0
; COMPUTE_PGM_RSRC2:TGID_X_EN: 1
; COMPUTE_PGM_RSRC2:TGID_Y_EN: 0
; COMPUTE_PGM_RSRC2:TGID_Z_EN: 0
; COMPUTE_PGM_RSRC2:TIDIG_COMP_CNT: 0
; COMPUTE_PGM_RSRC3_GFX90A:ACCUM_OFFSET: 0
; COMPUTE_PGM_RSRC3_GFX90A:TG_SPLIT: 0
	.section	.text._ZN7rocprim17ROCPRIM_400000_NS6detail17trampoline_kernelINS0_14default_configENS1_27scan_by_key_config_selectorIiiEEZZNS1_16scan_by_key_implILNS1_25lookback_scan_determinismE0ELb0ES3_N6thrust23THRUST_200600_302600_NS6detail15normal_iteratorINS9_10device_ptrIiEEEESE_SE_iNS9_4plusIvEE19head_flag_predicateIiEiEE10hipError_tPvRmT2_T3_T4_T5_mT6_T7_P12ihipStream_tbENKUlT_T0_E_clISt17integral_constantIbLb0EESY_IbLb1EEEEDaSU_SV_EUlSU_E_NS1_11comp_targetILNS1_3genE8ELNS1_11target_archE1030ELNS1_3gpuE2ELNS1_3repE0EEENS1_30default_config_static_selectorELNS0_4arch9wavefront6targetE1EEEvT1_,"axG",@progbits,_ZN7rocprim17ROCPRIM_400000_NS6detail17trampoline_kernelINS0_14default_configENS1_27scan_by_key_config_selectorIiiEEZZNS1_16scan_by_key_implILNS1_25lookback_scan_determinismE0ELb0ES3_N6thrust23THRUST_200600_302600_NS6detail15normal_iteratorINS9_10device_ptrIiEEEESE_SE_iNS9_4plusIvEE19head_flag_predicateIiEiEE10hipError_tPvRmT2_T3_T4_T5_mT6_T7_P12ihipStream_tbENKUlT_T0_E_clISt17integral_constantIbLb0EESY_IbLb1EEEEDaSU_SV_EUlSU_E_NS1_11comp_targetILNS1_3genE8ELNS1_11target_archE1030ELNS1_3gpuE2ELNS1_3repE0EEENS1_30default_config_static_selectorELNS0_4arch9wavefront6targetE1EEEvT1_,comdat
	.protected	_ZN7rocprim17ROCPRIM_400000_NS6detail17trampoline_kernelINS0_14default_configENS1_27scan_by_key_config_selectorIiiEEZZNS1_16scan_by_key_implILNS1_25lookback_scan_determinismE0ELb0ES3_N6thrust23THRUST_200600_302600_NS6detail15normal_iteratorINS9_10device_ptrIiEEEESE_SE_iNS9_4plusIvEE19head_flag_predicateIiEiEE10hipError_tPvRmT2_T3_T4_T5_mT6_T7_P12ihipStream_tbENKUlT_T0_E_clISt17integral_constantIbLb0EESY_IbLb1EEEEDaSU_SV_EUlSU_E_NS1_11comp_targetILNS1_3genE8ELNS1_11target_archE1030ELNS1_3gpuE2ELNS1_3repE0EEENS1_30default_config_static_selectorELNS0_4arch9wavefront6targetE1EEEvT1_ ; -- Begin function _ZN7rocprim17ROCPRIM_400000_NS6detail17trampoline_kernelINS0_14default_configENS1_27scan_by_key_config_selectorIiiEEZZNS1_16scan_by_key_implILNS1_25lookback_scan_determinismE0ELb0ES3_N6thrust23THRUST_200600_302600_NS6detail15normal_iteratorINS9_10device_ptrIiEEEESE_SE_iNS9_4plusIvEE19head_flag_predicateIiEiEE10hipError_tPvRmT2_T3_T4_T5_mT6_T7_P12ihipStream_tbENKUlT_T0_E_clISt17integral_constantIbLb0EESY_IbLb1EEEEDaSU_SV_EUlSU_E_NS1_11comp_targetILNS1_3genE8ELNS1_11target_archE1030ELNS1_3gpuE2ELNS1_3repE0EEENS1_30default_config_static_selectorELNS0_4arch9wavefront6targetE1EEEvT1_
	.globl	_ZN7rocprim17ROCPRIM_400000_NS6detail17trampoline_kernelINS0_14default_configENS1_27scan_by_key_config_selectorIiiEEZZNS1_16scan_by_key_implILNS1_25lookback_scan_determinismE0ELb0ES3_N6thrust23THRUST_200600_302600_NS6detail15normal_iteratorINS9_10device_ptrIiEEEESE_SE_iNS9_4plusIvEE19head_flag_predicateIiEiEE10hipError_tPvRmT2_T3_T4_T5_mT6_T7_P12ihipStream_tbENKUlT_T0_E_clISt17integral_constantIbLb0EESY_IbLb1EEEEDaSU_SV_EUlSU_E_NS1_11comp_targetILNS1_3genE8ELNS1_11target_archE1030ELNS1_3gpuE2ELNS1_3repE0EEENS1_30default_config_static_selectorELNS0_4arch9wavefront6targetE1EEEvT1_
	.p2align	8
	.type	_ZN7rocprim17ROCPRIM_400000_NS6detail17trampoline_kernelINS0_14default_configENS1_27scan_by_key_config_selectorIiiEEZZNS1_16scan_by_key_implILNS1_25lookback_scan_determinismE0ELb0ES3_N6thrust23THRUST_200600_302600_NS6detail15normal_iteratorINS9_10device_ptrIiEEEESE_SE_iNS9_4plusIvEE19head_flag_predicateIiEiEE10hipError_tPvRmT2_T3_T4_T5_mT6_T7_P12ihipStream_tbENKUlT_T0_E_clISt17integral_constantIbLb0EESY_IbLb1EEEEDaSU_SV_EUlSU_E_NS1_11comp_targetILNS1_3genE8ELNS1_11target_archE1030ELNS1_3gpuE2ELNS1_3repE0EEENS1_30default_config_static_selectorELNS0_4arch9wavefront6targetE1EEEvT1_,@function
_ZN7rocprim17ROCPRIM_400000_NS6detail17trampoline_kernelINS0_14default_configENS1_27scan_by_key_config_selectorIiiEEZZNS1_16scan_by_key_implILNS1_25lookback_scan_determinismE0ELb0ES3_N6thrust23THRUST_200600_302600_NS6detail15normal_iteratorINS9_10device_ptrIiEEEESE_SE_iNS9_4plusIvEE19head_flag_predicateIiEiEE10hipError_tPvRmT2_T3_T4_T5_mT6_T7_P12ihipStream_tbENKUlT_T0_E_clISt17integral_constantIbLb0EESY_IbLb1EEEEDaSU_SV_EUlSU_E_NS1_11comp_targetILNS1_3genE8ELNS1_11target_archE1030ELNS1_3gpuE2ELNS1_3repE0EEENS1_30default_config_static_selectorELNS0_4arch9wavefront6targetE1EEEvT1_: ; @_ZN7rocprim17ROCPRIM_400000_NS6detail17trampoline_kernelINS0_14default_configENS1_27scan_by_key_config_selectorIiiEEZZNS1_16scan_by_key_implILNS1_25lookback_scan_determinismE0ELb0ES3_N6thrust23THRUST_200600_302600_NS6detail15normal_iteratorINS9_10device_ptrIiEEEESE_SE_iNS9_4plusIvEE19head_flag_predicateIiEiEE10hipError_tPvRmT2_T3_T4_T5_mT6_T7_P12ihipStream_tbENKUlT_T0_E_clISt17integral_constantIbLb0EESY_IbLb1EEEEDaSU_SV_EUlSU_E_NS1_11comp_targetILNS1_3genE8ELNS1_11target_archE1030ELNS1_3gpuE2ELNS1_3repE0EEENS1_30default_config_static_selectorELNS0_4arch9wavefront6targetE1EEEvT1_
; %bb.0:
	.section	.rodata,"a",@progbits
	.p2align	6, 0x0
	.amdhsa_kernel _ZN7rocprim17ROCPRIM_400000_NS6detail17trampoline_kernelINS0_14default_configENS1_27scan_by_key_config_selectorIiiEEZZNS1_16scan_by_key_implILNS1_25lookback_scan_determinismE0ELb0ES3_N6thrust23THRUST_200600_302600_NS6detail15normal_iteratorINS9_10device_ptrIiEEEESE_SE_iNS9_4plusIvEE19head_flag_predicateIiEiEE10hipError_tPvRmT2_T3_T4_T5_mT6_T7_P12ihipStream_tbENKUlT_T0_E_clISt17integral_constantIbLb0EESY_IbLb1EEEEDaSU_SV_EUlSU_E_NS1_11comp_targetILNS1_3genE8ELNS1_11target_archE1030ELNS1_3gpuE2ELNS1_3repE0EEENS1_30default_config_static_selectorELNS0_4arch9wavefront6targetE1EEEvT1_
		.amdhsa_group_segment_fixed_size 0
		.amdhsa_private_segment_fixed_size 0
		.amdhsa_kernarg_size 112
		.amdhsa_user_sgpr_count 6
		.amdhsa_user_sgpr_private_segment_buffer 1
		.amdhsa_user_sgpr_dispatch_ptr 0
		.amdhsa_user_sgpr_queue_ptr 0
		.amdhsa_user_sgpr_kernarg_segment_ptr 1
		.amdhsa_user_sgpr_dispatch_id 0
		.amdhsa_user_sgpr_flat_scratch_init 0
		.amdhsa_user_sgpr_kernarg_preload_length 0
		.amdhsa_user_sgpr_kernarg_preload_offset 0
		.amdhsa_user_sgpr_private_segment_size 0
		.amdhsa_uses_dynamic_stack 0
		.amdhsa_system_sgpr_private_segment_wavefront_offset 0
		.amdhsa_system_sgpr_workgroup_id_x 1
		.amdhsa_system_sgpr_workgroup_id_y 0
		.amdhsa_system_sgpr_workgroup_id_z 0
		.amdhsa_system_sgpr_workgroup_info 0
		.amdhsa_system_vgpr_workitem_id 0
		.amdhsa_next_free_vgpr 1
		.amdhsa_next_free_sgpr 0
		.amdhsa_accum_offset 4
		.amdhsa_reserve_vcc 0
		.amdhsa_reserve_flat_scratch 0
		.amdhsa_float_round_mode_32 0
		.amdhsa_float_round_mode_16_64 0
		.amdhsa_float_denorm_mode_32 3
		.amdhsa_float_denorm_mode_16_64 3
		.amdhsa_dx10_clamp 1
		.amdhsa_ieee_mode 1
		.amdhsa_fp16_overflow 0
		.amdhsa_tg_split 0
		.amdhsa_exception_fp_ieee_invalid_op 0
		.amdhsa_exception_fp_denorm_src 0
		.amdhsa_exception_fp_ieee_div_zero 0
		.amdhsa_exception_fp_ieee_overflow 0
		.amdhsa_exception_fp_ieee_underflow 0
		.amdhsa_exception_fp_ieee_inexact 0
		.amdhsa_exception_int_div_zero 0
	.end_amdhsa_kernel
	.section	.text._ZN7rocprim17ROCPRIM_400000_NS6detail17trampoline_kernelINS0_14default_configENS1_27scan_by_key_config_selectorIiiEEZZNS1_16scan_by_key_implILNS1_25lookback_scan_determinismE0ELb0ES3_N6thrust23THRUST_200600_302600_NS6detail15normal_iteratorINS9_10device_ptrIiEEEESE_SE_iNS9_4plusIvEE19head_flag_predicateIiEiEE10hipError_tPvRmT2_T3_T4_T5_mT6_T7_P12ihipStream_tbENKUlT_T0_E_clISt17integral_constantIbLb0EESY_IbLb1EEEEDaSU_SV_EUlSU_E_NS1_11comp_targetILNS1_3genE8ELNS1_11target_archE1030ELNS1_3gpuE2ELNS1_3repE0EEENS1_30default_config_static_selectorELNS0_4arch9wavefront6targetE1EEEvT1_,"axG",@progbits,_ZN7rocprim17ROCPRIM_400000_NS6detail17trampoline_kernelINS0_14default_configENS1_27scan_by_key_config_selectorIiiEEZZNS1_16scan_by_key_implILNS1_25lookback_scan_determinismE0ELb0ES3_N6thrust23THRUST_200600_302600_NS6detail15normal_iteratorINS9_10device_ptrIiEEEESE_SE_iNS9_4plusIvEE19head_flag_predicateIiEiEE10hipError_tPvRmT2_T3_T4_T5_mT6_T7_P12ihipStream_tbENKUlT_T0_E_clISt17integral_constantIbLb0EESY_IbLb1EEEEDaSU_SV_EUlSU_E_NS1_11comp_targetILNS1_3genE8ELNS1_11target_archE1030ELNS1_3gpuE2ELNS1_3repE0EEENS1_30default_config_static_selectorELNS0_4arch9wavefront6targetE1EEEvT1_,comdat
.Lfunc_end80:
	.size	_ZN7rocprim17ROCPRIM_400000_NS6detail17trampoline_kernelINS0_14default_configENS1_27scan_by_key_config_selectorIiiEEZZNS1_16scan_by_key_implILNS1_25lookback_scan_determinismE0ELb0ES3_N6thrust23THRUST_200600_302600_NS6detail15normal_iteratorINS9_10device_ptrIiEEEESE_SE_iNS9_4plusIvEE19head_flag_predicateIiEiEE10hipError_tPvRmT2_T3_T4_T5_mT6_T7_P12ihipStream_tbENKUlT_T0_E_clISt17integral_constantIbLb0EESY_IbLb1EEEEDaSU_SV_EUlSU_E_NS1_11comp_targetILNS1_3genE8ELNS1_11target_archE1030ELNS1_3gpuE2ELNS1_3repE0EEENS1_30default_config_static_selectorELNS0_4arch9wavefront6targetE1EEEvT1_, .Lfunc_end80-_ZN7rocprim17ROCPRIM_400000_NS6detail17trampoline_kernelINS0_14default_configENS1_27scan_by_key_config_selectorIiiEEZZNS1_16scan_by_key_implILNS1_25lookback_scan_determinismE0ELb0ES3_N6thrust23THRUST_200600_302600_NS6detail15normal_iteratorINS9_10device_ptrIiEEEESE_SE_iNS9_4plusIvEE19head_flag_predicateIiEiEE10hipError_tPvRmT2_T3_T4_T5_mT6_T7_P12ihipStream_tbENKUlT_T0_E_clISt17integral_constantIbLb0EESY_IbLb1EEEEDaSU_SV_EUlSU_E_NS1_11comp_targetILNS1_3genE8ELNS1_11target_archE1030ELNS1_3gpuE2ELNS1_3repE0EEENS1_30default_config_static_selectorELNS0_4arch9wavefront6targetE1EEEvT1_
                                        ; -- End function
	.section	.AMDGPU.csdata,"",@progbits
; Kernel info:
; codeLenInByte = 0
; NumSgprs: 4
; NumVgprs: 0
; NumAgprs: 0
; TotalNumVgprs: 0
; ScratchSize: 0
; MemoryBound: 0
; FloatMode: 240
; IeeeMode: 1
; LDSByteSize: 0 bytes/workgroup (compile time only)
; SGPRBlocks: 0
; VGPRBlocks: 0
; NumSGPRsForWavesPerEU: 4
; NumVGPRsForWavesPerEU: 1
; AccumOffset: 4
; Occupancy: 8
; WaveLimiterHint : 0
; COMPUTE_PGM_RSRC2:SCRATCH_EN: 0
; COMPUTE_PGM_RSRC2:USER_SGPR: 6
; COMPUTE_PGM_RSRC2:TRAP_HANDLER: 0
; COMPUTE_PGM_RSRC2:TGID_X_EN: 1
; COMPUTE_PGM_RSRC2:TGID_Y_EN: 0
; COMPUTE_PGM_RSRC2:TGID_Z_EN: 0
; COMPUTE_PGM_RSRC2:TIDIG_COMP_CNT: 0
; COMPUTE_PGM_RSRC3_GFX90A:ACCUM_OFFSET: 0
; COMPUTE_PGM_RSRC3_GFX90A:TG_SPLIT: 0
	.section	.text._ZN7rocprim17ROCPRIM_400000_NS6detail17trampoline_kernelINS0_14default_configENS1_27scan_by_key_config_selectorIiiEEZZNS1_16scan_by_key_implILNS1_25lookback_scan_determinismE0ELb1ES3_N6thrust23THRUST_200600_302600_NS6detail15normal_iteratorINS9_10device_ptrIiEEEESE_SE_iNS9_4plusIvEENS9_8equal_toIvEEiEE10hipError_tPvRmT2_T3_T4_T5_mT6_T7_P12ihipStream_tbENKUlT_T0_E_clISt17integral_constantIbLb0EESZ_EEDaSU_SV_EUlSU_E_NS1_11comp_targetILNS1_3genE0ELNS1_11target_archE4294967295ELNS1_3gpuE0ELNS1_3repE0EEENS1_30default_config_static_selectorELNS0_4arch9wavefront6targetE1EEEvT1_,"axG",@progbits,_ZN7rocprim17ROCPRIM_400000_NS6detail17trampoline_kernelINS0_14default_configENS1_27scan_by_key_config_selectorIiiEEZZNS1_16scan_by_key_implILNS1_25lookback_scan_determinismE0ELb1ES3_N6thrust23THRUST_200600_302600_NS6detail15normal_iteratorINS9_10device_ptrIiEEEESE_SE_iNS9_4plusIvEENS9_8equal_toIvEEiEE10hipError_tPvRmT2_T3_T4_T5_mT6_T7_P12ihipStream_tbENKUlT_T0_E_clISt17integral_constantIbLb0EESZ_EEDaSU_SV_EUlSU_E_NS1_11comp_targetILNS1_3genE0ELNS1_11target_archE4294967295ELNS1_3gpuE0ELNS1_3repE0EEENS1_30default_config_static_selectorELNS0_4arch9wavefront6targetE1EEEvT1_,comdat
	.protected	_ZN7rocprim17ROCPRIM_400000_NS6detail17trampoline_kernelINS0_14default_configENS1_27scan_by_key_config_selectorIiiEEZZNS1_16scan_by_key_implILNS1_25lookback_scan_determinismE0ELb1ES3_N6thrust23THRUST_200600_302600_NS6detail15normal_iteratorINS9_10device_ptrIiEEEESE_SE_iNS9_4plusIvEENS9_8equal_toIvEEiEE10hipError_tPvRmT2_T3_T4_T5_mT6_T7_P12ihipStream_tbENKUlT_T0_E_clISt17integral_constantIbLb0EESZ_EEDaSU_SV_EUlSU_E_NS1_11comp_targetILNS1_3genE0ELNS1_11target_archE4294967295ELNS1_3gpuE0ELNS1_3repE0EEENS1_30default_config_static_selectorELNS0_4arch9wavefront6targetE1EEEvT1_ ; -- Begin function _ZN7rocprim17ROCPRIM_400000_NS6detail17trampoline_kernelINS0_14default_configENS1_27scan_by_key_config_selectorIiiEEZZNS1_16scan_by_key_implILNS1_25lookback_scan_determinismE0ELb1ES3_N6thrust23THRUST_200600_302600_NS6detail15normal_iteratorINS9_10device_ptrIiEEEESE_SE_iNS9_4plusIvEENS9_8equal_toIvEEiEE10hipError_tPvRmT2_T3_T4_T5_mT6_T7_P12ihipStream_tbENKUlT_T0_E_clISt17integral_constantIbLb0EESZ_EEDaSU_SV_EUlSU_E_NS1_11comp_targetILNS1_3genE0ELNS1_11target_archE4294967295ELNS1_3gpuE0ELNS1_3repE0EEENS1_30default_config_static_selectorELNS0_4arch9wavefront6targetE1EEEvT1_
	.globl	_ZN7rocprim17ROCPRIM_400000_NS6detail17trampoline_kernelINS0_14default_configENS1_27scan_by_key_config_selectorIiiEEZZNS1_16scan_by_key_implILNS1_25lookback_scan_determinismE0ELb1ES3_N6thrust23THRUST_200600_302600_NS6detail15normal_iteratorINS9_10device_ptrIiEEEESE_SE_iNS9_4plusIvEENS9_8equal_toIvEEiEE10hipError_tPvRmT2_T3_T4_T5_mT6_T7_P12ihipStream_tbENKUlT_T0_E_clISt17integral_constantIbLb0EESZ_EEDaSU_SV_EUlSU_E_NS1_11comp_targetILNS1_3genE0ELNS1_11target_archE4294967295ELNS1_3gpuE0ELNS1_3repE0EEENS1_30default_config_static_selectorELNS0_4arch9wavefront6targetE1EEEvT1_
	.p2align	8
	.type	_ZN7rocprim17ROCPRIM_400000_NS6detail17trampoline_kernelINS0_14default_configENS1_27scan_by_key_config_selectorIiiEEZZNS1_16scan_by_key_implILNS1_25lookback_scan_determinismE0ELb1ES3_N6thrust23THRUST_200600_302600_NS6detail15normal_iteratorINS9_10device_ptrIiEEEESE_SE_iNS9_4plusIvEENS9_8equal_toIvEEiEE10hipError_tPvRmT2_T3_T4_T5_mT6_T7_P12ihipStream_tbENKUlT_T0_E_clISt17integral_constantIbLb0EESZ_EEDaSU_SV_EUlSU_E_NS1_11comp_targetILNS1_3genE0ELNS1_11target_archE4294967295ELNS1_3gpuE0ELNS1_3repE0EEENS1_30default_config_static_selectorELNS0_4arch9wavefront6targetE1EEEvT1_,@function
_ZN7rocprim17ROCPRIM_400000_NS6detail17trampoline_kernelINS0_14default_configENS1_27scan_by_key_config_selectorIiiEEZZNS1_16scan_by_key_implILNS1_25lookback_scan_determinismE0ELb1ES3_N6thrust23THRUST_200600_302600_NS6detail15normal_iteratorINS9_10device_ptrIiEEEESE_SE_iNS9_4plusIvEENS9_8equal_toIvEEiEE10hipError_tPvRmT2_T3_T4_T5_mT6_T7_P12ihipStream_tbENKUlT_T0_E_clISt17integral_constantIbLb0EESZ_EEDaSU_SV_EUlSU_E_NS1_11comp_targetILNS1_3genE0ELNS1_11target_archE4294967295ELNS1_3gpuE0ELNS1_3repE0EEENS1_30default_config_static_selectorELNS0_4arch9wavefront6targetE1EEEvT1_: ; @_ZN7rocprim17ROCPRIM_400000_NS6detail17trampoline_kernelINS0_14default_configENS1_27scan_by_key_config_selectorIiiEEZZNS1_16scan_by_key_implILNS1_25lookback_scan_determinismE0ELb1ES3_N6thrust23THRUST_200600_302600_NS6detail15normal_iteratorINS9_10device_ptrIiEEEESE_SE_iNS9_4plusIvEENS9_8equal_toIvEEiEE10hipError_tPvRmT2_T3_T4_T5_mT6_T7_P12ihipStream_tbENKUlT_T0_E_clISt17integral_constantIbLb0EESZ_EEDaSU_SV_EUlSU_E_NS1_11comp_targetILNS1_3genE0ELNS1_11target_archE4294967295ELNS1_3gpuE0ELNS1_3repE0EEENS1_30default_config_static_selectorELNS0_4arch9wavefront6targetE1EEEvT1_
; %bb.0:
	.section	.rodata,"a",@progbits
	.p2align	6, 0x0
	.amdhsa_kernel _ZN7rocprim17ROCPRIM_400000_NS6detail17trampoline_kernelINS0_14default_configENS1_27scan_by_key_config_selectorIiiEEZZNS1_16scan_by_key_implILNS1_25lookback_scan_determinismE0ELb1ES3_N6thrust23THRUST_200600_302600_NS6detail15normal_iteratorINS9_10device_ptrIiEEEESE_SE_iNS9_4plusIvEENS9_8equal_toIvEEiEE10hipError_tPvRmT2_T3_T4_T5_mT6_T7_P12ihipStream_tbENKUlT_T0_E_clISt17integral_constantIbLb0EESZ_EEDaSU_SV_EUlSU_E_NS1_11comp_targetILNS1_3genE0ELNS1_11target_archE4294967295ELNS1_3gpuE0ELNS1_3repE0EEENS1_30default_config_static_selectorELNS0_4arch9wavefront6targetE1EEEvT1_
		.amdhsa_group_segment_fixed_size 0
		.amdhsa_private_segment_fixed_size 0
		.amdhsa_kernarg_size 112
		.amdhsa_user_sgpr_count 6
		.amdhsa_user_sgpr_private_segment_buffer 1
		.amdhsa_user_sgpr_dispatch_ptr 0
		.amdhsa_user_sgpr_queue_ptr 0
		.amdhsa_user_sgpr_kernarg_segment_ptr 1
		.amdhsa_user_sgpr_dispatch_id 0
		.amdhsa_user_sgpr_flat_scratch_init 0
		.amdhsa_user_sgpr_kernarg_preload_length 0
		.amdhsa_user_sgpr_kernarg_preload_offset 0
		.amdhsa_user_sgpr_private_segment_size 0
		.amdhsa_uses_dynamic_stack 0
		.amdhsa_system_sgpr_private_segment_wavefront_offset 0
		.amdhsa_system_sgpr_workgroup_id_x 1
		.amdhsa_system_sgpr_workgroup_id_y 0
		.amdhsa_system_sgpr_workgroup_id_z 0
		.amdhsa_system_sgpr_workgroup_info 0
		.amdhsa_system_vgpr_workitem_id 0
		.amdhsa_next_free_vgpr 1
		.amdhsa_next_free_sgpr 0
		.amdhsa_accum_offset 4
		.amdhsa_reserve_vcc 0
		.amdhsa_reserve_flat_scratch 0
		.amdhsa_float_round_mode_32 0
		.amdhsa_float_round_mode_16_64 0
		.amdhsa_float_denorm_mode_32 3
		.amdhsa_float_denorm_mode_16_64 3
		.amdhsa_dx10_clamp 1
		.amdhsa_ieee_mode 1
		.amdhsa_fp16_overflow 0
		.amdhsa_tg_split 0
		.amdhsa_exception_fp_ieee_invalid_op 0
		.amdhsa_exception_fp_denorm_src 0
		.amdhsa_exception_fp_ieee_div_zero 0
		.amdhsa_exception_fp_ieee_overflow 0
		.amdhsa_exception_fp_ieee_underflow 0
		.amdhsa_exception_fp_ieee_inexact 0
		.amdhsa_exception_int_div_zero 0
	.end_amdhsa_kernel
	.section	.text._ZN7rocprim17ROCPRIM_400000_NS6detail17trampoline_kernelINS0_14default_configENS1_27scan_by_key_config_selectorIiiEEZZNS1_16scan_by_key_implILNS1_25lookback_scan_determinismE0ELb1ES3_N6thrust23THRUST_200600_302600_NS6detail15normal_iteratorINS9_10device_ptrIiEEEESE_SE_iNS9_4plusIvEENS9_8equal_toIvEEiEE10hipError_tPvRmT2_T3_T4_T5_mT6_T7_P12ihipStream_tbENKUlT_T0_E_clISt17integral_constantIbLb0EESZ_EEDaSU_SV_EUlSU_E_NS1_11comp_targetILNS1_3genE0ELNS1_11target_archE4294967295ELNS1_3gpuE0ELNS1_3repE0EEENS1_30default_config_static_selectorELNS0_4arch9wavefront6targetE1EEEvT1_,"axG",@progbits,_ZN7rocprim17ROCPRIM_400000_NS6detail17trampoline_kernelINS0_14default_configENS1_27scan_by_key_config_selectorIiiEEZZNS1_16scan_by_key_implILNS1_25lookback_scan_determinismE0ELb1ES3_N6thrust23THRUST_200600_302600_NS6detail15normal_iteratorINS9_10device_ptrIiEEEESE_SE_iNS9_4plusIvEENS9_8equal_toIvEEiEE10hipError_tPvRmT2_T3_T4_T5_mT6_T7_P12ihipStream_tbENKUlT_T0_E_clISt17integral_constantIbLb0EESZ_EEDaSU_SV_EUlSU_E_NS1_11comp_targetILNS1_3genE0ELNS1_11target_archE4294967295ELNS1_3gpuE0ELNS1_3repE0EEENS1_30default_config_static_selectorELNS0_4arch9wavefront6targetE1EEEvT1_,comdat
.Lfunc_end81:
	.size	_ZN7rocprim17ROCPRIM_400000_NS6detail17trampoline_kernelINS0_14default_configENS1_27scan_by_key_config_selectorIiiEEZZNS1_16scan_by_key_implILNS1_25lookback_scan_determinismE0ELb1ES3_N6thrust23THRUST_200600_302600_NS6detail15normal_iteratorINS9_10device_ptrIiEEEESE_SE_iNS9_4plusIvEENS9_8equal_toIvEEiEE10hipError_tPvRmT2_T3_T4_T5_mT6_T7_P12ihipStream_tbENKUlT_T0_E_clISt17integral_constantIbLb0EESZ_EEDaSU_SV_EUlSU_E_NS1_11comp_targetILNS1_3genE0ELNS1_11target_archE4294967295ELNS1_3gpuE0ELNS1_3repE0EEENS1_30default_config_static_selectorELNS0_4arch9wavefront6targetE1EEEvT1_, .Lfunc_end81-_ZN7rocprim17ROCPRIM_400000_NS6detail17trampoline_kernelINS0_14default_configENS1_27scan_by_key_config_selectorIiiEEZZNS1_16scan_by_key_implILNS1_25lookback_scan_determinismE0ELb1ES3_N6thrust23THRUST_200600_302600_NS6detail15normal_iteratorINS9_10device_ptrIiEEEESE_SE_iNS9_4plusIvEENS9_8equal_toIvEEiEE10hipError_tPvRmT2_T3_T4_T5_mT6_T7_P12ihipStream_tbENKUlT_T0_E_clISt17integral_constantIbLb0EESZ_EEDaSU_SV_EUlSU_E_NS1_11comp_targetILNS1_3genE0ELNS1_11target_archE4294967295ELNS1_3gpuE0ELNS1_3repE0EEENS1_30default_config_static_selectorELNS0_4arch9wavefront6targetE1EEEvT1_
                                        ; -- End function
	.section	.AMDGPU.csdata,"",@progbits
; Kernel info:
; codeLenInByte = 0
; NumSgprs: 4
; NumVgprs: 0
; NumAgprs: 0
; TotalNumVgprs: 0
; ScratchSize: 0
; MemoryBound: 0
; FloatMode: 240
; IeeeMode: 1
; LDSByteSize: 0 bytes/workgroup (compile time only)
; SGPRBlocks: 0
; VGPRBlocks: 0
; NumSGPRsForWavesPerEU: 4
; NumVGPRsForWavesPerEU: 1
; AccumOffset: 4
; Occupancy: 8
; WaveLimiterHint : 0
; COMPUTE_PGM_RSRC2:SCRATCH_EN: 0
; COMPUTE_PGM_RSRC2:USER_SGPR: 6
; COMPUTE_PGM_RSRC2:TRAP_HANDLER: 0
; COMPUTE_PGM_RSRC2:TGID_X_EN: 1
; COMPUTE_PGM_RSRC2:TGID_Y_EN: 0
; COMPUTE_PGM_RSRC2:TGID_Z_EN: 0
; COMPUTE_PGM_RSRC2:TIDIG_COMP_CNT: 0
; COMPUTE_PGM_RSRC3_GFX90A:ACCUM_OFFSET: 0
; COMPUTE_PGM_RSRC3_GFX90A:TG_SPLIT: 0
	.section	.text._ZN7rocprim17ROCPRIM_400000_NS6detail17trampoline_kernelINS0_14default_configENS1_27scan_by_key_config_selectorIiiEEZZNS1_16scan_by_key_implILNS1_25lookback_scan_determinismE0ELb1ES3_N6thrust23THRUST_200600_302600_NS6detail15normal_iteratorINS9_10device_ptrIiEEEESE_SE_iNS9_4plusIvEENS9_8equal_toIvEEiEE10hipError_tPvRmT2_T3_T4_T5_mT6_T7_P12ihipStream_tbENKUlT_T0_E_clISt17integral_constantIbLb0EESZ_EEDaSU_SV_EUlSU_E_NS1_11comp_targetILNS1_3genE10ELNS1_11target_archE1201ELNS1_3gpuE5ELNS1_3repE0EEENS1_30default_config_static_selectorELNS0_4arch9wavefront6targetE1EEEvT1_,"axG",@progbits,_ZN7rocprim17ROCPRIM_400000_NS6detail17trampoline_kernelINS0_14default_configENS1_27scan_by_key_config_selectorIiiEEZZNS1_16scan_by_key_implILNS1_25lookback_scan_determinismE0ELb1ES3_N6thrust23THRUST_200600_302600_NS6detail15normal_iteratorINS9_10device_ptrIiEEEESE_SE_iNS9_4plusIvEENS9_8equal_toIvEEiEE10hipError_tPvRmT2_T3_T4_T5_mT6_T7_P12ihipStream_tbENKUlT_T0_E_clISt17integral_constantIbLb0EESZ_EEDaSU_SV_EUlSU_E_NS1_11comp_targetILNS1_3genE10ELNS1_11target_archE1201ELNS1_3gpuE5ELNS1_3repE0EEENS1_30default_config_static_selectorELNS0_4arch9wavefront6targetE1EEEvT1_,comdat
	.protected	_ZN7rocprim17ROCPRIM_400000_NS6detail17trampoline_kernelINS0_14default_configENS1_27scan_by_key_config_selectorIiiEEZZNS1_16scan_by_key_implILNS1_25lookback_scan_determinismE0ELb1ES3_N6thrust23THRUST_200600_302600_NS6detail15normal_iteratorINS9_10device_ptrIiEEEESE_SE_iNS9_4plusIvEENS9_8equal_toIvEEiEE10hipError_tPvRmT2_T3_T4_T5_mT6_T7_P12ihipStream_tbENKUlT_T0_E_clISt17integral_constantIbLb0EESZ_EEDaSU_SV_EUlSU_E_NS1_11comp_targetILNS1_3genE10ELNS1_11target_archE1201ELNS1_3gpuE5ELNS1_3repE0EEENS1_30default_config_static_selectorELNS0_4arch9wavefront6targetE1EEEvT1_ ; -- Begin function _ZN7rocprim17ROCPRIM_400000_NS6detail17trampoline_kernelINS0_14default_configENS1_27scan_by_key_config_selectorIiiEEZZNS1_16scan_by_key_implILNS1_25lookback_scan_determinismE0ELb1ES3_N6thrust23THRUST_200600_302600_NS6detail15normal_iteratorINS9_10device_ptrIiEEEESE_SE_iNS9_4plusIvEENS9_8equal_toIvEEiEE10hipError_tPvRmT2_T3_T4_T5_mT6_T7_P12ihipStream_tbENKUlT_T0_E_clISt17integral_constantIbLb0EESZ_EEDaSU_SV_EUlSU_E_NS1_11comp_targetILNS1_3genE10ELNS1_11target_archE1201ELNS1_3gpuE5ELNS1_3repE0EEENS1_30default_config_static_selectorELNS0_4arch9wavefront6targetE1EEEvT1_
	.globl	_ZN7rocprim17ROCPRIM_400000_NS6detail17trampoline_kernelINS0_14default_configENS1_27scan_by_key_config_selectorIiiEEZZNS1_16scan_by_key_implILNS1_25lookback_scan_determinismE0ELb1ES3_N6thrust23THRUST_200600_302600_NS6detail15normal_iteratorINS9_10device_ptrIiEEEESE_SE_iNS9_4plusIvEENS9_8equal_toIvEEiEE10hipError_tPvRmT2_T3_T4_T5_mT6_T7_P12ihipStream_tbENKUlT_T0_E_clISt17integral_constantIbLb0EESZ_EEDaSU_SV_EUlSU_E_NS1_11comp_targetILNS1_3genE10ELNS1_11target_archE1201ELNS1_3gpuE5ELNS1_3repE0EEENS1_30default_config_static_selectorELNS0_4arch9wavefront6targetE1EEEvT1_
	.p2align	8
	.type	_ZN7rocprim17ROCPRIM_400000_NS6detail17trampoline_kernelINS0_14default_configENS1_27scan_by_key_config_selectorIiiEEZZNS1_16scan_by_key_implILNS1_25lookback_scan_determinismE0ELb1ES3_N6thrust23THRUST_200600_302600_NS6detail15normal_iteratorINS9_10device_ptrIiEEEESE_SE_iNS9_4plusIvEENS9_8equal_toIvEEiEE10hipError_tPvRmT2_T3_T4_T5_mT6_T7_P12ihipStream_tbENKUlT_T0_E_clISt17integral_constantIbLb0EESZ_EEDaSU_SV_EUlSU_E_NS1_11comp_targetILNS1_3genE10ELNS1_11target_archE1201ELNS1_3gpuE5ELNS1_3repE0EEENS1_30default_config_static_selectorELNS0_4arch9wavefront6targetE1EEEvT1_,@function
_ZN7rocprim17ROCPRIM_400000_NS6detail17trampoline_kernelINS0_14default_configENS1_27scan_by_key_config_selectorIiiEEZZNS1_16scan_by_key_implILNS1_25lookback_scan_determinismE0ELb1ES3_N6thrust23THRUST_200600_302600_NS6detail15normal_iteratorINS9_10device_ptrIiEEEESE_SE_iNS9_4plusIvEENS9_8equal_toIvEEiEE10hipError_tPvRmT2_T3_T4_T5_mT6_T7_P12ihipStream_tbENKUlT_T0_E_clISt17integral_constantIbLb0EESZ_EEDaSU_SV_EUlSU_E_NS1_11comp_targetILNS1_3genE10ELNS1_11target_archE1201ELNS1_3gpuE5ELNS1_3repE0EEENS1_30default_config_static_selectorELNS0_4arch9wavefront6targetE1EEEvT1_: ; @_ZN7rocprim17ROCPRIM_400000_NS6detail17trampoline_kernelINS0_14default_configENS1_27scan_by_key_config_selectorIiiEEZZNS1_16scan_by_key_implILNS1_25lookback_scan_determinismE0ELb1ES3_N6thrust23THRUST_200600_302600_NS6detail15normal_iteratorINS9_10device_ptrIiEEEESE_SE_iNS9_4plusIvEENS9_8equal_toIvEEiEE10hipError_tPvRmT2_T3_T4_T5_mT6_T7_P12ihipStream_tbENKUlT_T0_E_clISt17integral_constantIbLb0EESZ_EEDaSU_SV_EUlSU_E_NS1_11comp_targetILNS1_3genE10ELNS1_11target_archE1201ELNS1_3gpuE5ELNS1_3repE0EEENS1_30default_config_static_selectorELNS0_4arch9wavefront6targetE1EEEvT1_
; %bb.0:
	.section	.rodata,"a",@progbits
	.p2align	6, 0x0
	.amdhsa_kernel _ZN7rocprim17ROCPRIM_400000_NS6detail17trampoline_kernelINS0_14default_configENS1_27scan_by_key_config_selectorIiiEEZZNS1_16scan_by_key_implILNS1_25lookback_scan_determinismE0ELb1ES3_N6thrust23THRUST_200600_302600_NS6detail15normal_iteratorINS9_10device_ptrIiEEEESE_SE_iNS9_4plusIvEENS9_8equal_toIvEEiEE10hipError_tPvRmT2_T3_T4_T5_mT6_T7_P12ihipStream_tbENKUlT_T0_E_clISt17integral_constantIbLb0EESZ_EEDaSU_SV_EUlSU_E_NS1_11comp_targetILNS1_3genE10ELNS1_11target_archE1201ELNS1_3gpuE5ELNS1_3repE0EEENS1_30default_config_static_selectorELNS0_4arch9wavefront6targetE1EEEvT1_
		.amdhsa_group_segment_fixed_size 0
		.amdhsa_private_segment_fixed_size 0
		.amdhsa_kernarg_size 112
		.amdhsa_user_sgpr_count 6
		.amdhsa_user_sgpr_private_segment_buffer 1
		.amdhsa_user_sgpr_dispatch_ptr 0
		.amdhsa_user_sgpr_queue_ptr 0
		.amdhsa_user_sgpr_kernarg_segment_ptr 1
		.amdhsa_user_sgpr_dispatch_id 0
		.amdhsa_user_sgpr_flat_scratch_init 0
		.amdhsa_user_sgpr_kernarg_preload_length 0
		.amdhsa_user_sgpr_kernarg_preload_offset 0
		.amdhsa_user_sgpr_private_segment_size 0
		.amdhsa_uses_dynamic_stack 0
		.amdhsa_system_sgpr_private_segment_wavefront_offset 0
		.amdhsa_system_sgpr_workgroup_id_x 1
		.amdhsa_system_sgpr_workgroup_id_y 0
		.amdhsa_system_sgpr_workgroup_id_z 0
		.amdhsa_system_sgpr_workgroup_info 0
		.amdhsa_system_vgpr_workitem_id 0
		.amdhsa_next_free_vgpr 1
		.amdhsa_next_free_sgpr 0
		.amdhsa_accum_offset 4
		.amdhsa_reserve_vcc 0
		.amdhsa_reserve_flat_scratch 0
		.amdhsa_float_round_mode_32 0
		.amdhsa_float_round_mode_16_64 0
		.amdhsa_float_denorm_mode_32 3
		.amdhsa_float_denorm_mode_16_64 3
		.amdhsa_dx10_clamp 1
		.amdhsa_ieee_mode 1
		.amdhsa_fp16_overflow 0
		.amdhsa_tg_split 0
		.amdhsa_exception_fp_ieee_invalid_op 0
		.amdhsa_exception_fp_denorm_src 0
		.amdhsa_exception_fp_ieee_div_zero 0
		.amdhsa_exception_fp_ieee_overflow 0
		.amdhsa_exception_fp_ieee_underflow 0
		.amdhsa_exception_fp_ieee_inexact 0
		.amdhsa_exception_int_div_zero 0
	.end_amdhsa_kernel
	.section	.text._ZN7rocprim17ROCPRIM_400000_NS6detail17trampoline_kernelINS0_14default_configENS1_27scan_by_key_config_selectorIiiEEZZNS1_16scan_by_key_implILNS1_25lookback_scan_determinismE0ELb1ES3_N6thrust23THRUST_200600_302600_NS6detail15normal_iteratorINS9_10device_ptrIiEEEESE_SE_iNS9_4plusIvEENS9_8equal_toIvEEiEE10hipError_tPvRmT2_T3_T4_T5_mT6_T7_P12ihipStream_tbENKUlT_T0_E_clISt17integral_constantIbLb0EESZ_EEDaSU_SV_EUlSU_E_NS1_11comp_targetILNS1_3genE10ELNS1_11target_archE1201ELNS1_3gpuE5ELNS1_3repE0EEENS1_30default_config_static_selectorELNS0_4arch9wavefront6targetE1EEEvT1_,"axG",@progbits,_ZN7rocprim17ROCPRIM_400000_NS6detail17trampoline_kernelINS0_14default_configENS1_27scan_by_key_config_selectorIiiEEZZNS1_16scan_by_key_implILNS1_25lookback_scan_determinismE0ELb1ES3_N6thrust23THRUST_200600_302600_NS6detail15normal_iteratorINS9_10device_ptrIiEEEESE_SE_iNS9_4plusIvEENS9_8equal_toIvEEiEE10hipError_tPvRmT2_T3_T4_T5_mT6_T7_P12ihipStream_tbENKUlT_T0_E_clISt17integral_constantIbLb0EESZ_EEDaSU_SV_EUlSU_E_NS1_11comp_targetILNS1_3genE10ELNS1_11target_archE1201ELNS1_3gpuE5ELNS1_3repE0EEENS1_30default_config_static_selectorELNS0_4arch9wavefront6targetE1EEEvT1_,comdat
.Lfunc_end82:
	.size	_ZN7rocprim17ROCPRIM_400000_NS6detail17trampoline_kernelINS0_14default_configENS1_27scan_by_key_config_selectorIiiEEZZNS1_16scan_by_key_implILNS1_25lookback_scan_determinismE0ELb1ES3_N6thrust23THRUST_200600_302600_NS6detail15normal_iteratorINS9_10device_ptrIiEEEESE_SE_iNS9_4plusIvEENS9_8equal_toIvEEiEE10hipError_tPvRmT2_T3_T4_T5_mT6_T7_P12ihipStream_tbENKUlT_T0_E_clISt17integral_constantIbLb0EESZ_EEDaSU_SV_EUlSU_E_NS1_11comp_targetILNS1_3genE10ELNS1_11target_archE1201ELNS1_3gpuE5ELNS1_3repE0EEENS1_30default_config_static_selectorELNS0_4arch9wavefront6targetE1EEEvT1_, .Lfunc_end82-_ZN7rocprim17ROCPRIM_400000_NS6detail17trampoline_kernelINS0_14default_configENS1_27scan_by_key_config_selectorIiiEEZZNS1_16scan_by_key_implILNS1_25lookback_scan_determinismE0ELb1ES3_N6thrust23THRUST_200600_302600_NS6detail15normal_iteratorINS9_10device_ptrIiEEEESE_SE_iNS9_4plusIvEENS9_8equal_toIvEEiEE10hipError_tPvRmT2_T3_T4_T5_mT6_T7_P12ihipStream_tbENKUlT_T0_E_clISt17integral_constantIbLb0EESZ_EEDaSU_SV_EUlSU_E_NS1_11comp_targetILNS1_3genE10ELNS1_11target_archE1201ELNS1_3gpuE5ELNS1_3repE0EEENS1_30default_config_static_selectorELNS0_4arch9wavefront6targetE1EEEvT1_
                                        ; -- End function
	.section	.AMDGPU.csdata,"",@progbits
; Kernel info:
; codeLenInByte = 0
; NumSgprs: 4
; NumVgprs: 0
; NumAgprs: 0
; TotalNumVgprs: 0
; ScratchSize: 0
; MemoryBound: 0
; FloatMode: 240
; IeeeMode: 1
; LDSByteSize: 0 bytes/workgroup (compile time only)
; SGPRBlocks: 0
; VGPRBlocks: 0
; NumSGPRsForWavesPerEU: 4
; NumVGPRsForWavesPerEU: 1
; AccumOffset: 4
; Occupancy: 8
; WaveLimiterHint : 0
; COMPUTE_PGM_RSRC2:SCRATCH_EN: 0
; COMPUTE_PGM_RSRC2:USER_SGPR: 6
; COMPUTE_PGM_RSRC2:TRAP_HANDLER: 0
; COMPUTE_PGM_RSRC2:TGID_X_EN: 1
; COMPUTE_PGM_RSRC2:TGID_Y_EN: 0
; COMPUTE_PGM_RSRC2:TGID_Z_EN: 0
; COMPUTE_PGM_RSRC2:TIDIG_COMP_CNT: 0
; COMPUTE_PGM_RSRC3_GFX90A:ACCUM_OFFSET: 0
; COMPUTE_PGM_RSRC3_GFX90A:TG_SPLIT: 0
	.section	.text._ZN7rocprim17ROCPRIM_400000_NS6detail17trampoline_kernelINS0_14default_configENS1_27scan_by_key_config_selectorIiiEEZZNS1_16scan_by_key_implILNS1_25lookback_scan_determinismE0ELb1ES3_N6thrust23THRUST_200600_302600_NS6detail15normal_iteratorINS9_10device_ptrIiEEEESE_SE_iNS9_4plusIvEENS9_8equal_toIvEEiEE10hipError_tPvRmT2_T3_T4_T5_mT6_T7_P12ihipStream_tbENKUlT_T0_E_clISt17integral_constantIbLb0EESZ_EEDaSU_SV_EUlSU_E_NS1_11comp_targetILNS1_3genE5ELNS1_11target_archE942ELNS1_3gpuE9ELNS1_3repE0EEENS1_30default_config_static_selectorELNS0_4arch9wavefront6targetE1EEEvT1_,"axG",@progbits,_ZN7rocprim17ROCPRIM_400000_NS6detail17trampoline_kernelINS0_14default_configENS1_27scan_by_key_config_selectorIiiEEZZNS1_16scan_by_key_implILNS1_25lookback_scan_determinismE0ELb1ES3_N6thrust23THRUST_200600_302600_NS6detail15normal_iteratorINS9_10device_ptrIiEEEESE_SE_iNS9_4plusIvEENS9_8equal_toIvEEiEE10hipError_tPvRmT2_T3_T4_T5_mT6_T7_P12ihipStream_tbENKUlT_T0_E_clISt17integral_constantIbLb0EESZ_EEDaSU_SV_EUlSU_E_NS1_11comp_targetILNS1_3genE5ELNS1_11target_archE942ELNS1_3gpuE9ELNS1_3repE0EEENS1_30default_config_static_selectorELNS0_4arch9wavefront6targetE1EEEvT1_,comdat
	.protected	_ZN7rocprim17ROCPRIM_400000_NS6detail17trampoline_kernelINS0_14default_configENS1_27scan_by_key_config_selectorIiiEEZZNS1_16scan_by_key_implILNS1_25lookback_scan_determinismE0ELb1ES3_N6thrust23THRUST_200600_302600_NS6detail15normal_iteratorINS9_10device_ptrIiEEEESE_SE_iNS9_4plusIvEENS9_8equal_toIvEEiEE10hipError_tPvRmT2_T3_T4_T5_mT6_T7_P12ihipStream_tbENKUlT_T0_E_clISt17integral_constantIbLb0EESZ_EEDaSU_SV_EUlSU_E_NS1_11comp_targetILNS1_3genE5ELNS1_11target_archE942ELNS1_3gpuE9ELNS1_3repE0EEENS1_30default_config_static_selectorELNS0_4arch9wavefront6targetE1EEEvT1_ ; -- Begin function _ZN7rocprim17ROCPRIM_400000_NS6detail17trampoline_kernelINS0_14default_configENS1_27scan_by_key_config_selectorIiiEEZZNS1_16scan_by_key_implILNS1_25lookback_scan_determinismE0ELb1ES3_N6thrust23THRUST_200600_302600_NS6detail15normal_iteratorINS9_10device_ptrIiEEEESE_SE_iNS9_4plusIvEENS9_8equal_toIvEEiEE10hipError_tPvRmT2_T3_T4_T5_mT6_T7_P12ihipStream_tbENKUlT_T0_E_clISt17integral_constantIbLb0EESZ_EEDaSU_SV_EUlSU_E_NS1_11comp_targetILNS1_3genE5ELNS1_11target_archE942ELNS1_3gpuE9ELNS1_3repE0EEENS1_30default_config_static_selectorELNS0_4arch9wavefront6targetE1EEEvT1_
	.globl	_ZN7rocprim17ROCPRIM_400000_NS6detail17trampoline_kernelINS0_14default_configENS1_27scan_by_key_config_selectorIiiEEZZNS1_16scan_by_key_implILNS1_25lookback_scan_determinismE0ELb1ES3_N6thrust23THRUST_200600_302600_NS6detail15normal_iteratorINS9_10device_ptrIiEEEESE_SE_iNS9_4plusIvEENS9_8equal_toIvEEiEE10hipError_tPvRmT2_T3_T4_T5_mT6_T7_P12ihipStream_tbENKUlT_T0_E_clISt17integral_constantIbLb0EESZ_EEDaSU_SV_EUlSU_E_NS1_11comp_targetILNS1_3genE5ELNS1_11target_archE942ELNS1_3gpuE9ELNS1_3repE0EEENS1_30default_config_static_selectorELNS0_4arch9wavefront6targetE1EEEvT1_
	.p2align	8
	.type	_ZN7rocprim17ROCPRIM_400000_NS6detail17trampoline_kernelINS0_14default_configENS1_27scan_by_key_config_selectorIiiEEZZNS1_16scan_by_key_implILNS1_25lookback_scan_determinismE0ELb1ES3_N6thrust23THRUST_200600_302600_NS6detail15normal_iteratorINS9_10device_ptrIiEEEESE_SE_iNS9_4plusIvEENS9_8equal_toIvEEiEE10hipError_tPvRmT2_T3_T4_T5_mT6_T7_P12ihipStream_tbENKUlT_T0_E_clISt17integral_constantIbLb0EESZ_EEDaSU_SV_EUlSU_E_NS1_11comp_targetILNS1_3genE5ELNS1_11target_archE942ELNS1_3gpuE9ELNS1_3repE0EEENS1_30default_config_static_selectorELNS0_4arch9wavefront6targetE1EEEvT1_,@function
_ZN7rocprim17ROCPRIM_400000_NS6detail17trampoline_kernelINS0_14default_configENS1_27scan_by_key_config_selectorIiiEEZZNS1_16scan_by_key_implILNS1_25lookback_scan_determinismE0ELb1ES3_N6thrust23THRUST_200600_302600_NS6detail15normal_iteratorINS9_10device_ptrIiEEEESE_SE_iNS9_4plusIvEENS9_8equal_toIvEEiEE10hipError_tPvRmT2_T3_T4_T5_mT6_T7_P12ihipStream_tbENKUlT_T0_E_clISt17integral_constantIbLb0EESZ_EEDaSU_SV_EUlSU_E_NS1_11comp_targetILNS1_3genE5ELNS1_11target_archE942ELNS1_3gpuE9ELNS1_3repE0EEENS1_30default_config_static_selectorELNS0_4arch9wavefront6targetE1EEEvT1_: ; @_ZN7rocprim17ROCPRIM_400000_NS6detail17trampoline_kernelINS0_14default_configENS1_27scan_by_key_config_selectorIiiEEZZNS1_16scan_by_key_implILNS1_25lookback_scan_determinismE0ELb1ES3_N6thrust23THRUST_200600_302600_NS6detail15normal_iteratorINS9_10device_ptrIiEEEESE_SE_iNS9_4plusIvEENS9_8equal_toIvEEiEE10hipError_tPvRmT2_T3_T4_T5_mT6_T7_P12ihipStream_tbENKUlT_T0_E_clISt17integral_constantIbLb0EESZ_EEDaSU_SV_EUlSU_E_NS1_11comp_targetILNS1_3genE5ELNS1_11target_archE942ELNS1_3gpuE9ELNS1_3repE0EEENS1_30default_config_static_selectorELNS0_4arch9wavefront6targetE1EEEvT1_
; %bb.0:
	.section	.rodata,"a",@progbits
	.p2align	6, 0x0
	.amdhsa_kernel _ZN7rocprim17ROCPRIM_400000_NS6detail17trampoline_kernelINS0_14default_configENS1_27scan_by_key_config_selectorIiiEEZZNS1_16scan_by_key_implILNS1_25lookback_scan_determinismE0ELb1ES3_N6thrust23THRUST_200600_302600_NS6detail15normal_iteratorINS9_10device_ptrIiEEEESE_SE_iNS9_4plusIvEENS9_8equal_toIvEEiEE10hipError_tPvRmT2_T3_T4_T5_mT6_T7_P12ihipStream_tbENKUlT_T0_E_clISt17integral_constantIbLb0EESZ_EEDaSU_SV_EUlSU_E_NS1_11comp_targetILNS1_3genE5ELNS1_11target_archE942ELNS1_3gpuE9ELNS1_3repE0EEENS1_30default_config_static_selectorELNS0_4arch9wavefront6targetE1EEEvT1_
		.amdhsa_group_segment_fixed_size 0
		.amdhsa_private_segment_fixed_size 0
		.amdhsa_kernarg_size 112
		.amdhsa_user_sgpr_count 6
		.amdhsa_user_sgpr_private_segment_buffer 1
		.amdhsa_user_sgpr_dispatch_ptr 0
		.amdhsa_user_sgpr_queue_ptr 0
		.amdhsa_user_sgpr_kernarg_segment_ptr 1
		.amdhsa_user_sgpr_dispatch_id 0
		.amdhsa_user_sgpr_flat_scratch_init 0
		.amdhsa_user_sgpr_kernarg_preload_length 0
		.amdhsa_user_sgpr_kernarg_preload_offset 0
		.amdhsa_user_sgpr_private_segment_size 0
		.amdhsa_uses_dynamic_stack 0
		.amdhsa_system_sgpr_private_segment_wavefront_offset 0
		.amdhsa_system_sgpr_workgroup_id_x 1
		.amdhsa_system_sgpr_workgroup_id_y 0
		.amdhsa_system_sgpr_workgroup_id_z 0
		.amdhsa_system_sgpr_workgroup_info 0
		.amdhsa_system_vgpr_workitem_id 0
		.amdhsa_next_free_vgpr 1
		.amdhsa_next_free_sgpr 0
		.amdhsa_accum_offset 4
		.amdhsa_reserve_vcc 0
		.amdhsa_reserve_flat_scratch 0
		.amdhsa_float_round_mode_32 0
		.amdhsa_float_round_mode_16_64 0
		.amdhsa_float_denorm_mode_32 3
		.amdhsa_float_denorm_mode_16_64 3
		.amdhsa_dx10_clamp 1
		.amdhsa_ieee_mode 1
		.amdhsa_fp16_overflow 0
		.amdhsa_tg_split 0
		.amdhsa_exception_fp_ieee_invalid_op 0
		.amdhsa_exception_fp_denorm_src 0
		.amdhsa_exception_fp_ieee_div_zero 0
		.amdhsa_exception_fp_ieee_overflow 0
		.amdhsa_exception_fp_ieee_underflow 0
		.amdhsa_exception_fp_ieee_inexact 0
		.amdhsa_exception_int_div_zero 0
	.end_amdhsa_kernel
	.section	.text._ZN7rocprim17ROCPRIM_400000_NS6detail17trampoline_kernelINS0_14default_configENS1_27scan_by_key_config_selectorIiiEEZZNS1_16scan_by_key_implILNS1_25lookback_scan_determinismE0ELb1ES3_N6thrust23THRUST_200600_302600_NS6detail15normal_iteratorINS9_10device_ptrIiEEEESE_SE_iNS9_4plusIvEENS9_8equal_toIvEEiEE10hipError_tPvRmT2_T3_T4_T5_mT6_T7_P12ihipStream_tbENKUlT_T0_E_clISt17integral_constantIbLb0EESZ_EEDaSU_SV_EUlSU_E_NS1_11comp_targetILNS1_3genE5ELNS1_11target_archE942ELNS1_3gpuE9ELNS1_3repE0EEENS1_30default_config_static_selectorELNS0_4arch9wavefront6targetE1EEEvT1_,"axG",@progbits,_ZN7rocprim17ROCPRIM_400000_NS6detail17trampoline_kernelINS0_14default_configENS1_27scan_by_key_config_selectorIiiEEZZNS1_16scan_by_key_implILNS1_25lookback_scan_determinismE0ELb1ES3_N6thrust23THRUST_200600_302600_NS6detail15normal_iteratorINS9_10device_ptrIiEEEESE_SE_iNS9_4plusIvEENS9_8equal_toIvEEiEE10hipError_tPvRmT2_T3_T4_T5_mT6_T7_P12ihipStream_tbENKUlT_T0_E_clISt17integral_constantIbLb0EESZ_EEDaSU_SV_EUlSU_E_NS1_11comp_targetILNS1_3genE5ELNS1_11target_archE942ELNS1_3gpuE9ELNS1_3repE0EEENS1_30default_config_static_selectorELNS0_4arch9wavefront6targetE1EEEvT1_,comdat
.Lfunc_end83:
	.size	_ZN7rocprim17ROCPRIM_400000_NS6detail17trampoline_kernelINS0_14default_configENS1_27scan_by_key_config_selectorIiiEEZZNS1_16scan_by_key_implILNS1_25lookback_scan_determinismE0ELb1ES3_N6thrust23THRUST_200600_302600_NS6detail15normal_iteratorINS9_10device_ptrIiEEEESE_SE_iNS9_4plusIvEENS9_8equal_toIvEEiEE10hipError_tPvRmT2_T3_T4_T5_mT6_T7_P12ihipStream_tbENKUlT_T0_E_clISt17integral_constantIbLb0EESZ_EEDaSU_SV_EUlSU_E_NS1_11comp_targetILNS1_3genE5ELNS1_11target_archE942ELNS1_3gpuE9ELNS1_3repE0EEENS1_30default_config_static_selectorELNS0_4arch9wavefront6targetE1EEEvT1_, .Lfunc_end83-_ZN7rocprim17ROCPRIM_400000_NS6detail17trampoline_kernelINS0_14default_configENS1_27scan_by_key_config_selectorIiiEEZZNS1_16scan_by_key_implILNS1_25lookback_scan_determinismE0ELb1ES3_N6thrust23THRUST_200600_302600_NS6detail15normal_iteratorINS9_10device_ptrIiEEEESE_SE_iNS9_4plusIvEENS9_8equal_toIvEEiEE10hipError_tPvRmT2_T3_T4_T5_mT6_T7_P12ihipStream_tbENKUlT_T0_E_clISt17integral_constantIbLb0EESZ_EEDaSU_SV_EUlSU_E_NS1_11comp_targetILNS1_3genE5ELNS1_11target_archE942ELNS1_3gpuE9ELNS1_3repE0EEENS1_30default_config_static_selectorELNS0_4arch9wavefront6targetE1EEEvT1_
                                        ; -- End function
	.section	.AMDGPU.csdata,"",@progbits
; Kernel info:
; codeLenInByte = 0
; NumSgprs: 4
; NumVgprs: 0
; NumAgprs: 0
; TotalNumVgprs: 0
; ScratchSize: 0
; MemoryBound: 0
; FloatMode: 240
; IeeeMode: 1
; LDSByteSize: 0 bytes/workgroup (compile time only)
; SGPRBlocks: 0
; VGPRBlocks: 0
; NumSGPRsForWavesPerEU: 4
; NumVGPRsForWavesPerEU: 1
; AccumOffset: 4
; Occupancy: 8
; WaveLimiterHint : 0
; COMPUTE_PGM_RSRC2:SCRATCH_EN: 0
; COMPUTE_PGM_RSRC2:USER_SGPR: 6
; COMPUTE_PGM_RSRC2:TRAP_HANDLER: 0
; COMPUTE_PGM_RSRC2:TGID_X_EN: 1
; COMPUTE_PGM_RSRC2:TGID_Y_EN: 0
; COMPUTE_PGM_RSRC2:TGID_Z_EN: 0
; COMPUTE_PGM_RSRC2:TIDIG_COMP_CNT: 0
; COMPUTE_PGM_RSRC3_GFX90A:ACCUM_OFFSET: 0
; COMPUTE_PGM_RSRC3_GFX90A:TG_SPLIT: 0
	.section	.text._ZN7rocprim17ROCPRIM_400000_NS6detail17trampoline_kernelINS0_14default_configENS1_27scan_by_key_config_selectorIiiEEZZNS1_16scan_by_key_implILNS1_25lookback_scan_determinismE0ELb1ES3_N6thrust23THRUST_200600_302600_NS6detail15normal_iteratorINS9_10device_ptrIiEEEESE_SE_iNS9_4plusIvEENS9_8equal_toIvEEiEE10hipError_tPvRmT2_T3_T4_T5_mT6_T7_P12ihipStream_tbENKUlT_T0_E_clISt17integral_constantIbLb0EESZ_EEDaSU_SV_EUlSU_E_NS1_11comp_targetILNS1_3genE4ELNS1_11target_archE910ELNS1_3gpuE8ELNS1_3repE0EEENS1_30default_config_static_selectorELNS0_4arch9wavefront6targetE1EEEvT1_,"axG",@progbits,_ZN7rocprim17ROCPRIM_400000_NS6detail17trampoline_kernelINS0_14default_configENS1_27scan_by_key_config_selectorIiiEEZZNS1_16scan_by_key_implILNS1_25lookback_scan_determinismE0ELb1ES3_N6thrust23THRUST_200600_302600_NS6detail15normal_iteratorINS9_10device_ptrIiEEEESE_SE_iNS9_4plusIvEENS9_8equal_toIvEEiEE10hipError_tPvRmT2_T3_T4_T5_mT6_T7_P12ihipStream_tbENKUlT_T0_E_clISt17integral_constantIbLb0EESZ_EEDaSU_SV_EUlSU_E_NS1_11comp_targetILNS1_3genE4ELNS1_11target_archE910ELNS1_3gpuE8ELNS1_3repE0EEENS1_30default_config_static_selectorELNS0_4arch9wavefront6targetE1EEEvT1_,comdat
	.protected	_ZN7rocprim17ROCPRIM_400000_NS6detail17trampoline_kernelINS0_14default_configENS1_27scan_by_key_config_selectorIiiEEZZNS1_16scan_by_key_implILNS1_25lookback_scan_determinismE0ELb1ES3_N6thrust23THRUST_200600_302600_NS6detail15normal_iteratorINS9_10device_ptrIiEEEESE_SE_iNS9_4plusIvEENS9_8equal_toIvEEiEE10hipError_tPvRmT2_T3_T4_T5_mT6_T7_P12ihipStream_tbENKUlT_T0_E_clISt17integral_constantIbLb0EESZ_EEDaSU_SV_EUlSU_E_NS1_11comp_targetILNS1_3genE4ELNS1_11target_archE910ELNS1_3gpuE8ELNS1_3repE0EEENS1_30default_config_static_selectorELNS0_4arch9wavefront6targetE1EEEvT1_ ; -- Begin function _ZN7rocprim17ROCPRIM_400000_NS6detail17trampoline_kernelINS0_14default_configENS1_27scan_by_key_config_selectorIiiEEZZNS1_16scan_by_key_implILNS1_25lookback_scan_determinismE0ELb1ES3_N6thrust23THRUST_200600_302600_NS6detail15normal_iteratorINS9_10device_ptrIiEEEESE_SE_iNS9_4plusIvEENS9_8equal_toIvEEiEE10hipError_tPvRmT2_T3_T4_T5_mT6_T7_P12ihipStream_tbENKUlT_T0_E_clISt17integral_constantIbLb0EESZ_EEDaSU_SV_EUlSU_E_NS1_11comp_targetILNS1_3genE4ELNS1_11target_archE910ELNS1_3gpuE8ELNS1_3repE0EEENS1_30default_config_static_selectorELNS0_4arch9wavefront6targetE1EEEvT1_
	.globl	_ZN7rocprim17ROCPRIM_400000_NS6detail17trampoline_kernelINS0_14default_configENS1_27scan_by_key_config_selectorIiiEEZZNS1_16scan_by_key_implILNS1_25lookback_scan_determinismE0ELb1ES3_N6thrust23THRUST_200600_302600_NS6detail15normal_iteratorINS9_10device_ptrIiEEEESE_SE_iNS9_4plusIvEENS9_8equal_toIvEEiEE10hipError_tPvRmT2_T3_T4_T5_mT6_T7_P12ihipStream_tbENKUlT_T0_E_clISt17integral_constantIbLb0EESZ_EEDaSU_SV_EUlSU_E_NS1_11comp_targetILNS1_3genE4ELNS1_11target_archE910ELNS1_3gpuE8ELNS1_3repE0EEENS1_30default_config_static_selectorELNS0_4arch9wavefront6targetE1EEEvT1_
	.p2align	8
	.type	_ZN7rocprim17ROCPRIM_400000_NS6detail17trampoline_kernelINS0_14default_configENS1_27scan_by_key_config_selectorIiiEEZZNS1_16scan_by_key_implILNS1_25lookback_scan_determinismE0ELb1ES3_N6thrust23THRUST_200600_302600_NS6detail15normal_iteratorINS9_10device_ptrIiEEEESE_SE_iNS9_4plusIvEENS9_8equal_toIvEEiEE10hipError_tPvRmT2_T3_T4_T5_mT6_T7_P12ihipStream_tbENKUlT_T0_E_clISt17integral_constantIbLb0EESZ_EEDaSU_SV_EUlSU_E_NS1_11comp_targetILNS1_3genE4ELNS1_11target_archE910ELNS1_3gpuE8ELNS1_3repE0EEENS1_30default_config_static_selectorELNS0_4arch9wavefront6targetE1EEEvT1_,@function
_ZN7rocprim17ROCPRIM_400000_NS6detail17trampoline_kernelINS0_14default_configENS1_27scan_by_key_config_selectorIiiEEZZNS1_16scan_by_key_implILNS1_25lookback_scan_determinismE0ELb1ES3_N6thrust23THRUST_200600_302600_NS6detail15normal_iteratorINS9_10device_ptrIiEEEESE_SE_iNS9_4plusIvEENS9_8equal_toIvEEiEE10hipError_tPvRmT2_T3_T4_T5_mT6_T7_P12ihipStream_tbENKUlT_T0_E_clISt17integral_constantIbLb0EESZ_EEDaSU_SV_EUlSU_E_NS1_11comp_targetILNS1_3genE4ELNS1_11target_archE910ELNS1_3gpuE8ELNS1_3repE0EEENS1_30default_config_static_selectorELNS0_4arch9wavefront6targetE1EEEvT1_: ; @_ZN7rocprim17ROCPRIM_400000_NS6detail17trampoline_kernelINS0_14default_configENS1_27scan_by_key_config_selectorIiiEEZZNS1_16scan_by_key_implILNS1_25lookback_scan_determinismE0ELb1ES3_N6thrust23THRUST_200600_302600_NS6detail15normal_iteratorINS9_10device_ptrIiEEEESE_SE_iNS9_4plusIvEENS9_8equal_toIvEEiEE10hipError_tPvRmT2_T3_T4_T5_mT6_T7_P12ihipStream_tbENKUlT_T0_E_clISt17integral_constantIbLb0EESZ_EEDaSU_SV_EUlSU_E_NS1_11comp_targetILNS1_3genE4ELNS1_11target_archE910ELNS1_3gpuE8ELNS1_3repE0EEENS1_30default_config_static_selectorELNS0_4arch9wavefront6targetE1EEEvT1_
; %bb.0:
	s_load_dwordx8 s[36:43], s[4:5], 0x0
	s_load_dword s56, s[4:5], 0x20
	s_load_dwordx4 s[44:47], s[4:5], 0x28
	s_load_dwordx2 s[52:53], s[4:5], 0x38
	s_load_dword s0, s[4:5], 0x40
	s_load_dwordx4 s[48:51], s[4:5], 0x48
	s_waitcnt lgkmcnt(0)
	s_lshl_b64 s[34:35], s[38:39], 2
	s_add_u32 s2, s36, s34
	s_addc_u32 s3, s37, s35
	s_add_u32 s4, s40, s34
	s_mul_i32 s1, s53, s0
	s_mul_hi_u32 s7, s52, s0
	s_addc_u32 s5, s41, s35
	s_add_i32 s8, s7, s1
	s_mul_i32 s9, s52, s0
	s_mul_i32 s0, s6, 0xe00
	s_mov_b32 s1, 0
	s_lshl_b64 s[36:37], s[0:1], 2
	s_add_u32 s38, s2, s36
	s_addc_u32 s39, s3, s37
	s_add_u32 s7, s4, s36
	s_addc_u32 s47, s5, s37
	;; [unrolled: 2-line block ×3, first 2 shown]
	s_add_u32 s4, s48, -1
	s_addc_u32 s5, s49, -1
	v_pk_mov_b32 v[2:3], s[4:5], s[4:5] op_sel:[0,1]
	v_cmp_ge_u64_e64 s[0:1], s[0:1], v[2:3]
	s_mov_b64 s[2:3], -1
	s_and_b64 vcc, exec, s[0:1]
	s_mul_i32 s33, s4, 0xfffff200
	s_barrier
	s_cbranch_vccz .LBB84_76
; %bb.1:
	v_pk_mov_b32 v[2:3], s[38:39], s[38:39] op_sel:[0,1]
	flat_load_dword v1, v[2:3]
	s_add_i32 s54, s33, s46
	v_cmp_gt_u32_e32 vcc, s54, v0
	s_waitcnt vmcnt(0) lgkmcnt(0)
	v_mov_b32_e32 v13, v1
	s_and_saveexec_b64 s[4:5], vcc
	s_cbranch_execz .LBB84_3
; %bb.2:
	v_lshlrev_b32_e32 v2, 2, v0
	v_mov_b32_e32 v3, s39
	v_add_co_u32_e64 v2, s[2:3], s38, v2
	v_addc_co_u32_e64 v3, s[2:3], 0, v3, s[2:3]
	flat_load_dword v13, v[2:3]
.LBB84_3:
	s_or_b64 exec, exec, s[4:5]
	v_or_b32_e32 v2, 0x100, v0
	v_cmp_gt_u32_e64 s[2:3], s54, v2
	v_mov_b32_e32 v14, v1
	s_and_saveexec_b64 s[8:9], s[2:3]
	s_cbranch_execz .LBB84_5
; %bb.4:
	v_lshlrev_b32_e32 v2, 2, v0
	v_mov_b32_e32 v3, s39
	v_add_co_u32_e64 v2, s[4:5], s38, v2
	v_addc_co_u32_e64 v3, s[4:5], 0, v3, s[4:5]
	flat_load_dword v14, v[2:3] offset:1024
.LBB84_5:
	s_or_b64 exec, exec, s[8:9]
	v_or_b32_e32 v2, 0x200, v0
	v_cmp_gt_u32_e64 s[4:5], s54, v2
	v_mov_b32_e32 v15, v1
	s_and_saveexec_b64 s[10:11], s[4:5]
	s_cbranch_execz .LBB84_7
; %bb.6:
	v_lshlrev_b32_e32 v2, 2, v0
	v_mov_b32_e32 v3, s39
	v_add_co_u32_e64 v2, s[8:9], s38, v2
	v_addc_co_u32_e64 v3, s[8:9], 0, v3, s[8:9]
	flat_load_dword v15, v[2:3] offset:2048
.LBB84_7:
	;; [unrolled: 13-line block ×3, first 2 shown]
	s_or_b64 exec, exec, s[10:11]
	v_or_b32_e32 v2, 0x400, v0
	v_cmp_gt_u32_e64 s[8:9], s54, v2
	v_lshlrev_b32_e32 v2, 2, v2
	v_mov_b32_e32 v17, v1
	s_and_saveexec_b64 s[12:13], s[8:9]
	s_cbranch_execz .LBB84_11
; %bb.10:
	v_mov_b32_e32 v3, s39
	v_add_co_u32_e64 v4, s[10:11], s38, v2
	v_addc_co_u32_e64 v5, s[10:11], 0, v3, s[10:11]
	flat_load_dword v17, v[4:5]
.LBB84_11:
	s_or_b64 exec, exec, s[12:13]
	v_or_b32_e32 v3, 0x500, v0
	v_cmp_gt_u32_e64 s[10:11], s54, v3
	v_lshlrev_b32_e32 v3, 2, v3
	v_mov_b32_e32 v18, v1
	s_and_saveexec_b64 s[14:15], s[10:11]
	s_cbranch_execz .LBB84_13
; %bb.12:
	v_mov_b32_e32 v5, s39
	v_add_co_u32_e64 v4, s[12:13], s38, v3
	v_addc_co_u32_e64 v5, s[12:13], 0, v5, s[12:13]
	flat_load_dword v18, v[4:5]
.LBB84_13:
	;; [unrolled: 13-line block ×9, first 2 shown]
	s_or_b64 exec, exec, s[30:31]
	v_or_b32_e32 v11, 0xd00, v0
	v_cmp_gt_u32_e64 s[26:27], s54, v11
	v_lshlrev_b32_e32 v11, 2, v11
	s_and_saveexec_b64 s[40:41], s[26:27]
	s_cbranch_execz .LBB84_29
; %bb.28:
	v_mov_b32_e32 v1, s39
	v_add_co_u32_e64 v26, s[30:31], s38, v11
	v_addc_co_u32_e64 v27, s[30:31], 0, v1, s[30:31]
	flat_load_dword v1, v[26:27]
.LBB84_29:
	s_or_b64 exec, exec, s[40:41]
	v_lshlrev_b32_e32 v12, 2, v0
	s_waitcnt vmcnt(0) lgkmcnt(0)
	ds_write2st64_b32 v12, v13, v14 offset1:4
	ds_write2st64_b32 v12, v15, v16 offset0:8 offset1:12
	ds_write2st64_b32 v12, v17, v18 offset0:16 offset1:20
	;; [unrolled: 1-line block ×6, first 2 shown]
	v_pk_mov_b32 v[14:15], s[38:39], s[38:39] op_sel:[0,1]
	s_waitcnt lgkmcnt(0)
	s_barrier
	flat_load_dword v1, v[14:15]
	v_mad_u32_u24 v44, v0, 52, v12
	s_movk_i32 s30, 0xffcc
	ds_read2_b64 v[34:37], v44 offset1:1
	ds_read2_b64 v[30:33], v44 offset0:2 offset1:3
	ds_read2_b64 v[26:29], v44 offset0:4 offset1:5
	ds_read_b64 v[40:41], v44 offset:48
	v_mad_i32_i24 v13, v0, s30, v44
	s_movk_i32 s30, 0xff
	v_cmp_ne_u32_e64 s[30:31], s30, v0
	s_waitcnt lgkmcnt(0)
	ds_write_b32 v13, v34 offset:15360
	s_waitcnt lgkmcnt(0)
	s_barrier
	s_and_saveexec_b64 s[40:41], s[30:31]
	s_cbranch_execz .LBB84_31
; %bb.30:
	s_waitcnt vmcnt(0)
	ds_read_b32 v1, v12 offset:15364
.LBB84_31:
	s_or_b64 exec, exec, s[40:41]
	s_waitcnt lgkmcnt(0)
	s_barrier
	s_waitcnt lgkmcnt(0)
                                        ; implicit-def: $vgpr13
	s_and_saveexec_b64 s[30:31], vcc
	s_cbranch_execz .LBB84_113
; %bb.32:
	v_mov_b32_e32 v13, s47
	v_add_co_u32_e32 v14, vcc, s7, v12
	v_addc_co_u32_e32 v15, vcc, 0, v13, vcc
	flat_load_dword v13, v[14:15]
	s_or_b64 exec, exec, s[30:31]
                                        ; implicit-def: $vgpr14
	s_and_saveexec_b64 s[30:31], s[2:3]
	s_cbranch_execnz .LBB84_114
.LBB84_33:
	s_or_b64 exec, exec, s[30:31]
                                        ; implicit-def: $vgpr15
	s_and_saveexec_b64 s[2:3], s[4:5]
	s_cbranch_execz .LBB84_115
.LBB84_34:
	v_mov_b32_e32 v15, s47
	v_add_co_u32_e32 v16, vcc, s7, v12
	v_addc_co_u32_e32 v17, vcc, 0, v15, vcc
	flat_load_dword v15, v[16:17] offset:2048
	s_or_b64 exec, exec, s[2:3]
                                        ; implicit-def: $vgpr16
	s_and_saveexec_b64 s[2:3], s[28:29]
	s_cbranch_execnz .LBB84_116
.LBB84_35:
	s_or_b64 exec, exec, s[2:3]
                                        ; implicit-def: $vgpr17
	s_and_saveexec_b64 s[2:3], s[8:9]
	s_cbranch_execz .LBB84_117
.LBB84_36:
	v_mov_b32_e32 v17, s47
	v_add_co_u32_e32 v18, vcc, s7, v2
	v_addc_co_u32_e32 v19, vcc, 0, v17, vcc
	flat_load_dword v17, v[18:19]
	s_or_b64 exec, exec, s[2:3]
                                        ; implicit-def: $vgpr2
	s_and_saveexec_b64 s[2:3], s[10:11]
	s_cbranch_execnz .LBB84_118
.LBB84_37:
	s_or_b64 exec, exec, s[2:3]
                                        ; implicit-def: $vgpr3
	s_and_saveexec_b64 s[2:3], s[12:13]
	s_cbranch_execz .LBB84_119
.LBB84_38:
	v_mov_b32_e32 v3, s47
	v_add_co_u32_e32 v18, vcc, s7, v4
	v_addc_co_u32_e32 v19, vcc, 0, v3, vcc
	flat_load_dword v3, v[18:19]
	s_or_b64 exec, exec, s[2:3]
                                        ; implicit-def: $vgpr4
	s_and_saveexec_b64 s[2:3], s[14:15]
	s_cbranch_execnz .LBB84_120
.LBB84_39:
	s_or_b64 exec, exec, s[2:3]
                                        ; implicit-def: $vgpr5
	s_and_saveexec_b64 s[2:3], s[16:17]
	s_cbranch_execz .LBB84_121
.LBB84_40:
	v_mov_b32_e32 v5, s47
	v_add_co_u32_e32 v18, vcc, s7, v6
	v_addc_co_u32_e32 v19, vcc, 0, v5, vcc
	flat_load_dword v5, v[18:19]
	s_or_b64 exec, exec, s[2:3]
                                        ; implicit-def: $vgpr6
	s_and_saveexec_b64 s[2:3], s[18:19]
	s_cbranch_execnz .LBB84_122
.LBB84_41:
	s_or_b64 exec, exec, s[2:3]
                                        ; implicit-def: $vgpr7
	s_and_saveexec_b64 s[2:3], s[20:21]
	s_cbranch_execz .LBB84_123
.LBB84_42:
	v_mov_b32_e32 v7, s47
	v_add_co_u32_e32 v18, vcc, s7, v8
	v_addc_co_u32_e32 v19, vcc, 0, v7, vcc
	flat_load_dword v7, v[18:19]
	s_or_b64 exec, exec, s[2:3]
                                        ; implicit-def: $vgpr8
	s_and_saveexec_b64 s[2:3], s[22:23]
	s_cbranch_execnz .LBB84_124
.LBB84_43:
	s_or_b64 exec, exec, s[2:3]
                                        ; implicit-def: $vgpr9
	s_and_saveexec_b64 s[2:3], s[24:25]
	s_cbranch_execz .LBB84_45
.LBB84_44:
	v_mov_b32_e32 v9, s47
	v_add_co_u32_e32 v18, vcc, s7, v10
	v_addc_co_u32_e32 v19, vcc, 0, v9, vcc
	flat_load_dword v9, v[18:19]
.LBB84_45:
	s_or_b64 exec, exec, s[2:3]
	v_mul_u32_u24_e32 v45, 14, v0
                                        ; implicit-def: $vgpr10
	s_and_saveexec_b64 s[2:3], s[26:27]
	s_cbranch_execz .LBB84_47
; %bb.46:
	v_mov_b32_e32 v18, s47
	v_add_co_u32_e32 v10, vcc, s7, v11
	v_addc_co_u32_e32 v11, vcc, 0, v18, vcc
	flat_load_dword v10, v[10:11]
.LBB84_47:
	s_or_b64 exec, exec, s[2:3]
	s_mov_b32 s8, 0
	s_mov_b32 s9, s8
	s_waitcnt vmcnt(0) lgkmcnt(0)
	ds_write2st64_b32 v12, v13, v14 offset1:4
	ds_write2st64_b32 v12, v15, v16 offset0:8 offset1:12
	ds_write2st64_b32 v12, v17, v2 offset0:16 offset1:20
	;; [unrolled: 1-line block ×6, first 2 shown]
	s_mov_b32 s10, s8
	s_mov_b32 s11, s8
	;; [unrolled: 1-line block ×6, first 2 shown]
	v_pk_mov_b32 v[2:3], s[8:9], s[8:9] op_sel:[0,1]
	v_pk_mov_b32 v[8:9], s[14:15], s[14:15] op_sel:[0,1]
	;; [unrolled: 1-line block ×6, first 2 shown]
	v_cmp_gt_u32_e32 vcc, s54, v45
	s_mov_b64 s[2:3], 0
	v_pk_mov_b32 v[38:39], 0, 0
	s_mov_b64 s[18:19], 0
	v_pk_mov_b32 v[14:15], v[6:7], v[6:7] op_sel:[0,1]
	v_pk_mov_b32 v[12:13], v[4:5], v[4:5] op_sel:[0,1]
	;; [unrolled: 1-line block ×6, first 2 shown]
	s_waitcnt lgkmcnt(0)
	s_barrier
	s_waitcnt lgkmcnt(0)
                                        ; implicit-def: $sgpr16_sgpr17
                                        ; implicit-def: $vgpr42
	s_and_saveexec_b64 s[4:5], vcc
	s_cbranch_execz .LBB84_75
; %bb.48:
	ds_read_b32 v2, v44
	v_mov_b32_e32 v4, s56
	v_cmp_eq_u32_e32 vcc, v34, v35
	v_or_b32_e32 v3, 1, v45
                                        ; implicit-def: $vgpr42
	s_waitcnt lgkmcnt(0)
	v_cndmask_b32_e32 v38, v4, v2, vcc
	v_cmp_ne_u32_e32 vcc, v34, v35
	v_cndmask_b32_e64 v39, 0, 1, vcc
	v_cmp_gt_u32_e32 vcc, s54, v3
	v_pk_mov_b32 v[2:3], s[8:9], s[8:9] op_sel:[0,1]
	v_pk_mov_b32 v[8:9], s[14:15], s[14:15] op_sel:[0,1]
	;; [unrolled: 1-line block ×12, first 2 shown]
                                        ; implicit-def: $sgpr8_sgpr9
	s_and_saveexec_b64 s[16:17], vcc
	s_cbranch_execz .LBB84_74
; %bb.49:
	ds_read2_b32 v[42:43], v44 offset0:1 offset1:2
	s_mov_b32 s8, 0
	v_mov_b32_e32 v3, s56
	v_cmp_eq_u32_e32 vcc, v35, v36
	s_mov_b32 s14, s8
	s_mov_b32 s15, s8
	v_add_u32_e32 v2, 2, v45
	s_waitcnt lgkmcnt(0)
	v_cndmask_b32_e32 v8, v3, v42, vcc
	v_cmp_ne_u32_e32 vcc, v35, v36
	s_mov_b32 s9, s8
	s_mov_b32 s10, s8
	;; [unrolled: 1-line block ×5, first 2 shown]
	v_pk_mov_b32 v[16:17], s[14:15], s[14:15] op_sel:[0,1]
	v_cndmask_b32_e64 v9, 0, 1, vcc
	v_cmp_gt_u32_e32 vcc, s54, v2
	v_mov_b32_e32 v2, 0
	v_pk_mov_b32 v[14:15], s[12:13], s[12:13] op_sel:[0,1]
	v_pk_mov_b32 v[12:13], s[10:11], s[10:11] op_sel:[0,1]
	;; [unrolled: 1-line block ×4, first 2 shown]
	v_mov_b32_e32 v3, v2
	v_mov_b32_e32 v4, v2
	;; [unrolled: 1-line block ×5, first 2 shown]
	s_mov_b64 s[20:21], 0
	v_pk_mov_b32 v[22:23], v[14:15], v[14:15] op_sel:[0,1]
	v_pk_mov_b32 v[20:21], v[12:13], v[12:13] op_sel:[0,1]
	;; [unrolled: 1-line block ×3, first 2 shown]
                                        ; implicit-def: $sgpr24_sgpr25
                                        ; implicit-def: $vgpr42
	s_and_saveexec_b64 s[18:19], vcc
	s_cbranch_execz .LBB84_73
; %bb.50:
	v_mov_b32_e32 v4, s56
	v_cmp_eq_u32_e32 vcc, v36, v37
	v_pk_mov_b32 v[16:17], s[14:15], s[14:15] op_sel:[0,1]
	v_add_u32_e32 v3, 3, v45
	v_cndmask_b32_e32 v6, v4, v43, vcc
	v_cmp_ne_u32_e32 vcc, v36, v37
	v_pk_mov_b32 v[14:15], s[12:13], s[12:13] op_sel:[0,1]
	v_pk_mov_b32 v[12:13], s[10:11], s[10:11] op_sel:[0,1]
	;; [unrolled: 1-line block ×4, first 2 shown]
	v_cndmask_b32_e64 v7, 0, 1, vcc
	v_cmp_gt_u32_e32 vcc, s54, v3
	v_mov_b32_e32 v3, v2
	v_mov_b32_e32 v4, v2
	;; [unrolled: 1-line block ×3, first 2 shown]
	s_mov_b64 s[22:23], 0
	v_pk_mov_b32 v[22:23], v[14:15], v[14:15] op_sel:[0,1]
	v_pk_mov_b32 v[20:21], v[12:13], v[12:13] op_sel:[0,1]
	;; [unrolled: 1-line block ×3, first 2 shown]
                                        ; implicit-def: $sgpr8_sgpr9
                                        ; implicit-def: $vgpr42
	s_and_saveexec_b64 s[20:21], vcc
	s_cbranch_execz .LBB84_72
; %bb.51:
	ds_read2_b32 v[34:35], v44 offset0:3 offset1:4
	s_mov_b32 s8, 0
	s_mov_b32 s14, s8
	s_mov_b32 s15, s8
	v_mov_b32_e32 v3, s56
	v_cmp_eq_u32_e32 vcc, v37, v30
	s_mov_b32 s9, s8
	s_mov_b32 s10, s8
	;; [unrolled: 1-line block ×5, first 2 shown]
	v_pk_mov_b32 v[16:17], s[14:15], s[14:15] op_sel:[0,1]
	v_add_u32_e32 v2, 4, v45
	s_waitcnt lgkmcnt(0)
	v_cndmask_b32_e32 v4, v3, v34, vcc
	v_cmp_ne_u32_e32 vcc, v37, v30
	v_pk_mov_b32 v[14:15], s[12:13], s[12:13] op_sel:[0,1]
	v_pk_mov_b32 v[12:13], s[10:11], s[10:11] op_sel:[0,1]
	;; [unrolled: 1-line block ×4, first 2 shown]
	v_cndmask_b32_e64 v5, 0, 1, vcc
	v_cmp_gt_u32_e32 vcc, s54, v2
	v_mov_b32_e32 v2, s8
	v_mov_b32_e32 v3, s8
	s_mov_b64 s[24:25], 0
	v_pk_mov_b32 v[22:23], v[14:15], v[14:15] op_sel:[0,1]
	v_pk_mov_b32 v[20:21], v[12:13], v[12:13] op_sel:[0,1]
	;; [unrolled: 1-line block ×3, first 2 shown]
                                        ; implicit-def: $sgpr26_sgpr27
                                        ; implicit-def: $vgpr42
	s_and_saveexec_b64 s[22:23], vcc
	s_cbranch_execz .LBB84_71
; %bb.52:
	v_mov_b32_e32 v2, s56
	v_cmp_eq_u32_e32 vcc, v30, v31
	v_add_u32_e32 v10, 5, v45
	v_cndmask_b32_e32 v2, v2, v35, vcc
	v_cmp_ne_u32_e32 vcc, v30, v31
	v_cndmask_b32_e64 v3, 0, 1, vcc
	v_cmp_gt_u32_e32 vcc, s54, v10
	v_pk_mov_b32 v[16:17], s[14:15], s[14:15] op_sel:[0,1]
	v_pk_mov_b32 v[14:15], s[12:13], s[12:13] op_sel:[0,1]
	;; [unrolled: 1-line block ×5, first 2 shown]
	s_mov_b64 s[28:29], 0
	v_pk_mov_b32 v[22:23], v[14:15], v[14:15] op_sel:[0,1]
	v_pk_mov_b32 v[20:21], v[12:13], v[12:13] op_sel:[0,1]
	;; [unrolled: 1-line block ×3, first 2 shown]
                                        ; implicit-def: $sgpr8_sgpr9
                                        ; implicit-def: $vgpr42
	s_and_saveexec_b64 s[24:25], vcc
	s_cbranch_execz .LBB84_70
; %bb.53:
	ds_read2_b32 v[34:35], v44 offset0:5 offset1:6
	v_mov_b32_e32 v11, s56
	v_cmp_eq_u32_e32 vcc, v31, v32
	s_mov_b32 s8, 0
	v_add_u32_e32 v10, 6, v45
	s_waitcnt lgkmcnt(0)
	v_cndmask_b32_e32 v16, v11, v34, vcc
	v_cmp_ne_u32_e32 vcc, v31, v32
	s_mov_b32 s14, s8
	s_mov_b32 s15, s8
	v_cndmask_b32_e64 v17, 0, 1, vcc
	v_cmp_gt_u32_e32 vcc, s54, v10
	v_mov_b32_e32 v10, 0
	s_mov_b32 s9, s8
	s_mov_b32 s10, s8
	;; [unrolled: 1-line block ×5, first 2 shown]
	v_pk_mov_b32 v[24:25], s[14:15], s[14:15] op_sel:[0,1]
	v_mov_b32_e32 v11, v10
	v_mov_b32_e32 v12, v10
	;; [unrolled: 1-line block ×5, first 2 shown]
	v_pk_mov_b32 v[22:23], s[12:13], s[12:13] op_sel:[0,1]
	v_pk_mov_b32 v[20:21], s[10:11], s[10:11] op_sel:[0,1]
	;; [unrolled: 1-line block ×3, first 2 shown]
                                        ; implicit-def: $sgpr40_sgpr41
                                        ; implicit-def: $vgpr42
	s_and_saveexec_b64 s[26:27], vcc
	s_cbranch_execz .LBB84_69
; %bb.54:
	v_mov_b32_e32 v12, s56
	v_cmp_eq_u32_e32 vcc, v32, v33
	v_add_u32_e32 v11, 7, v45
	v_cndmask_b32_e32 v14, v12, v35, vcc
	v_cmp_ne_u32_e32 vcc, v32, v33
	v_pk_mov_b32 v[24:25], s[14:15], s[14:15] op_sel:[0,1]
	v_cndmask_b32_e64 v15, 0, 1, vcc
	v_cmp_gt_u32_e32 vcc, s54, v11
	v_mov_b32_e32 v11, v10
	v_mov_b32_e32 v12, v10
	;; [unrolled: 1-line block ×3, first 2 shown]
	s_mov_b64 s[30:31], 0
	v_pk_mov_b32 v[22:23], s[12:13], s[12:13] op_sel:[0,1]
	v_pk_mov_b32 v[20:21], s[10:11], s[10:11] op_sel:[0,1]
	;; [unrolled: 1-line block ×3, first 2 shown]
                                        ; implicit-def: $sgpr8_sgpr9
                                        ; implicit-def: $vgpr42
	s_and_saveexec_b64 s[28:29], vcc
	s_cbranch_execz .LBB84_68
; %bb.55:
	ds_read2_b32 v[30:31], v44 offset0:7 offset1:8
	s_mov_b32 s8, 0
	v_mov_b32_e32 v11, s56
	v_cmp_eq_u32_e32 vcc, v33, v26
	s_mov_b32 s14, s8
	s_mov_b32 s15, s8
	v_add_u32_e32 v10, 8, v45
	s_waitcnt lgkmcnt(0)
	v_cndmask_b32_e32 v12, v11, v30, vcc
	v_cmp_ne_u32_e32 vcc, v33, v26
	s_mov_b32 s9, s8
	s_mov_b32 s10, s8
	;; [unrolled: 1-line block ×5, first 2 shown]
	v_pk_mov_b32 v[24:25], s[14:15], s[14:15] op_sel:[0,1]
	v_cndmask_b32_e64 v13, 0, 1, vcc
	v_cmp_gt_u32_e32 vcc, s54, v10
	v_mov_b32_e32 v10, s8
	v_mov_b32_e32 v11, s8
	s_mov_b64 s[40:41], 0
	v_pk_mov_b32 v[22:23], s[12:13], s[12:13] op_sel:[0,1]
	v_pk_mov_b32 v[20:21], s[10:11], s[10:11] op_sel:[0,1]
	;; [unrolled: 1-line block ×3, first 2 shown]
                                        ; implicit-def: $sgpr48_sgpr49
                                        ; implicit-def: $vgpr42
	s_and_saveexec_b64 s[30:31], vcc
	s_cbranch_execz .LBB84_67
; %bb.56:
	v_mov_b32_e32 v10, s56
	v_cmp_eq_u32_e32 vcc, v26, v27
	v_add_u32_e32 v18, 9, v45
	v_cndmask_b32_e32 v10, v10, v31, vcc
	v_cmp_ne_u32_e32 vcc, v26, v27
	v_cndmask_b32_e64 v11, 0, 1, vcc
	v_cmp_gt_u32_e32 vcc, s54, v18
	v_pk_mov_b32 v[24:25], s[14:15], s[14:15] op_sel:[0,1]
	v_pk_mov_b32 v[22:23], s[12:13], s[12:13] op_sel:[0,1]
	;; [unrolled: 1-line block ×4, first 2 shown]
                                        ; implicit-def: $sgpr10_sgpr11
                                        ; implicit-def: $vgpr42
	s_and_saveexec_b64 s[8:9], vcc
	s_cbranch_execz .LBB84_66
; %bb.57:
	ds_read2_b32 v[30:31], v44 offset0:9 offset1:10
	v_mov_b32_e32 v18, s56
	v_cmp_eq_u32_e32 vcc, v27, v28
	v_add_u32_e32 v20, 10, v45
	v_mov_b32_e32 v22, 0
	s_waitcnt lgkmcnt(0)
	v_cndmask_b32_e32 v18, v18, v30, vcc
	v_cmp_ne_u32_e32 vcc, v27, v28
	v_cndmask_b32_e64 v19, 0, 1, vcc
	v_cmp_gt_u32_e32 vcc, s54, v20
	v_mov_b32_e32 v20, v22
	v_mov_b32_e32 v21, v22
	;; [unrolled: 1-line block ×5, first 2 shown]
	s_mov_b64 s[12:13], 0
                                        ; implicit-def: $sgpr40_sgpr41
                                        ; implicit-def: $vgpr42
	s_and_saveexec_b64 s[10:11], vcc
	s_cbranch_execz .LBB84_65
; %bb.58:
	v_mov_b32_e32 v20, s56
	v_cmp_eq_u32_e32 vcc, v28, v29
	v_add_u32_e32 v23, 11, v45
	v_cndmask_b32_e32 v20, v20, v31, vcc
	v_cmp_ne_u32_e32 vcc, v28, v29
	v_cndmask_b32_e64 v21, 0, 1, vcc
	v_cmp_gt_u32_e32 vcc, s54, v23
	s_mov_b32 s40, 0
	v_mov_b32_e32 v23, v22
	v_mov_b32_e32 v24, v22
	;; [unrolled: 1-line block ×3, first 2 shown]
	s_mov_b64 s[14:15], 0
                                        ; implicit-def: $sgpr48_sgpr49
                                        ; implicit-def: $vgpr42
	s_and_saveexec_b64 s[12:13], vcc
	s_cbranch_execz .LBB84_64
; %bb.59:
	ds_read2_b32 v[26:27], v44 offset0:11 offset1:12
	v_mov_b32_e32 v22, s56
	v_cmp_eq_u32_e32 vcc, v29, v40
	v_add_u32_e32 v24, 12, v45
	v_mov_b32_e32 v25, s40
	s_waitcnt lgkmcnt(0)
	v_cndmask_b32_e32 v22, v22, v26, vcc
	v_cmp_ne_u32_e32 vcc, v29, v40
	v_cndmask_b32_e64 v23, 0, 1, vcc
	v_cmp_gt_u32_e32 vcc, s54, v24
	v_mov_b32_e32 v24, s40
	s_mov_b64 s[40:41], 0
                                        ; implicit-def: $sgpr48_sgpr49
                                        ; implicit-def: $vgpr42
	s_and_saveexec_b64 s[14:15], vcc
	s_cbranch_execz .LBB84_63
; %bb.60:
	v_mov_b32_e32 v24, s56
	v_cmp_eq_u32_e32 vcc, v40, v41
	v_add_u32_e32 v26, 13, v45
	v_cndmask_b32_e32 v24, v24, v27, vcc
	v_cmp_ne_u32_e32 vcc, v40, v41
	v_cndmask_b32_e64 v25, 0, 1, vcc
	v_cmp_gt_u32_e32 vcc, s54, v26
                                        ; implicit-def: $sgpr48_sgpr49
                                        ; implicit-def: $vgpr42
	s_and_saveexec_b64 s[54:55], vcc
	s_xor_b64 s[54:55], exec, s[54:55]
	s_cbranch_execz .LBB84_62
; %bb.61:
	ds_read_b32 v26, v44 offset:52
	v_mov_b32_e32 v27, s56
	v_cmp_ne_u32_e32 vcc, v41, v1
	s_mov_b64 s[40:41], exec
	s_and_b64 s[48:49], vcc, exec
	s_waitcnt lgkmcnt(0)
	v_cndmask_b32_e32 v42, v26, v27, vcc
.LBB84_62:
	s_or_b64 exec, exec, s[54:55]
	s_and_b64 s[48:49], s[48:49], exec
	s_and_b64 s[40:41], s[40:41], exec
.LBB84_63:
	s_or_b64 exec, exec, s[14:15]
	s_and_b64 s[48:49], s[48:49], exec
	s_and_b64 s[14:15], s[40:41], exec
.LBB84_64:
	s_or_b64 exec, exec, s[12:13]
	s_and_b64 s[40:41], s[48:49], exec
	s_and_b64 s[12:13], s[14:15], exec
.LBB84_65:
	s_or_b64 exec, exec, s[10:11]
	s_and_b64 s[10:11], s[40:41], exec
	s_and_b64 s[40:41], s[12:13], exec
.LBB84_66:
	s_or_b64 exec, exec, s[8:9]
	s_and_b64 s[48:49], s[10:11], exec
	s_and_b64 s[40:41], s[40:41], exec
.LBB84_67:
	s_or_b64 exec, exec, s[30:31]
	s_and_b64 s[8:9], s[48:49], exec
	s_and_b64 s[30:31], s[40:41], exec
.LBB84_68:
	s_or_b64 exec, exec, s[28:29]
	s_and_b64 s[40:41], s[8:9], exec
	s_and_b64 s[28:29], s[30:31], exec
.LBB84_69:
	s_or_b64 exec, exec, s[26:27]
	s_and_b64 s[8:9], s[40:41], exec
	s_and_b64 s[28:29], s[28:29], exec
.LBB84_70:
	s_or_b64 exec, exec, s[24:25]
	s_and_b64 s[26:27], s[8:9], exec
	s_and_b64 s[24:25], s[28:29], exec
.LBB84_71:
	s_or_b64 exec, exec, s[22:23]
	s_and_b64 s[8:9], s[26:27], exec
	s_and_b64 s[22:23], s[24:25], exec
.LBB84_72:
	s_or_b64 exec, exec, s[20:21]
	s_and_b64 s[24:25], s[8:9], exec
	s_and_b64 s[20:21], s[22:23], exec
.LBB84_73:
	s_or_b64 exec, exec, s[18:19]
	s_and_b64 s[8:9], s[24:25], exec
	s_and_b64 s[18:19], s[20:21], exec
.LBB84_74:
	s_or_b64 exec, exec, s[16:17]
	s_and_b64 s[16:17], s[8:9], exec
	s_and_b64 s[18:19], s[18:19], exec
.LBB84_75:
	s_or_b64 exec, exec, s[4:5]
	s_and_b64 vcc, exec, s[2:3]
	v_lshlrev_b32_e32 v50, 2, v0
	s_cbranch_vccnz .LBB84_77
	s_branch .LBB84_82
.LBB84_76:
	s_mov_b64 s[18:19], 0
                                        ; implicit-def: $sgpr16_sgpr17
                                        ; implicit-def: $vgpr2_vgpr3_vgpr4_vgpr5_vgpr6_vgpr7_vgpr8_vgpr9
                                        ; implicit-def: $vgpr10_vgpr11_vgpr12_vgpr13_vgpr14_vgpr15_vgpr16_vgpr17
                                        ; implicit-def: $vgpr18_vgpr19_vgpr20_vgpr21_vgpr22_vgpr23_vgpr24_vgpr25
                                        ; implicit-def: $vgpr42
                                        ; implicit-def: $vgpr38_vgpr39
	s_and_b64 vcc, exec, s[2:3]
	v_lshlrev_b32_e32 v50, 2, v0
	s_cbranch_vccz .LBB84_82
.LBB84_77:
	v_mov_b32_e32 v1, s39
	v_add_co_u32_e32 v2, vcc, s38, v50
	v_addc_co_u32_e32 v3, vcc, 0, v1, vcc
	v_add_co_u32_e32 v4, vcc, 0x1000, v2
	v_addc_co_u32_e32 v5, vcc, 0, v3, vcc
	flat_load_dword v1, v[2:3]
	flat_load_dword v6, v[2:3] offset:1024
	flat_load_dword v7, v[2:3] offset:2048
	;; [unrolled: 1-line block ×3, first 2 shown]
	flat_load_dword v9, v[4:5]
	flat_load_dword v10, v[4:5] offset:1024
	flat_load_dword v11, v[4:5] offset:2048
	;; [unrolled: 1-line block ×3, first 2 shown]
	v_add_co_u32_e32 v4, vcc, 0x2000, v2
	v_addc_co_u32_e32 v5, vcc, 0, v3, vcc
	v_add_co_u32_e32 v2, vcc, 0x3000, v2
	v_addc_co_u32_e32 v3, vcc, 0, v3, vcc
	flat_load_dword v13, v[4:5]
	flat_load_dword v14, v[4:5] offset:1024
	flat_load_dword v15, v[4:5] offset:2048
	;; [unrolled: 1-line block ×3, first 2 shown]
	flat_load_dword v17, v[2:3]
	flat_load_dword v18, v[2:3] offset:1024
	v_mov_b32_e32 v2, s38
	v_mov_b32_e32 v3, s39
	v_add_co_u32_e32 v2, vcc, 0x3000, v2
	v_addc_co_u32_e32 v3, vcc, 0, v3, vcc
	s_movk_i32 s4, 0xffcc
	s_movk_i32 s9, 0x1000
	s_mov_b32 s2, 0
	s_movk_i32 s8, 0x2000
	s_movk_i32 s3, 0x3000
	s_waitcnt vmcnt(0) lgkmcnt(0)
	ds_write2st64_b32 v50, v1, v6 offset1:4
	ds_write2st64_b32 v50, v7, v8 offset0:8 offset1:12
	ds_write2st64_b32 v50, v9, v10 offset0:16 offset1:20
	;; [unrolled: 1-line block ×6, first 2 shown]
	s_waitcnt lgkmcnt(0)
	s_barrier
	flat_load_dword v1, v[2:3] offset:2048
	v_mad_u32_u24 v6, v0, 52, v50
	v_mad_i32_i24 v2, v0, s4, v6
	s_movk_i32 s4, 0xff
	v_cmp_ne_u32_e32 vcc, s4, v0
	ds_read2_b32 v[26:27], v6 offset1:13
	ds_read2_b32 v[18:19], v6 offset0:7 offset1:8
	ds_read2_b32 v[20:21], v6 offset0:5 offset1:6
	;; [unrolled: 1-line block ×6, first 2 shown]
	s_waitcnt lgkmcnt(0)
	ds_write_b32 v2, v26 offset:15360
	s_waitcnt lgkmcnt(0)
	s_barrier
	s_and_saveexec_b64 s[4:5], vcc
	s_cbranch_execz .LBB84_79
; %bb.78:
	s_waitcnt vmcnt(0)
	ds_read_b32 v1, v50 offset:15364
.LBB84_79:
	s_or_b64 exec, exec, s[4:5]
	v_mov_b32_e32 v3, s47
	v_add_co_u32_e32 v2, vcc, s7, v50
	v_addc_co_u32_e32 v3, vcc, 0, v3, vcc
	v_add_co_u32_e32 v4, vcc, s9, v2
	v_addc_co_u32_e32 v5, vcc, 0, v3, vcc
	s_waitcnt lgkmcnt(0)
	s_barrier
	flat_load_dword v7, v[2:3]
	flat_load_dword v8, v[2:3] offset:1024
	flat_load_dword v9, v[2:3] offset:2048
	flat_load_dword v14, v[2:3] offset:3072
	flat_load_dword v15, v[4:5]
	flat_load_dword v16, v[4:5] offset:1024
	flat_load_dword v17, v[4:5] offset:2048
	;; [unrolled: 1-line block ×3, first 2 shown]
	v_add_co_u32_e32 v4, vcc, s8, v2
	v_addc_co_u32_e32 v5, vcc, 0, v3, vcc
	v_add_co_u32_e32 v2, vcc, s3, v2
	v_addc_co_u32_e32 v3, vcc, 0, v3, vcc
	flat_load_dword v23, v[4:5]
	flat_load_dword v24, v[4:5] offset:1024
	flat_load_dword v25, v[4:5] offset:2048
	;; [unrolled: 1-line block ×3, first 2 shown]
	flat_load_dword v33, v[2:3]
	flat_load_dword v34, v[2:3] offset:1024
	s_mov_b32 s3, 1
	v_cmp_eq_u32_e32 vcc, v26, v12
	v_pk_mov_b32 v[38:39], s[2:3], s[2:3] op_sel:[0,1]
	s_waitcnt vmcnt(0) lgkmcnt(0)
	ds_write2st64_b32 v50, v7, v8 offset1:4
	ds_write2st64_b32 v50, v9, v14 offset0:8 offset1:12
	ds_write2st64_b32 v50, v15, v16 offset0:16 offset1:20
	;; [unrolled: 1-line block ×6, first 2 shown]
	s_waitcnt lgkmcnt(0)
	s_barrier
	ds_read2_b32 v[24:25], v6 offset0:7 offset1:8
	ds_read2_b32 v[14:15], v6 offset0:5 offset1:6
	;; [unrolled: 1-line block ×4, first 2 shown]
	ds_read_b32 v34, v6 offset:52
	ds_read2_b32 v[22:23], v6 offset0:11 offset1:12
	ds_read2_b32 v[32:33], v6 offset0:9 offset1:10
	v_mov_b32_e32 v7, s56
	s_and_saveexec_b64 s[2:3], vcc
	s_cbranch_execz .LBB84_81
; %bb.80:
	ds_read_b32 v7, v6
	v_pk_mov_b32 v[38:39], 0, 0
.LBB84_81:
	s_or_b64 exec, exec, s[2:3]
	v_mov_b32_e32 v26, s56
	v_cmp_eq_u32_e32 vcc, v12, v13
	s_waitcnt lgkmcnt(3)
	v_cndmask_b32_e32 v8, v26, v4, vcc
	v_cmp_eq_u32_e32 vcc, v13, v10
	v_cndmask_b32_e32 v6, v26, v5, vcc
	v_cmp_eq_u32_e32 vcc, v10, v11
	;; [unrolled: 2-line block ×3, first 2 shown]
	v_cndmask_b32_e32 v2, v26, v3, vcc
	v_cmp_ne_u32_e32 vcc, v12, v13
	v_cndmask_b32_e64 v9, 0, 1, vcc
	v_cmp_ne_u32_e32 vcc, v13, v10
	s_waitcnt lgkmcnt(0)
	v_or_b32_e32 v38, v38, v7
	v_cndmask_b32_e64 v7, 0, 1, vcc
	v_cmp_ne_u32_e32 vcc, v10, v11
	v_cndmask_b32_e64 v5, 0, 1, vcc
	v_cmp_ne_u32_e32 vcc, v11, v20
	v_cndmask_b32_e64 v3, 0, 1, vcc
	v_cmp_eq_u32_e32 vcc, v20, v21
	v_cndmask_b32_e32 v16, v26, v14, vcc
	v_cmp_eq_u32_e32 vcc, v21, v18
	v_cndmask_b32_e32 v14, v26, v15, vcc
	;; [unrolled: 2-line block ×4, first 2 shown]
	v_cmp_ne_u32_e32 vcc, v20, v21
	v_cndmask_b32_e64 v17, 0, 1, vcc
	v_cmp_ne_u32_e32 vcc, v21, v18
	v_cndmask_b32_e64 v15, 0, 1, vcc
	;; [unrolled: 2-line block ×4, first 2 shown]
	v_cmp_eq_u32_e32 vcc, v31, v27
	v_cndmask_b32_e32 v24, v26, v23, vcc
	v_cmp_eq_u32_e32 vcc, v30, v31
	v_cndmask_b32_e32 v22, v26, v22, vcc
	;; [unrolled: 2-line block ×4, first 2 shown]
	v_cmp_ne_u32_e32 vcc, v31, v27
	v_cndmask_b32_e64 v25, 0, 1, vcc
	v_cmp_ne_u32_e32 vcc, v30, v31
	v_cndmask_b32_e64 v23, 0, 1, vcc
	;; [unrolled: 2-line block ×3, first 2 shown]
	v_cmp_ne_u32_e32 vcc, v28, v29
	v_cmp_ne_u32_e64 s[16:17], v27, v1
	v_cndmask_b32_e64 v19, 0, 1, vcc
	v_cndmask_b32_e64 v42, v34, v26, s[16:17]
	s_mov_b64 s[18:19], -1
                                        ; implicit-def: $sgpr2_sgpr3
.LBB84_82:
	v_pk_mov_b32 v[40:41], s[2:3], s[2:3] op_sel:[0,1]
	s_and_saveexec_b64 s[2:3], s[18:19]
; %bb.83:
	v_cndmask_b32_e64 v43, 0, 1, s[16:17]
	v_pk_mov_b32 v[40:41], v[42:43], v[42:43] op_sel:[0,1]
; %bb.84:
	s_or_b64 exec, exec, s[2:3]
	s_mov_b32 s26, 0
	s_cmp_lg_u32 s6, 0
	v_mbcnt_lo_u32_b32 v52, -1, 0
	v_lshrrev_b32_e32 v1, 6, v0
	v_or_b32_e32 v51, 63, v0
	s_barrier
	s_cbranch_scc0 .LBB84_125
; %bb.85:
	s_mov_b32 s27, 1
	v_cmp_gt_u64_e64 s[2:3], s[26:27], v[8:9]
	v_cndmask_b32_e64 v27, 0, v38, s[2:3]
	v_add_u32_e32 v27, v27, v8
	v_cmp_gt_u64_e64 s[4:5], s[26:27], v[6:7]
	v_cndmask_b32_e64 v27, 0, v27, s[4:5]
	v_add_u32_e32 v27, v27, v6
	;; [unrolled: 3-line block ×12, first 2 shown]
	v_cmp_gt_u64_e32 vcc, s[26:27], v[40:41]
	v_cndmask_b32_e32 v27, 0, v27, vcc
	v_add_u32_e32 v28, v27, v40
	v_or3_b32 v27, v41, v25, v23
	v_or3_b32 v27, v27, v21, v19
	v_or3_b32 v27, v27, v11, v13
	v_or3_b32 v27, v27, v15, v17
	v_or3_b32 v27, v27, v3, v5
	v_or3_b32 v27, v27, v7, v9
	v_mov_b32_e32 v26, 0
	v_and_b32_e32 v27, 1, v27
	v_cmp_eq_u64_e32 vcc, 0, v[26:27]
	v_cndmask_b32_e32 v27, 1, v39, vcc
	v_and_b32_e32 v29, 0xff, v27
	v_mov_b32_dpp v31, v28 row_shr:1 row_mask:0xf bank_mask:0xf
	v_cmp_eq_u16_e32 vcc, 0, v29
	v_mov_b32_dpp v32, v29 row_shr:1 row_mask:0xf bank_mask:0xf
	v_and_b32_e32 v33, 1, v27
	v_mbcnt_hi_u32_b32 v46, -1, v52
	v_cndmask_b32_e32 v31, 0, v31, vcc
	v_and_b32_e32 v32, 1, v32
	v_cmp_eq_u32_e32 vcc, 1, v33
	v_and_b32_e32 v30, 15, v46
	v_cndmask_b32_e64 v32, v32, 1, vcc
	v_and_b32_e32 v33, 0xffff, v32
	v_cmp_eq_u32_e32 vcc, 0, v30
	v_cndmask_b32_e32 v27, v32, v27, vcc
	v_cndmask_b32_e32 v29, v33, v29, vcc
	v_and_b32_e32 v33, 1, v27
	v_cndmask_b32_e64 v31, v31, 0, vcc
	v_mov_b32_dpp v32, v29 row_shr:2 row_mask:0xf bank_mask:0xf
	v_and_b32_e32 v32, 1, v32
	v_cmp_eq_u32_e32 vcc, 1, v33
	v_cndmask_b32_e64 v32, v32, 1, vcc
	v_and_b32_e32 v33, 0xffff, v32
	v_cmp_lt_u32_e32 vcc, 1, v30
	v_add_u32_e32 v28, v31, v28
	v_cmp_eq_u16_sdwa s[26:27], v27, v26 src0_sel:BYTE_0 src1_sel:DWORD
	v_cndmask_b32_e32 v27, v27, v32, vcc
	v_cndmask_b32_e32 v29, v29, v33, vcc
	v_mov_b32_dpp v31, v28 row_shr:2 row_mask:0xf bank_mask:0xf
	s_and_b64 vcc, vcc, s[26:27]
	v_mov_b32_dpp v32, v29 row_shr:4 row_mask:0xf bank_mask:0xf
	v_and_b32_e32 v33, 1, v27
	v_cndmask_b32_e32 v31, 0, v31, vcc
	v_and_b32_e32 v32, 1, v32
	v_cmp_eq_u32_e32 vcc, 1, v33
	v_cndmask_b32_e64 v32, v32, 1, vcc
	v_and_b32_e32 v33, 0xffff, v32
	v_cmp_lt_u32_e32 vcc, 3, v30
	v_add_u32_e32 v28, v31, v28
	v_cmp_eq_u16_sdwa s[26:27], v27, v26 src0_sel:BYTE_0 src1_sel:DWORD
	v_cndmask_b32_e32 v27, v27, v32, vcc
	v_cndmask_b32_e32 v29, v29, v33, vcc
	v_mov_b32_dpp v31, v28 row_shr:4 row_mask:0xf bank_mask:0xf
	s_and_b64 vcc, vcc, s[26:27]
	v_mov_b32_dpp v32, v29 row_shr:8 row_mask:0xf bank_mask:0xf
	v_and_b32_e32 v33, 1, v27
	v_cndmask_b32_e32 v31, 0, v31, vcc
	v_and_b32_e32 v32, 1, v32
	v_cmp_eq_u32_e32 vcc, 1, v33
	v_cndmask_b32_e64 v32, v32, 1, vcc
	v_add_u32_e32 v28, v31, v28
	v_cmp_eq_u16_sdwa s[26:27], v27, v26 src0_sel:BYTE_0 src1_sel:DWORD
	v_and_b32_e32 v33, 0xffff, v32
	v_cmp_lt_u32_e32 vcc, 7, v30
	v_mov_b32_dpp v31, v28 row_shr:8 row_mask:0xf bank_mask:0xf
	v_cndmask_b32_e32 v27, v27, v32, vcc
	v_cndmask_b32_e32 v29, v29, v33, vcc
	s_and_b64 vcc, vcc, s[26:27]
	v_cndmask_b32_e32 v30, 0, v31, vcc
	v_add_u32_e32 v28, v30, v28
	v_mov_b32_dpp v31, v29 row_bcast:15 row_mask:0xf bank_mask:0xf
	v_cmp_eq_u16_sdwa vcc, v27, v26 src0_sel:BYTE_0 src1_sel:DWORD
	v_mov_b32_dpp v30, v28 row_bcast:15 row_mask:0xf bank_mask:0xf
	v_and_b32_e32 v34, 1, v27
	v_cndmask_b32_e32 v30, 0, v30, vcc
	v_and_b32_e32 v31, 1, v31
	v_cmp_eq_u32_e32 vcc, 1, v34
	v_and_b32_e32 v33, 16, v46
	v_cndmask_b32_e64 v31, v31, 1, vcc
	v_and_b32_e32 v34, 0xffff, v31
	v_cmp_eq_u32_e32 vcc, 0, v33
	v_cndmask_b32_e32 v27, v31, v27, vcc
	v_cndmask_b32_e32 v29, v34, v29, vcc
	v_bfe_i32 v32, v46, 4, 1
	v_cmp_eq_u16_sdwa s[26:27], v27, v26 src0_sel:BYTE_0 src1_sel:DWORD
	v_mov_b32_dpp v29, v29 row_bcast:31 row_mask:0xf bank_mask:0xf
	v_and_b32_e32 v26, 1, v27
	v_and_b32_e32 v30, v32, v30
	;; [unrolled: 1-line block ×3, first 2 shown]
	v_cmp_eq_u32_e32 vcc, 1, v26
	v_add_u32_e32 v28, v30, v28
	v_cndmask_b32_e64 v26, v29, 1, vcc
	v_cmp_lt_u32_e32 vcc, 31, v46
	v_mov_b32_dpp v30, v28 row_bcast:31 row_mask:0xf bank_mask:0xf
	v_cndmask_b32_e32 v29, v27, v26, vcc
	s_and_b64 vcc, vcc, s[26:27]
	v_cndmask_b32_e32 v26, 0, v30, vcc
	v_add_u32_e32 v28, v26, v28
	v_cmp_eq_u32_e32 vcc, v51, v0
	s_and_saveexec_b64 s[26:27], vcc
	s_cbranch_execz .LBB84_87
; %bb.86:
	v_lshlrev_b32_e32 v26, 3, v1
	ds_write_b32 v26, v28
	ds_write_b8 v26, v29 offset:4
.LBB84_87:
	s_or_b64 exec, exec, s[26:27]
	v_cmp_gt_u32_e32 vcc, 4, v0
	s_waitcnt lgkmcnt(0)
	s_barrier
	s_and_saveexec_b64 s[26:27], vcc
	s_cbranch_execz .LBB84_91
; %bb.88:
	v_lshlrev_b32_e32 v30, 3, v0
	ds_read_b64 v[26:27], v30
	v_and_b32_e32 v31, 3, v46
	v_cmp_ne_u32_e32 vcc, 0, v31
	s_waitcnt lgkmcnt(0)
	v_mov_b32_dpp v32, v26 row_shr:1 row_mask:0xf bank_mask:0xf
	v_mov_b32_dpp v34, v27 row_shr:1 row_mask:0xf bank_mask:0xf
	v_mov_b32_e32 v33, v27
	s_and_saveexec_b64 s[30:31], vcc
	s_cbranch_execz .LBB84_90
; %bb.89:
	v_and_b32_e32 v33, 1, v27
	v_and_b32_e32 v34, 1, v34
	v_cmp_eq_u32_e32 vcc, 1, v33
	v_mov_b32_e32 v33, 0
	v_cndmask_b32_e64 v34, v34, 1, vcc
	v_cmp_eq_u16_sdwa vcc, v27, v33 src0_sel:BYTE_0 src1_sel:DWORD
	v_cndmask_b32_e32 v32, 0, v32, vcc
	v_add_u32_e32 v26, v32, v26
	v_and_b32_e32 v32, 0xffff, v34
	s_movk_i32 s7, 0xff00
	v_and_or_b32 v33, v27, s7, v32
	v_mov_b32_e32 v27, v34
.LBB84_90:
	s_or_b64 exec, exec, s[30:31]
	v_mov_b32_dpp v33, v33 row_shr:2 row_mask:0xf bank_mask:0xf
	v_and_b32_e32 v34, 1, v27
	v_and_b32_e32 v33, 1, v33
	v_cmp_eq_u32_e32 vcc, 1, v34
	v_mov_b32_e32 v34, 0
	v_cndmask_b32_e64 v33, v33, 1, vcc
	v_cmp_eq_u16_sdwa s[30:31], v27, v34 src0_sel:BYTE_0 src1_sel:DWORD
	v_cmp_lt_u32_e32 vcc, 1, v31
	v_mov_b32_dpp v32, v26 row_shr:2 row_mask:0xf bank_mask:0xf
	v_cndmask_b32_e32 v27, v27, v33, vcc
	s_and_b64 vcc, vcc, s[30:31]
	v_cndmask_b32_e32 v31, 0, v32, vcc
	v_add_u32_e32 v26, v31, v26
	ds_write_b32 v30, v26
	ds_write_b8 v30, v27 offset:4
.LBB84_91:
	s_or_b64 exec, exec, s[26:27]
	v_cmp_gt_u32_e32 vcc, 64, v0
	v_cmp_lt_u32_e64 s[26:27], 63, v0
	v_mov_b32_e32 v42, 0
	v_mov_b32_e32 v43, 0
	s_waitcnt lgkmcnt(0)
	s_barrier
	s_and_saveexec_b64 s[30:31], s[26:27]
	s_cbranch_execz .LBB84_93
; %bb.92:
	v_lshl_add_u32 v26, v1, 3, -8
	ds_read_b32 v42, v26
	ds_read_u8 v43, v26 offset:4
	v_mov_b32_e32 v27, 0
	v_and_b32_e32 v30, 1, v29
	v_cmp_eq_u16_sdwa s[26:27], v29, v27 src0_sel:BYTE_0 src1_sel:DWORD
	s_waitcnt lgkmcnt(1)
	v_cndmask_b32_e64 v26, 0, v42, s[26:27]
	v_cmp_eq_u32_e64 s[26:27], 1, v30
	v_add_u32_e32 v28, v26, v28
	s_waitcnt lgkmcnt(0)
	v_cndmask_b32_e64 v29, v43, 1, s[26:27]
.LBB84_93:
	s_or_b64 exec, exec, s[30:31]
	v_and_b32_e32 v26, 0xff, v29
	v_add_u32_e32 v27, -1, v46
	v_and_b32_e32 v29, 64, v46
	v_cmp_lt_i32_e64 s[26:27], v27, v29
	v_cndmask_b32_e64 v27, v27, v46, s[26:27]
	v_lshlrev_b32_e32 v27, 2, v27
	ds_bpermute_b32 v44, v27, v28
	ds_bpermute_b32 v45, v27, v26
	v_cmp_eq_u32_e64 s[26:27], 0, v46
	s_and_saveexec_b64 s[38:39], vcc
	s_cbranch_execz .LBB84_112
; %bb.94:
	v_mov_b32_e32 v29, 0
	ds_read_b64 v[26:27], v29 offset:24
	s_waitcnt lgkmcnt(0)
	v_readfirstlane_b32 s7, v27
	s_and_saveexec_b64 s[30:31], s[26:27]
	s_cbranch_execz .LBB84_96
; %bb.95:
	s_add_i32 s40, s6, 64
	s_mov_b32 s41, 0
	s_lshl_b64 s[48:49], s[40:41], 4
	s_add_u32 s48, s44, s48
	s_addc_u32 s49, s45, s49
	s_and_b32 s55, s7, 0xff000000
	s_mov_b32 s54, s41
	s_and_b32 s59, s7, 0xff0000
	s_mov_b32 s58, s41
	s_or_b64 s[54:55], s[58:59], s[54:55]
	s_and_b32 s59, s7, 0xff00
	s_or_b64 s[54:55], s[54:55], s[58:59]
	s_and_b32 s59, s7, 0xff
	s_or_b64 s[40:41], s[54:55], s[58:59]
	v_mov_b32_e32 v27, s41
	v_mov_b32_e32 v28, 1
	v_pk_mov_b32 v[30:31], s[48:49], s[48:49] op_sel:[0,1]
	;;#ASMSTART
	global_store_dwordx4 v[30:31], v[26:29] off	
s_waitcnt vmcnt(0)
	;;#ASMEND
.LBB84_96:
	s_or_b64 exec, exec, s[30:31]
	v_xad_u32 v34, v46, -1, s6
	v_add_u32_e32 v28, 64, v34
	v_lshlrev_b64 v[30:31], 4, v[28:29]
	v_mov_b32_e32 v27, s45
	v_add_co_u32_e32 v36, vcc, s44, v30
	v_addc_co_u32_e32 v37, vcc, v27, v31, vcc
	;;#ASMSTART
	global_load_dwordx4 v[30:33], v[36:37] off glc	
s_waitcnt vmcnt(0)
	;;#ASMEND
	v_and_b32_e32 v27, 0xff0000, v30
	v_or_b32_sdwa v27, v30, v27 dst_sel:DWORD dst_unused:UNUSED_PAD src0_sel:WORD_0 src1_sel:DWORD
	v_and_b32_e32 v28, 0xff000000, v30
	v_and_b32_e32 v30, 0xff, v31
	v_or3_b32 v31, 0, 0, v30
	v_or3_b32 v30, v27, v28, 0
	v_cmp_eq_u16_sdwa s[40:41], v32, v29 src0_sel:BYTE_0 src1_sel:DWORD
	s_and_saveexec_b64 s[30:31], s[40:41]
	s_cbranch_execz .LBB84_100
; %bb.97:
	s_mov_b64 s[40:41], 0
	v_mov_b32_e32 v27, 0
.LBB84_98:                              ; =>This Inner Loop Header: Depth=1
	;;#ASMSTART
	global_load_dwordx4 v[30:33], v[36:37] off glc	
s_waitcnt vmcnt(0)
	;;#ASMEND
	v_cmp_ne_u16_sdwa s[48:49], v32, v27 src0_sel:BYTE_0 src1_sel:DWORD
	s_or_b64 s[40:41], s[48:49], s[40:41]
	s_andn2_b64 exec, exec, s[40:41]
	s_cbranch_execnz .LBB84_98
; %bb.99:
	s_or_b64 exec, exec, s[40:41]
	v_and_b32_e32 v31, 0xff, v31
.LBB84_100:
	s_or_b64 exec, exec, s[30:31]
	v_mov_b32_e32 v27, 2
	v_cmp_eq_u16_sdwa s[30:31], v32, v27 src0_sel:BYTE_0 src1_sel:DWORD
	v_lshlrev_b64 v[28:29], v46, -1
	v_and_b32_e32 v33, s31, v29
	v_or_b32_e32 v33, 0x80000000, v33
	v_and_b32_e32 v35, s30, v28
	v_ffbl_b32_e32 v33, v33
	v_and_b32_e32 v47, 63, v46
	v_add_u32_e32 v33, 32, v33
	v_ffbl_b32_e32 v35, v35
	v_cmp_ne_u32_e32 vcc, 63, v47
	v_min_u32_e32 v33, v35, v33
	v_addc_co_u32_e32 v35, vcc, 0, v46, vcc
	v_lshlrev_b32_e32 v48, 2, v35
	ds_bpermute_b32 v35, v48, v31
	ds_bpermute_b32 v36, v48, v30
	s_mov_b32 s40, 0
	v_and_b32_e32 v37, 1, v31
	s_mov_b32 s41, 1
	s_waitcnt lgkmcnt(1)
	v_and_b32_e32 v35, 1, v35
	v_cmp_eq_u32_e32 vcc, 1, v37
	v_cndmask_b32_e64 v35, v35, 1, vcc
	v_cmp_gt_u64_e32 vcc, s[40:41], v[30:31]
	v_cmp_lt_u32_e64 s[30:31], v47, v33
	s_and_b64 vcc, s[30:31], vcc
	v_and_b32_e32 v37, 0xffff, v35
	v_cndmask_b32_e64 v54, v31, v35, s[30:31]
	s_waitcnt lgkmcnt(0)
	v_cndmask_b32_e32 v35, 0, v36, vcc
	v_cmp_gt_u32_e32 vcc, 62, v47
	v_cndmask_b32_e64 v36, 0, 1, vcc
	v_lshlrev_b32_e32 v36, 1, v36
	v_cndmask_b32_e64 v31, v31, v37, s[30:31]
	v_add_lshl_u32 v49, v36, v46, 2
	ds_bpermute_b32 v36, v49, v31
	v_add_u32_e32 v30, v35, v30
	ds_bpermute_b32 v37, v49, v30
	v_and_b32_e32 v35, 1, v54
	v_cmp_eq_u32_e32 vcc, 1, v35
	s_waitcnt lgkmcnt(1)
	v_and_b32_e32 v36, 1, v36
	v_mov_b32_e32 v35, 0
	v_add_u32_e32 v53, 2, v47
	v_cndmask_b32_e64 v36, v36, 1, vcc
	v_cmp_eq_u16_sdwa vcc, v54, v35 src0_sel:BYTE_0 src1_sel:DWORD
	v_and_b32_e32 v55, 0xffff, v36
	s_waitcnt lgkmcnt(0)
	v_cndmask_b32_e32 v37, 0, v37, vcc
	v_cmp_gt_u32_e32 vcc, v53, v33
	v_cndmask_b32_e32 v36, v36, v54, vcc
	v_cndmask_b32_e64 v37, v37, 0, vcc
	v_cndmask_b32_e32 v31, v55, v31, vcc
	v_cmp_gt_u32_e32 vcc, 60, v47
	v_cndmask_b32_e64 v54, 0, 1, vcc
	v_lshlrev_b32_e32 v54, 2, v54
	v_add_lshl_u32 v54, v54, v46, 2
	ds_bpermute_b32 v56, v54, v31
	v_add_u32_e32 v30, v37, v30
	ds_bpermute_b32 v37, v54, v30
	v_and_b32_e32 v57, 1, v36
	v_cmp_eq_u32_e32 vcc, 1, v57
	s_waitcnt lgkmcnt(1)
	v_and_b32_e32 v56, 1, v56
	v_add_u32_e32 v55, 4, v47
	v_cndmask_b32_e64 v56, v56, 1, vcc
	v_cmp_eq_u16_sdwa vcc, v36, v35 src0_sel:BYTE_0 src1_sel:DWORD
	v_and_b32_e32 v57, 0xffff, v56
	s_waitcnt lgkmcnt(0)
	v_cndmask_b32_e32 v37, 0, v37, vcc
	v_cmp_gt_u32_e32 vcc, v55, v33
	v_cndmask_b32_e32 v36, v56, v36, vcc
	v_cndmask_b32_e64 v37, v37, 0, vcc
	v_cndmask_b32_e32 v31, v57, v31, vcc
	v_cmp_gt_u32_e32 vcc, 56, v47
	v_cndmask_b32_e64 v56, 0, 1, vcc
	v_lshlrev_b32_e32 v56, 3, v56
	v_add_lshl_u32 v56, v56, v46, 2
	ds_bpermute_b32 v58, v56, v31
	v_add_u32_e32 v30, v37, v30
	ds_bpermute_b32 v37, v56, v30
	v_and_b32_e32 v59, 1, v36
	v_cmp_eq_u32_e32 vcc, 1, v59
	s_waitcnt lgkmcnt(1)
	v_and_b32_e32 v58, 1, v58
	;; [unrolled: 21-line block ×4, first 2 shown]
	v_add_u32_e32 v62, 32, v47
	v_cndmask_b32_e64 v31, v31, 1, vcc
	v_cmp_eq_u16_sdwa vcc, v36, v35 src0_sel:BYTE_0 src1_sel:DWORD
	s_waitcnt lgkmcnt(0)
	v_cndmask_b32_e32 v37, 0, v37, vcc
	v_cmp_gt_u32_e32 vcc, v62, v33
	v_cndmask_b32_e64 v33, v37, 0, vcc
	v_cndmask_b32_e32 v31, v31, v36, vcc
	v_add_u32_e32 v30, v33, v30
	s_branch .LBB84_102
.LBB84_101:                             ;   in Loop: Header=BB84_102 Depth=1
	s_or_b64 exec, exec, s[30:31]
	v_cmp_eq_u16_sdwa s[30:31], v32, v27 src0_sel:BYTE_0 src1_sel:DWORD
	v_and_b32_e32 v33, s31, v29
	ds_bpermute_b32 v37, v48, v31
	v_or_b32_e32 v33, 0x80000000, v33
	v_and_b32_e32 v36, s30, v28
	v_ffbl_b32_e32 v33, v33
	v_add_u32_e32 v33, 32, v33
	v_ffbl_b32_e32 v36, v36
	v_min_u32_e32 v33, v36, v33
	ds_bpermute_b32 v36, v48, v30
	v_and_b32_e32 v63, 1, v31
	s_waitcnt lgkmcnt(1)
	v_and_b32_e32 v37, 1, v37
	v_cmp_eq_u32_e32 vcc, 1, v63
	v_cndmask_b32_e64 v37, v37, 1, vcc
	v_cmp_gt_u64_e32 vcc, s[40:41], v[30:31]
	v_and_b32_e32 v63, 0xffff, v37
	v_cmp_lt_u32_e64 s[30:31], v47, v33
	v_cndmask_b32_e64 v37, v31, v37, s[30:31]
	v_cndmask_b32_e64 v31, v31, v63, s[30:31]
	s_and_b64 vcc, s[30:31], vcc
	ds_bpermute_b32 v63, v49, v31
	s_waitcnt lgkmcnt(1)
	v_cndmask_b32_e32 v36, 0, v36, vcc
	v_add_u32_e32 v30, v36, v30
	ds_bpermute_b32 v36, v49, v30
	v_and_b32_e32 v64, 1, v37
	s_waitcnt lgkmcnt(1)
	v_and_b32_e32 v63, 1, v63
	v_cmp_eq_u32_e32 vcc, 1, v64
	v_cndmask_b32_e64 v63, v63, 1, vcc
	v_cmp_eq_u16_sdwa vcc, v37, v35 src0_sel:BYTE_0 src1_sel:DWORD
	v_and_b32_e32 v64, 0xffff, v63
	s_waitcnt lgkmcnt(0)
	v_cndmask_b32_e32 v36, 0, v36, vcc
	v_cmp_gt_u32_e32 vcc, v53, v33
	v_cndmask_b32_e32 v31, v64, v31, vcc
	v_cndmask_b32_e32 v37, v63, v37, vcc
	ds_bpermute_b32 v63, v54, v31
	v_cndmask_b32_e64 v36, v36, 0, vcc
	v_add_u32_e32 v30, v36, v30
	ds_bpermute_b32 v36, v54, v30
	v_and_b32_e32 v64, 1, v37
	s_waitcnt lgkmcnt(1)
	v_and_b32_e32 v63, 1, v63
	v_cmp_eq_u32_e32 vcc, 1, v64
	v_cndmask_b32_e64 v63, v63, 1, vcc
	v_cmp_eq_u16_sdwa vcc, v37, v35 src0_sel:BYTE_0 src1_sel:DWORD
	v_and_b32_e32 v64, 0xffff, v63
	s_waitcnt lgkmcnt(0)
	v_cndmask_b32_e32 v36, 0, v36, vcc
	v_cmp_gt_u32_e32 vcc, v55, v33
	v_cndmask_b32_e32 v31, v64, v31, vcc
	v_cndmask_b32_e32 v37, v63, v37, vcc
	ds_bpermute_b32 v63, v56, v31
	v_cndmask_b32_e64 v36, v36, 0, vcc
	;; [unrolled: 16-line block ×3, first 2 shown]
	v_add_u32_e32 v30, v36, v30
	ds_bpermute_b32 v36, v58, v30
	v_and_b32_e32 v64, 1, v37
	s_waitcnt lgkmcnt(1)
	v_and_b32_e32 v63, 1, v63
	v_cmp_eq_u32_e32 vcc, 1, v64
	v_cndmask_b32_e64 v63, v63, 1, vcc
	v_cmp_eq_u16_sdwa vcc, v37, v35 src0_sel:BYTE_0 src1_sel:DWORD
	v_and_b32_e32 v64, 0xffff, v63
	s_waitcnt lgkmcnt(0)
	v_cndmask_b32_e32 v36, 0, v36, vcc
	v_cmp_gt_u32_e32 vcc, v59, v33
	v_cndmask_b32_e64 v36, v36, 0, vcc
	v_cndmask_b32_e32 v31, v64, v31, vcc
	ds_bpermute_b32 v31, v61, v31
	v_add_u32_e32 v30, v36, v30
	ds_bpermute_b32 v36, v61, v30
	v_cndmask_b32_e32 v37, v63, v37, vcc
	v_and_b32_e32 v63, 1, v37
	v_cmp_eq_u32_e32 vcc, 1, v63
	s_waitcnt lgkmcnt(1)
	v_cndmask_b32_e64 v31, v31, 1, vcc
	v_cmp_eq_u16_sdwa vcc, v37, v35 src0_sel:BYTE_0 src1_sel:DWORD
	s_waitcnt lgkmcnt(0)
	v_cndmask_b32_e32 v36, 0, v36, vcc
	v_cmp_gt_u32_e32 vcc, v62, v33
	v_cndmask_b32_e64 v33, v36, 0, vcc
	v_cndmask_b32_e32 v31, v31, v37, vcc
	v_add_u32_e32 v30, v33, v30
	v_cmp_eq_u16_sdwa vcc, v46, v35 src0_sel:BYTE_0 src1_sel:DWORD
	v_and_b32_e32 v33, 1, v46
	v_cndmask_b32_e32 v30, 0, v30, vcc
	v_and_b32_e32 v31, 1, v31
	v_cmp_eq_u32_e32 vcc, 1, v33
	v_subrev_u32_e32 v34, 64, v34
	v_add_u32_e32 v30, v30, v60
	v_cndmask_b32_e64 v31, v31, 1, vcc
.LBB84_102:                             ; =>This Loop Header: Depth=1
                                        ;     Child Loop BB84_105 Depth 2
	v_cmp_ne_u16_sdwa s[30:31], v32, v27 src0_sel:BYTE_0 src1_sel:DWORD
	v_mov_b32_e32 v46, v31
	v_cndmask_b32_e64 v31, 0, 1, s[30:31]
	;;#ASMSTART
	;;#ASMEND
	v_cmp_ne_u32_e32 vcc, 0, v31
	s_cmp_lg_u64 vcc, exec
	v_mov_b32_e32 v60, v30
	s_cbranch_scc1 .LBB84_107
; %bb.103:                              ;   in Loop: Header=BB84_102 Depth=1
	v_lshlrev_b64 v[30:31], 4, v[34:35]
	v_mov_b32_e32 v32, s45
	v_add_co_u32_e32 v36, vcc, s44, v30
	v_addc_co_u32_e32 v37, vcc, v32, v31, vcc
	;;#ASMSTART
	global_load_dwordx4 v[30:33], v[36:37] off glc	
s_waitcnt vmcnt(0)
	;;#ASMEND
	v_and_b32_e32 v33, 0xff0000, v30
	v_or_b32_sdwa v33, v30, v33 dst_sel:DWORD dst_unused:UNUSED_PAD src0_sel:WORD_0 src1_sel:DWORD
	v_and_b32_e32 v30, 0xff000000, v30
	v_and_b32_e32 v31, 0xff, v31
	v_or3_b32 v31, 0, 0, v31
	v_or3_b32 v30, v33, v30, 0
	v_cmp_eq_u16_sdwa s[48:49], v32, v35 src0_sel:BYTE_0 src1_sel:DWORD
	s_and_saveexec_b64 s[30:31], s[48:49]
	s_cbranch_execz .LBB84_101
; %bb.104:                              ;   in Loop: Header=BB84_102 Depth=1
	s_mov_b64 s[48:49], 0
.LBB84_105:                             ;   Parent Loop BB84_102 Depth=1
                                        ; =>  This Inner Loop Header: Depth=2
	;;#ASMSTART
	global_load_dwordx4 v[30:33], v[36:37] off glc	
s_waitcnt vmcnt(0)
	;;#ASMEND
	v_cmp_ne_u16_sdwa s[54:55], v32, v35 src0_sel:BYTE_0 src1_sel:DWORD
	s_or_b64 s[48:49], s[54:55], s[48:49]
	s_andn2_b64 exec, exec, s[48:49]
	s_cbranch_execnz .LBB84_105
; %bb.106:                              ;   in Loop: Header=BB84_102 Depth=1
	s_or_b64 exec, exec, s[48:49]
	v_and_b32_e32 v31, 0xff, v31
	s_branch .LBB84_101
.LBB84_107:                             ;   in Loop: Header=BB84_102 Depth=1
                                        ; implicit-def: $vgpr31
                                        ; implicit-def: $vgpr30
                                        ; implicit-def: $vgpr32
	s_cbranch_execz .LBB84_102
; %bb.108:
	s_and_saveexec_b64 s[30:31], s[26:27]
	s_cbranch_execz .LBB84_110
; %bb.109:
	s_and_b32 s40, s7, 0xff
	s_cmp_eq_u32 s40, 0
	s_cselect_b64 vcc, -1, 0
	s_bitcmp1_b32 s7, 0
	s_mov_b32 s41, 0
	s_cselect_b64 s[48:49], -1, 0
	s_add_i32 s40, s6, 64
	s_lshl_b64 s[6:7], s[40:41], 4
	v_cndmask_b32_e32 v27, 0, v60, vcc
	s_add_u32 s6, s44, s6
	v_add_u32_e32 v26, v27, v26
	v_and_b32_e32 v27, 1, v46
	s_addc_u32 s7, s45, s7
	v_mov_b32_e32 v29, 0
	v_cndmask_b32_e64 v27, v27, 1, s[48:49]
	v_mov_b32_e32 v28, 2
	v_pk_mov_b32 v[30:31], s[6:7], s[6:7] op_sel:[0,1]
	;;#ASMSTART
	global_store_dwordx4 v[30:31], v[26:29] off	
s_waitcnt vmcnt(0)
	;;#ASMEND
.LBB84_110:
	s_or_b64 exec, exec, s[30:31]
	v_cmp_eq_u32_e32 vcc, 0, v0
	s_and_b64 exec, exec, vcc
	s_cbranch_execz .LBB84_112
; %bb.111:
	v_mov_b32_e32 v26, 0
	ds_write_b32 v26, v60 offset:24
	ds_write_b8 v26, v46 offset:28
.LBB84_112:
	s_or_b64 exec, exec, s[38:39]
	v_mov_b32_e32 v28, 0
	s_waitcnt lgkmcnt(0)
	s_barrier
	ds_read_b32 v26, v28 offset:24
	v_cndmask_b32_e64 v27, v45, v43, s[26:27]
	v_cmp_eq_u16_sdwa vcc, v27, v28 src0_sel:BYTE_0 src1_sel:DWORD
	v_cndmask_b32_e64 v29, v44, v42, s[26:27]
	s_waitcnt lgkmcnt(0)
	v_cndmask_b32_e32 v27, 0, v26, vcc
	v_add_u32_e32 v27, v27, v29
	v_cmp_eq_u32_e32 vcc, 0, v0
	v_and_b32_e32 v29, 0xff, v39
	v_cndmask_b32_e32 v26, v27, v26, vcc
	v_cmp_eq_u64_e32 vcc, 0, v[28:29]
	v_cndmask_b32_e32 v27, 0, v26, vcc
	v_add_u32_e32 v27, v27, v38
	v_cndmask_b32_e64 v28, 0, v27, s[2:3]
	v_add_u32_e32 v42, v28, v8
	v_cndmask_b32_e64 v28, 0, v42, s[4:5]
	;; [unrolled: 2-line block ×12, first 2 shown]
	v_add_u32_e32 v49, v28, v24
	s_branch .LBB84_139
.LBB84_113:
	s_or_b64 exec, exec, s[30:31]
                                        ; implicit-def: $vgpr14
	s_and_saveexec_b64 s[30:31], s[2:3]
	s_cbranch_execz .LBB84_33
.LBB84_114:
	v_mov_b32_e32 v15, s47
	v_add_co_u32_e32 v14, vcc, s7, v12
	v_addc_co_u32_e32 v15, vcc, 0, v15, vcc
	flat_load_dword v14, v[14:15] offset:1024
	s_or_b64 exec, exec, s[30:31]
                                        ; implicit-def: $vgpr15
	s_and_saveexec_b64 s[2:3], s[4:5]
	s_cbranch_execnz .LBB84_34
.LBB84_115:
	s_or_b64 exec, exec, s[2:3]
                                        ; implicit-def: $vgpr16
	s_and_saveexec_b64 s[2:3], s[28:29]
	s_cbranch_execz .LBB84_35
.LBB84_116:
	v_mov_b32_e32 v17, s47
	v_add_co_u32_e32 v16, vcc, s7, v12
	v_addc_co_u32_e32 v17, vcc, 0, v17, vcc
	flat_load_dword v16, v[16:17] offset:3072
	s_or_b64 exec, exec, s[2:3]
                                        ; implicit-def: $vgpr17
	s_and_saveexec_b64 s[2:3], s[8:9]
	s_cbranch_execnz .LBB84_36
.LBB84_117:
	s_or_b64 exec, exec, s[2:3]
                                        ; implicit-def: $vgpr2
	s_and_saveexec_b64 s[2:3], s[10:11]
	s_cbranch_execz .LBB84_37
.LBB84_118:
	v_mov_b32_e32 v18, s47
	v_add_co_u32_e32 v2, vcc, s7, v3
	v_addc_co_u32_e32 v3, vcc, 0, v18, vcc
	flat_load_dword v2, v[2:3]
	s_or_b64 exec, exec, s[2:3]
                                        ; implicit-def: $vgpr3
	s_and_saveexec_b64 s[2:3], s[12:13]
	s_cbranch_execnz .LBB84_38
.LBB84_119:
	s_or_b64 exec, exec, s[2:3]
                                        ; implicit-def: $vgpr4
	s_and_saveexec_b64 s[2:3], s[14:15]
	s_cbranch_execz .LBB84_39
.LBB84_120:
	v_mov_b32_e32 v18, s47
	v_add_co_u32_e32 v4, vcc, s7, v5
	v_addc_co_u32_e32 v5, vcc, 0, v18, vcc
	flat_load_dword v4, v[4:5]
	s_or_b64 exec, exec, s[2:3]
                                        ; implicit-def: $vgpr5
	s_and_saveexec_b64 s[2:3], s[16:17]
	s_cbranch_execnz .LBB84_40
.LBB84_121:
	s_or_b64 exec, exec, s[2:3]
                                        ; implicit-def: $vgpr6
	s_and_saveexec_b64 s[2:3], s[18:19]
	s_cbranch_execz .LBB84_41
.LBB84_122:
	v_mov_b32_e32 v18, s47
	v_add_co_u32_e32 v6, vcc, s7, v7
	v_addc_co_u32_e32 v7, vcc, 0, v18, vcc
	flat_load_dword v6, v[6:7]
	s_or_b64 exec, exec, s[2:3]
                                        ; implicit-def: $vgpr7
	s_and_saveexec_b64 s[2:3], s[20:21]
	s_cbranch_execnz .LBB84_42
.LBB84_123:
	s_or_b64 exec, exec, s[2:3]
                                        ; implicit-def: $vgpr8
	s_and_saveexec_b64 s[2:3], s[22:23]
	s_cbranch_execz .LBB84_43
.LBB84_124:
	v_mov_b32_e32 v18, s47
	v_add_co_u32_e32 v8, vcc, s7, v9
	v_addc_co_u32_e32 v9, vcc, 0, v18, vcc
	flat_load_dword v8, v[8:9]
	s_or_b64 exec, exec, s[2:3]
                                        ; implicit-def: $vgpr9
	s_and_saveexec_b64 s[2:3], s[24:25]
	s_cbranch_execz .LBB84_45
	s_branch .LBB84_44
.LBB84_125:
                                        ; implicit-def: $vgpr49
                                        ; implicit-def: $vgpr47
                                        ; implicit-def: $vgpr45
                                        ; implicit-def: $vgpr43
                                        ; implicit-def: $vgpr34_vgpr35_vgpr36_vgpr37
                                        ; implicit-def: $vgpr30_vgpr31_vgpr32_vgpr33
                                        ; implicit-def: $vgpr26_vgpr27_vgpr28_vgpr29
	s_cbranch_execz .LBB84_139
; %bb.126:
	s_cmp_lg_u64 s[52:53], 0
	s_cselect_b32 s3, s51, 0
	s_cselect_b32 s2, s50, 0
	s_mov_b32 s24, 0
	s_cmp_eq_u64 s[2:3], 0
	v_mov_b32_e32 v32, s56
	s_cbranch_scc1 .LBB84_128
; %bb.127:
	v_mov_b32_e32 v26, 0
	global_load_dword v32, v26, s[2:3]
.LBB84_128:
	s_mov_b32 s25, 1
	v_cmp_gt_u64_e32 vcc, s[24:25], v[8:9]
	v_cndmask_b32_e32 v27, 0, v38, vcc
	v_add_u32_e32 v27, v27, v8
	v_cmp_gt_u64_e64 s[2:3], s[24:25], v[6:7]
	v_cndmask_b32_e64 v27, 0, v27, s[2:3]
	v_add_u32_e32 v27, v27, v6
	v_cmp_gt_u64_e64 s[4:5], s[24:25], v[4:5]
	v_cndmask_b32_e64 v27, 0, v27, s[4:5]
	;; [unrolled: 3-line block ×11, first 2 shown]
	v_mov_b32_e32 v26, 0
	v_add_u32_e32 v27, v27, v24
	v_cmp_gt_u64_e64 s[24:25], s[24:25], v[40:41]
	v_or3_b32 v7, v23, v15, v7
	v_cndmask_b32_e64 v27, 0, v27, s[24:25]
	v_or3_b32 v9, v25, v17, v9
	v_and_b32_e32 v35, 1, v7
	v_mov_b32_e32 v34, v26
	v_add_u32_e32 v33, v27, v40
	v_and_b32_e32 v27, 1, v41
	v_or3_b32 v3, v19, v11, v3
	v_and_b32_e32 v31, 1, v9
	v_mov_b32_e32 v30, v26
	v_cmp_ne_u64_e64 s[26:27], 0, v[34:35]
	v_cmp_eq_u32_e64 s[24:25], 1, v27
	v_or3_b32 v5, v21, v13, v5
	v_and_b32_e32 v27, 1, v3
	v_cndmask_b32_e64 v3, 0, 1, s[26:27]
	v_cmp_ne_u64_e64 s[26:27], 0, v[30:31]
	v_and_b32_e32 v29, 1, v5
	v_mov_b32_e32 v28, v26
	v_cndmask_b32_e64 v5, 0, 1, s[26:27]
	v_lshlrev_b16_e32 v3, 2, v3
	v_lshlrev_b16_e32 v5, 3, v5
	v_cmp_ne_u64_e64 s[26:27], 0, v[28:29]
	v_or_b32_e32 v3, v5, v3
	v_cndmask_b32_e64 v5, 0, 1, s[26:27]
	v_cmp_ne_u64_e64 s[26:27], 0, v[26:27]
	v_lshlrev_b16_e32 v5, 1, v5
	v_cndmask_b32_e64 v7, 0, 1, s[26:27]
	v_or_b32_e32 v5, v7, v5
	v_and_b32_e32 v5, 3, v5
	v_or_b32_e32 v3, v5, v3
	v_and_b32_e32 v3, 15, v3
	v_cmp_ne_u16_e64 s[26:27], 0, v3
	s_or_b64 s[24:25], s[24:25], s[26:27]
	v_cndmask_b32_e64 v5, v39, 1, s[24:25]
	v_and_b32_e32 v7, 0xff, v5
	v_mov_b32_dpp v11, v33 row_shr:1 row_mask:0xf bank_mask:0xf
	v_cmp_eq_u16_e64 s[24:25], 0, v7
	v_mov_b32_dpp v13, v7 row_shr:1 row_mask:0xf bank_mask:0xf
	v_and_b32_e32 v15, 1, v5
	v_mbcnt_hi_u32_b32 v3, -1, v52
	v_cndmask_b32_e64 v11, 0, v11, s[24:25]
	v_and_b32_e32 v13, 1, v13
	v_cmp_eq_u32_e64 s[24:25], 1, v15
	v_and_b32_e32 v9, 15, v3
	v_cndmask_b32_e64 v13, v13, 1, s[24:25]
	v_and_b32_e32 v15, 0xffff, v13
	v_cmp_eq_u32_e64 s[24:25], 0, v9
	v_cndmask_b32_e64 v5, v13, v5, s[24:25]
	v_cndmask_b32_e64 v7, v15, v7, s[24:25]
	v_and_b32_e32 v17, 1, v5
	v_cndmask_b32_e64 v11, v11, 0, s[24:25]
	v_mov_b32_dpp v15, v7 row_shr:2 row_mask:0xf bank_mask:0xf
	v_and_b32_e32 v15, 1, v15
	v_cmp_eq_u32_e64 s[24:25], 1, v17
	v_cndmask_b32_e64 v15, v15, 1, s[24:25]
	v_and_b32_e32 v17, 0xffff, v15
	v_cmp_lt_u32_e64 s[24:25], 1, v9
	v_add_u32_e32 v11, v11, v33
	v_cmp_eq_u16_sdwa s[26:27], v5, v26 src0_sel:BYTE_0 src1_sel:DWORD
	v_cndmask_b32_e64 v5, v5, v15, s[24:25]
	v_cndmask_b32_e64 v7, v7, v17, s[24:25]
	v_mov_b32_dpp v13, v11 row_shr:2 row_mask:0xf bank_mask:0xf
	s_and_b64 s[24:25], s[24:25], s[26:27]
	v_mov_b32_dpp v15, v7 row_shr:4 row_mask:0xf bank_mask:0xf
	v_and_b32_e32 v17, 1, v5
	v_cndmask_b32_e64 v13, 0, v13, s[24:25]
	v_and_b32_e32 v15, 1, v15
	v_cmp_eq_u32_e64 s[24:25], 1, v17
	v_cndmask_b32_e64 v15, v15, 1, s[24:25]
	v_and_b32_e32 v17, 0xffff, v15
	v_cmp_lt_u32_e64 s[24:25], 3, v9
	v_add_u32_e32 v11, v13, v11
	v_cmp_eq_u16_sdwa s[26:27], v5, v26 src0_sel:BYTE_0 src1_sel:DWORD
	v_cndmask_b32_e64 v5, v5, v15, s[24:25]
	v_cndmask_b32_e64 v7, v7, v17, s[24:25]
	v_mov_b32_dpp v13, v11 row_shr:4 row_mask:0xf bank_mask:0xf
	s_and_b64 s[24:25], s[24:25], s[26:27]
	v_mov_b32_dpp v15, v7 row_shr:8 row_mask:0xf bank_mask:0xf
	v_and_b32_e32 v17, 1, v5
	v_cndmask_b32_e64 v13, 0, v13, s[24:25]
	v_and_b32_e32 v15, 1, v15
	v_cmp_eq_u32_e64 s[24:25], 1, v17
	v_cndmask_b32_e64 v15, v15, 1, s[24:25]
	v_add_u32_e32 v11, v13, v11
	v_cmp_eq_u16_sdwa s[26:27], v5, v26 src0_sel:BYTE_0 src1_sel:DWORD
	v_and_b32_e32 v17, 0xffff, v15
	v_cmp_lt_u32_e64 s[24:25], 7, v9
	v_mov_b32_dpp v13, v11 row_shr:8 row_mask:0xf bank_mask:0xf
	v_cndmask_b32_e64 v5, v5, v15, s[24:25]
	v_cndmask_b32_e64 v7, v7, v17, s[24:25]
	s_and_b64 s[24:25], s[24:25], s[26:27]
	v_cndmask_b32_e64 v9, 0, v13, s[24:25]
	v_add_u32_e32 v9, v9, v11
	v_mov_b32_dpp v13, v7 row_bcast:15 row_mask:0xf bank_mask:0xf
	v_cmp_eq_u16_sdwa s[24:25], v5, v26 src0_sel:BYTE_0 src1_sel:DWORD
	v_mov_b32_dpp v11, v9 row_bcast:15 row_mask:0xf bank_mask:0xf
	v_and_b32_e32 v19, 1, v5
	v_cndmask_b32_e64 v11, 0, v11, s[24:25]
	v_and_b32_e32 v13, 1, v13
	v_cmp_eq_u32_e64 s[24:25], 1, v19
	v_and_b32_e32 v17, 16, v3
	v_cndmask_b32_e64 v13, v13, 1, s[24:25]
	v_and_b32_e32 v19, 0xffff, v13
	v_cmp_eq_u32_e64 s[24:25], 0, v17
	v_cndmask_b32_e64 v5, v13, v5, s[24:25]
	v_cndmask_b32_e64 v7, v19, v7, s[24:25]
	v_bfe_i32 v15, v3, 4, 1
	v_and_b32_e32 v13, 1, v5
	v_mov_b32_dpp v7, v7 row_bcast:31 row_mask:0xf bank_mask:0xf
	v_and_b32_e32 v11, v15, v11
	v_and_b32_e32 v7, 1, v7
	v_cmp_eq_u32_e64 s[24:25], 1, v13
	v_add_u32_e32 v9, v11, v9
	v_cmp_eq_u16_sdwa s[26:27], v5, v26 src0_sel:BYTE_0 src1_sel:DWORD
	v_cndmask_b32_e64 v7, v7, 1, s[24:25]
	v_cmp_lt_u32_e64 s[24:25], 31, v3
	v_mov_b32_dpp v11, v9 row_bcast:31 row_mask:0xf bank_mask:0xf
	v_cndmask_b32_e64 v5, v5, v7, s[24:25]
	s_and_b64 s[24:25], s[24:25], s[26:27]
	v_cndmask_b32_e64 v7, 0, v11, s[24:25]
	v_add_u32_e32 v7, v7, v9
	v_cmp_eq_u32_e64 s[24:25], v51, v0
	s_and_saveexec_b64 s[26:27], s[24:25]
	s_cbranch_execz .LBB84_130
; %bb.129:
	v_lshlrev_b32_e32 v9, 3, v1
	ds_write_b32 v9, v7
	ds_write_b8 v9, v5 offset:4
.LBB84_130:
	s_or_b64 exec, exec, s[26:27]
	v_cmp_gt_u32_e64 s[24:25], 4, v0
	s_waitcnt lgkmcnt(0)
	s_barrier
	s_and_saveexec_b64 s[26:27], s[24:25]
	s_cbranch_execz .LBB84_134
; %bb.131:
	v_lshlrev_b32_e32 v9, 3, v0
	ds_read_b64 v[26:27], v9
	v_and_b32_e32 v11, 3, v3
	v_cmp_ne_u32_e64 s[24:25], 0, v11
	s_waitcnt lgkmcnt(0)
	v_mov_b32_dpp v13, v26 row_shr:1 row_mask:0xf bank_mask:0xf
	v_mov_b32_dpp v17, v27 row_shr:1 row_mask:0xf bank_mask:0xf
	v_mov_b32_e32 v15, v27
	s_and_saveexec_b64 s[28:29], s[24:25]
	s_cbranch_execz .LBB84_133
; %bb.132:
	v_and_b32_e32 v15, 1, v27
	v_and_b32_e32 v17, 1, v17
	v_cmp_eq_u32_e64 s[24:25], 1, v15
	v_mov_b32_e32 v15, 0
	v_cndmask_b32_e64 v17, v17, 1, s[24:25]
	v_cmp_eq_u16_sdwa s[24:25], v27, v15 src0_sel:BYTE_0 src1_sel:DWORD
	v_cndmask_b32_e64 v13, 0, v13, s[24:25]
	v_add_u32_e32 v26, v13, v26
	v_and_b32_e32 v13, 0xffff, v17
	s_movk_i32 s24, 0xff00
	v_and_or_b32 v15, v27, s24, v13
	v_mov_b32_e32 v27, v17
.LBB84_133:
	s_or_b64 exec, exec, s[28:29]
	v_mov_b32_dpp v15, v15 row_shr:2 row_mask:0xf bank_mask:0xf
	v_and_b32_e32 v17, 1, v27
	v_and_b32_e32 v15, 1, v15
	v_cmp_eq_u32_e64 s[24:25], 1, v17
	v_mov_b32_e32 v17, 0
	v_cndmask_b32_e64 v15, v15, 1, s[24:25]
	v_cmp_eq_u16_sdwa s[28:29], v27, v17 src0_sel:BYTE_0 src1_sel:DWORD
	v_cmp_lt_u32_e64 s[24:25], 1, v11
	v_mov_b32_dpp v13, v26 row_shr:2 row_mask:0xf bank_mask:0xf
	v_cndmask_b32_e64 v11, v27, v15, s[24:25]
	s_and_b64 s[24:25], s[24:25], s[28:29]
	v_cndmask_b32_e64 v13, 0, v13, s[24:25]
	v_add_u32_e32 v13, v13, v26
	ds_write_b32 v9, v13
	ds_write_b8 v9, v11 offset:4
.LBB84_134:
	s_or_b64 exec, exec, s[26:27]
	v_cmp_lt_u32_e64 s[24:25], 63, v0
	s_waitcnt vmcnt(0)
	v_mov_b32_e32 v9, v32
	s_waitcnt lgkmcnt(0)
	s_barrier
	s_and_saveexec_b64 s[26:27], s[24:25]
	s_cbranch_execz .LBB84_136
; %bb.135:
	v_lshl_add_u32 v1, v1, 3, -8
	ds_read_u8 v9, v1 offset:4
	ds_read_b32 v1, v1
	s_waitcnt lgkmcnt(1)
	v_cmp_eq_u16_e64 s[24:25], 0, v9
	v_cndmask_b32_e64 v9, 0, v32, s[24:25]
	s_waitcnt lgkmcnt(0)
	v_add_u32_e32 v9, v9, v1
.LBB84_136:
	s_or_b64 exec, exec, s[26:27]
	v_mov_b32_e32 v28, 0
	v_cmp_eq_u16_sdwa s[24:25], v5, v28 src0_sel:BYTE_0 src1_sel:DWORD
	v_cndmask_b32_e64 v1, 0, v9, s[24:25]
	v_add_u32_e32 v1, v1, v7
	v_add_u32_e32 v5, -1, v3
	v_and_b32_e32 v7, 64, v3
	v_cmp_lt_i32_e64 s[24:25], v5, v7
	v_cndmask_b32_e64 v5, v5, v3, s[24:25]
	v_lshlrev_b32_e32 v5, 2, v5
	ds_bpermute_b32 v1, v5, v1
	v_cmp_eq_u32_e64 s[24:25], 0, v3
	v_and_b32_e32 v29, 0xff, v39
	v_cmp_eq_u64_e64 s[26:27], 0, v[28:29]
	s_waitcnt lgkmcnt(0)
	v_cndmask_b32_e64 v26, v1, v9, s[24:25]
	v_cmp_eq_u32_e64 s[24:25], 0, v0
	v_cndmask_b32_e64 v1, v26, v32, s[24:25]
	v_cndmask_b32_e64 v1, 0, v1, s[26:27]
	v_add_u32_e32 v27, v1, v38
	v_cndmask_b32_e32 v1, 0, v27, vcc
	v_add_u32_e32 v42, v1, v8
	v_cndmask_b32_e64 v1, 0, v42, s[2:3]
	v_add_u32_e32 v43, v1, v6
	v_cndmask_b32_e64 v1, 0, v43, s[4:5]
	;; [unrolled: 2-line block ×11, first 2 shown]
	s_and_saveexec_b64 s[2:3], s[24:25]
	s_cbranch_execz .LBB84_138
; %bb.137:
	ds_read_u8 v3, v28 offset:28
	ds_read_b32 v2, v28 offset:24
	s_add_u32 s4, s44, 0x400
	s_addc_u32 s5, s45, 0
	v_mov_b32_e32 v5, v28
	s_waitcnt lgkmcnt(1)
	v_cmp_eq_u16_e32 vcc, 0, v3
	v_cndmask_b32_e32 v4, 0, v32, vcc
	s_waitcnt lgkmcnt(0)
	v_add_u32_e32 v2, v4, v2
	v_and_b32_e32 v3, 0xffff, v3
	v_mov_b32_e32 v4, 2
	v_pk_mov_b32 v[6:7], s[4:5], s[4:5] op_sel:[0,1]
	;;#ASMSTART
	global_store_dwordx4 v[6:7], v[2:5] off	
s_waitcnt vmcnt(0)
	;;#ASMEND
	v_mov_b32_e32 v26, v32
.LBB84_138:
	s_or_b64 exec, exec, s[2:3]
	v_add_u32_e32 v49, v1, v24
.LBB84_139:
	s_add_u32 s2, s42, s34
	s_addc_u32 s3, s43, s35
	s_add_u32 s4, s2, s36
	v_mul_u32_u24_e32 v1, 14, v0
	s_addc_u32 s5, s3, s37
	s_and_b64 vcc, exec, s[0:1]
	v_lshlrev_b32_e32 v2, 2, v1
	s_cbranch_vccz .LBB84_167
; %bb.140:
	s_movk_i32 s0, 0xffcc
	v_mad_i32_i24 v3, v0, s0, v2
	s_barrier
	ds_write2_b64 v2, v[26:27], v[42:43] offset1:1
	ds_write2_b64 v2, v[30:31], v[44:45] offset0:2 offset1:3
	ds_write2_b64 v2, v[34:35], v[46:47] offset0:4 offset1:5
	ds_write_b64 v2, v[48:49] offset:48
	s_waitcnt lgkmcnt(0)
	s_barrier
	ds_read2st64_b32 v[16:17], v3 offset0:4 offset1:8
	ds_read2st64_b32 v[14:15], v3 offset0:12 offset1:16
	;; [unrolled: 1-line block ×6, first 2 shown]
	ds_read_b32 v3, v3 offset:13312
	v_mov_b32_e32 v7, s5
	v_add_co_u32_e32 v6, vcc, s4, v50
	s_add_i32 s33, s33, s46
	v_addc_co_u32_e32 v7, vcc, 0, v7, vcc
	v_mov_b32_e32 v1, 0
	v_cmp_gt_u32_e32 vcc, s33, v0
	s_and_saveexec_b64 s[0:1], vcc
	s_cbranch_execz .LBB84_142
; %bb.141:
	v_mul_i32_i24_e32 v18, 0xffffffcc, v0
	v_add_u32_e32 v18, v2, v18
	ds_read_b32 v18, v18
	s_waitcnt lgkmcnt(0)
	flat_store_dword v[6:7], v18
.LBB84_142:
	s_or_b64 exec, exec, s[0:1]
	v_or_b32_e32 v18, 0x100, v0
	v_cmp_gt_u32_e32 vcc, s33, v18
	s_and_saveexec_b64 s[0:1], vcc
	s_cbranch_execz .LBB84_144
; %bb.143:
	s_waitcnt lgkmcnt(0)
	flat_store_dword v[6:7], v16 offset:1024
.LBB84_144:
	s_or_b64 exec, exec, s[0:1]
	s_waitcnt lgkmcnt(0)
	v_or_b32_e32 v16, 0x200, v0
	v_cmp_gt_u32_e32 vcc, s33, v16
	s_and_saveexec_b64 s[0:1], vcc
	s_cbranch_execz .LBB84_146
; %bb.145:
	flat_store_dword v[6:7], v17 offset:2048
.LBB84_146:
	s_or_b64 exec, exec, s[0:1]
	v_or_b32_e32 v16, 0x300, v0
	v_cmp_gt_u32_e32 vcc, s33, v16
	s_and_saveexec_b64 s[0:1], vcc
	s_cbranch_execz .LBB84_148
; %bb.147:
	flat_store_dword v[6:7], v14 offset:3072
.LBB84_148:
	s_or_b64 exec, exec, s[0:1]
	v_or_b32_e32 v14, 0x400, v0
	v_cmp_gt_u32_e32 vcc, s33, v14
	s_and_saveexec_b64 s[0:1], vcc
	s_cbranch_execz .LBB84_150
; %bb.149:
	v_add_co_u32_e32 v16, vcc, 0x1000, v6
	v_addc_co_u32_e32 v17, vcc, 0, v7, vcc
	flat_store_dword v[16:17], v15
.LBB84_150:
	s_or_b64 exec, exec, s[0:1]
	v_or_b32_e32 v14, 0x500, v0
	v_cmp_gt_u32_e32 vcc, s33, v14
	s_and_saveexec_b64 s[0:1], vcc
	s_cbranch_execz .LBB84_152
; %bb.151:
	v_add_co_u32_e32 v14, vcc, 0x1000, v6
	v_addc_co_u32_e32 v15, vcc, 0, v7, vcc
	flat_store_dword v[14:15], v12 offset:1024
.LBB84_152:
	s_or_b64 exec, exec, s[0:1]
	v_or_b32_e32 v12, 0x600, v0
	v_cmp_gt_u32_e32 vcc, s33, v12
	s_and_saveexec_b64 s[0:1], vcc
	s_cbranch_execz .LBB84_154
; %bb.153:
	v_add_co_u32_e32 v14, vcc, 0x1000, v6
	v_addc_co_u32_e32 v15, vcc, 0, v7, vcc
	flat_store_dword v[14:15], v13 offset:2048
.LBB84_154:
	;; [unrolled: 10-line block ×3, first 2 shown]
	s_or_b64 exec, exec, s[0:1]
	v_or_b32_e32 v10, 0x800, v0
	v_cmp_gt_u32_e32 vcc, s33, v10
	s_and_saveexec_b64 s[0:1], vcc
	s_cbranch_execz .LBB84_158
; %bb.157:
	v_add_co_u32_e32 v12, vcc, 0x2000, v6
	v_addc_co_u32_e32 v13, vcc, 0, v7, vcc
	flat_store_dword v[12:13], v11
.LBB84_158:
	s_or_b64 exec, exec, s[0:1]
	v_or_b32_e32 v10, 0x900, v0
	v_cmp_gt_u32_e32 vcc, s33, v10
	s_and_saveexec_b64 s[0:1], vcc
	s_cbranch_execz .LBB84_160
; %bb.159:
	v_add_co_u32_e32 v10, vcc, 0x2000, v6
	v_addc_co_u32_e32 v11, vcc, 0, v7, vcc
	flat_store_dword v[10:11], v8 offset:1024
.LBB84_160:
	s_or_b64 exec, exec, s[0:1]
	v_or_b32_e32 v8, 0xa00, v0
	v_cmp_gt_u32_e32 vcc, s33, v8
	s_and_saveexec_b64 s[0:1], vcc
	s_cbranch_execz .LBB84_162
; %bb.161:
	v_add_co_u32_e32 v10, vcc, 0x2000, v6
	v_addc_co_u32_e32 v11, vcc, 0, v7, vcc
	flat_store_dword v[10:11], v9 offset:2048
.LBB84_162:
	;; [unrolled: 10-line block ×3, first 2 shown]
	s_or_b64 exec, exec, s[0:1]
	v_or_b32_e32 v4, 0xc00, v0
	v_cmp_gt_u32_e32 vcc, s33, v4
	s_and_saveexec_b64 s[0:1], vcc
	s_cbranch_execz .LBB84_166
; %bb.165:
	v_add_co_u32_e32 v6, vcc, 0x3000, v6
	v_addc_co_u32_e32 v7, vcc, 0, v7, vcc
	flat_store_dword v[6:7], v5
.LBB84_166:
	s_or_b64 exec, exec, s[0:1]
	v_or_b32_e32 v4, 0xd00, v0
	v_cmp_gt_u32_e64 s[0:1], s33, v4
	s_branch .LBB84_169
.LBB84_167:
	s_mov_b64 s[0:1], 0
                                        ; implicit-def: $vgpr3
	s_cbranch_execz .LBB84_169
; %bb.168:
	s_movk_i32 s2, 0xffcc
	s_waitcnt lgkmcnt(0)
	s_barrier
	ds_write2_b64 v2, v[26:27], v[42:43] offset1:1
	ds_write2_b64 v2, v[30:31], v[44:45] offset0:2 offset1:3
	ds_write2_b64 v2, v[34:35], v[46:47] offset0:4 offset1:5
	ds_write_b64 v2, v[48:49] offset:48
	v_mad_i32_i24 v2, v0, s2, v2
	v_mov_b32_e32 v17, s5
	v_add_co_u32_e32 v16, vcc, s4, v50
	s_waitcnt lgkmcnt(0)
	s_barrier
	ds_read2st64_b32 v[4:5], v2 offset1:4
	ds_read2st64_b32 v[6:7], v2 offset0:8 offset1:12
	ds_read2st64_b32 v[8:9], v2 offset0:16 offset1:20
	ds_read2st64_b32 v[10:11], v2 offset0:24 offset1:28
	ds_read2st64_b32 v[12:13], v2 offset0:32 offset1:36
	ds_read2st64_b32 v[14:15], v2 offset0:40 offset1:44
	ds_read2st64_b32 v[2:3], v2 offset0:48 offset1:52
	v_addc_co_u32_e32 v17, vcc, 0, v17, vcc
	s_movk_i32 s2, 0x1000
	s_waitcnt lgkmcnt(0)
	flat_store_dword v[16:17], v4
	flat_store_dword v[16:17], v5 offset:1024
	flat_store_dword v[16:17], v6 offset:2048
	flat_store_dword v[16:17], v7 offset:3072
	v_add_co_u32_e32 v4, vcc, s2, v16
	v_addc_co_u32_e32 v5, vcc, 0, v17, vcc
	flat_store_dword v[4:5], v8
	flat_store_dword v[4:5], v9 offset:1024
	flat_store_dword v[4:5], v10 offset:2048
	;; [unrolled: 1-line block ×3, first 2 shown]
	v_add_co_u32_e32 v4, vcc, 0x2000, v16
	v_addc_co_u32_e32 v5, vcc, 0, v17, vcc
	flat_store_dword v[4:5], v12
	flat_store_dword v[4:5], v13 offset:1024
	flat_store_dword v[4:5], v14 offset:2048
	;; [unrolled: 1-line block ×3, first 2 shown]
	v_add_co_u32_e32 v4, vcc, 0x3000, v16
	v_mov_b32_e32 v1, 0
	v_addc_co_u32_e32 v5, vcc, 0, v17, vcc
	s_or_b64 s[0:1], s[0:1], exec
	flat_store_dword v[4:5], v2
.LBB84_169:
	s_and_saveexec_b64 s[2:3], s[0:1]
	s_cbranch_execz .LBB84_171
; %bb.170:
	v_lshlrev_b64 v[0:1], 2, v[0:1]
	v_mov_b32_e32 v2, s5
	v_add_co_u32_e32 v0, vcc, s4, v0
	v_addc_co_u32_e32 v1, vcc, v2, v1, vcc
	v_add_co_u32_e32 v0, vcc, 0x3000, v0
	v_addc_co_u32_e32 v1, vcc, 0, v1, vcc
	flat_store_dword v[0:1], v3 offset:1024
	s_endpgm
.LBB84_171:
	s_endpgm
	.section	.rodata,"a",@progbits
	.p2align	6, 0x0
	.amdhsa_kernel _ZN7rocprim17ROCPRIM_400000_NS6detail17trampoline_kernelINS0_14default_configENS1_27scan_by_key_config_selectorIiiEEZZNS1_16scan_by_key_implILNS1_25lookback_scan_determinismE0ELb1ES3_N6thrust23THRUST_200600_302600_NS6detail15normal_iteratorINS9_10device_ptrIiEEEESE_SE_iNS9_4plusIvEENS9_8equal_toIvEEiEE10hipError_tPvRmT2_T3_T4_T5_mT6_T7_P12ihipStream_tbENKUlT_T0_E_clISt17integral_constantIbLb0EESZ_EEDaSU_SV_EUlSU_E_NS1_11comp_targetILNS1_3genE4ELNS1_11target_archE910ELNS1_3gpuE8ELNS1_3repE0EEENS1_30default_config_static_selectorELNS0_4arch9wavefront6targetE1EEEvT1_
		.amdhsa_group_segment_fixed_size 16384
		.amdhsa_private_segment_fixed_size 0
		.amdhsa_kernarg_size 112
		.amdhsa_user_sgpr_count 6
		.amdhsa_user_sgpr_private_segment_buffer 1
		.amdhsa_user_sgpr_dispatch_ptr 0
		.amdhsa_user_sgpr_queue_ptr 0
		.amdhsa_user_sgpr_kernarg_segment_ptr 1
		.amdhsa_user_sgpr_dispatch_id 0
		.amdhsa_user_sgpr_flat_scratch_init 0
		.amdhsa_user_sgpr_kernarg_preload_length 0
		.amdhsa_user_sgpr_kernarg_preload_offset 0
		.amdhsa_user_sgpr_private_segment_size 0
		.amdhsa_uses_dynamic_stack 0
		.amdhsa_system_sgpr_private_segment_wavefront_offset 0
		.amdhsa_system_sgpr_workgroup_id_x 1
		.amdhsa_system_sgpr_workgroup_id_y 0
		.amdhsa_system_sgpr_workgroup_id_z 0
		.amdhsa_system_sgpr_workgroup_info 0
		.amdhsa_system_vgpr_workitem_id 0
		.amdhsa_next_free_vgpr 65
		.amdhsa_next_free_sgpr 60
		.amdhsa_accum_offset 68
		.amdhsa_reserve_vcc 1
		.amdhsa_reserve_flat_scratch 0
		.amdhsa_float_round_mode_32 0
		.amdhsa_float_round_mode_16_64 0
		.amdhsa_float_denorm_mode_32 3
		.amdhsa_float_denorm_mode_16_64 3
		.amdhsa_dx10_clamp 1
		.amdhsa_ieee_mode 1
		.amdhsa_fp16_overflow 0
		.amdhsa_tg_split 0
		.amdhsa_exception_fp_ieee_invalid_op 0
		.amdhsa_exception_fp_denorm_src 0
		.amdhsa_exception_fp_ieee_div_zero 0
		.amdhsa_exception_fp_ieee_overflow 0
		.amdhsa_exception_fp_ieee_underflow 0
		.amdhsa_exception_fp_ieee_inexact 0
		.amdhsa_exception_int_div_zero 0
	.end_amdhsa_kernel
	.section	.text._ZN7rocprim17ROCPRIM_400000_NS6detail17trampoline_kernelINS0_14default_configENS1_27scan_by_key_config_selectorIiiEEZZNS1_16scan_by_key_implILNS1_25lookback_scan_determinismE0ELb1ES3_N6thrust23THRUST_200600_302600_NS6detail15normal_iteratorINS9_10device_ptrIiEEEESE_SE_iNS9_4plusIvEENS9_8equal_toIvEEiEE10hipError_tPvRmT2_T3_T4_T5_mT6_T7_P12ihipStream_tbENKUlT_T0_E_clISt17integral_constantIbLb0EESZ_EEDaSU_SV_EUlSU_E_NS1_11comp_targetILNS1_3genE4ELNS1_11target_archE910ELNS1_3gpuE8ELNS1_3repE0EEENS1_30default_config_static_selectorELNS0_4arch9wavefront6targetE1EEEvT1_,"axG",@progbits,_ZN7rocprim17ROCPRIM_400000_NS6detail17trampoline_kernelINS0_14default_configENS1_27scan_by_key_config_selectorIiiEEZZNS1_16scan_by_key_implILNS1_25lookback_scan_determinismE0ELb1ES3_N6thrust23THRUST_200600_302600_NS6detail15normal_iteratorINS9_10device_ptrIiEEEESE_SE_iNS9_4plusIvEENS9_8equal_toIvEEiEE10hipError_tPvRmT2_T3_T4_T5_mT6_T7_P12ihipStream_tbENKUlT_T0_E_clISt17integral_constantIbLb0EESZ_EEDaSU_SV_EUlSU_E_NS1_11comp_targetILNS1_3genE4ELNS1_11target_archE910ELNS1_3gpuE8ELNS1_3repE0EEENS1_30default_config_static_selectorELNS0_4arch9wavefront6targetE1EEEvT1_,comdat
.Lfunc_end84:
	.size	_ZN7rocprim17ROCPRIM_400000_NS6detail17trampoline_kernelINS0_14default_configENS1_27scan_by_key_config_selectorIiiEEZZNS1_16scan_by_key_implILNS1_25lookback_scan_determinismE0ELb1ES3_N6thrust23THRUST_200600_302600_NS6detail15normal_iteratorINS9_10device_ptrIiEEEESE_SE_iNS9_4plusIvEENS9_8equal_toIvEEiEE10hipError_tPvRmT2_T3_T4_T5_mT6_T7_P12ihipStream_tbENKUlT_T0_E_clISt17integral_constantIbLb0EESZ_EEDaSU_SV_EUlSU_E_NS1_11comp_targetILNS1_3genE4ELNS1_11target_archE910ELNS1_3gpuE8ELNS1_3repE0EEENS1_30default_config_static_selectorELNS0_4arch9wavefront6targetE1EEEvT1_, .Lfunc_end84-_ZN7rocprim17ROCPRIM_400000_NS6detail17trampoline_kernelINS0_14default_configENS1_27scan_by_key_config_selectorIiiEEZZNS1_16scan_by_key_implILNS1_25lookback_scan_determinismE0ELb1ES3_N6thrust23THRUST_200600_302600_NS6detail15normal_iteratorINS9_10device_ptrIiEEEESE_SE_iNS9_4plusIvEENS9_8equal_toIvEEiEE10hipError_tPvRmT2_T3_T4_T5_mT6_T7_P12ihipStream_tbENKUlT_T0_E_clISt17integral_constantIbLb0EESZ_EEDaSU_SV_EUlSU_E_NS1_11comp_targetILNS1_3genE4ELNS1_11target_archE910ELNS1_3gpuE8ELNS1_3repE0EEENS1_30default_config_static_selectorELNS0_4arch9wavefront6targetE1EEEvT1_
                                        ; -- End function
	.section	.AMDGPU.csdata,"",@progbits
; Kernel info:
; codeLenInByte = 11184
; NumSgprs: 64
; NumVgprs: 65
; NumAgprs: 0
; TotalNumVgprs: 65
; ScratchSize: 0
; MemoryBound: 0
; FloatMode: 240
; IeeeMode: 1
; LDSByteSize: 16384 bytes/workgroup (compile time only)
; SGPRBlocks: 7
; VGPRBlocks: 8
; NumSGPRsForWavesPerEU: 64
; NumVGPRsForWavesPerEU: 65
; AccumOffset: 68
; Occupancy: 4
; WaveLimiterHint : 1
; COMPUTE_PGM_RSRC2:SCRATCH_EN: 0
; COMPUTE_PGM_RSRC2:USER_SGPR: 6
; COMPUTE_PGM_RSRC2:TRAP_HANDLER: 0
; COMPUTE_PGM_RSRC2:TGID_X_EN: 1
; COMPUTE_PGM_RSRC2:TGID_Y_EN: 0
; COMPUTE_PGM_RSRC2:TGID_Z_EN: 0
; COMPUTE_PGM_RSRC2:TIDIG_COMP_CNT: 0
; COMPUTE_PGM_RSRC3_GFX90A:ACCUM_OFFSET: 16
; COMPUTE_PGM_RSRC3_GFX90A:TG_SPLIT: 0
	.section	.text._ZN7rocprim17ROCPRIM_400000_NS6detail17trampoline_kernelINS0_14default_configENS1_27scan_by_key_config_selectorIiiEEZZNS1_16scan_by_key_implILNS1_25lookback_scan_determinismE0ELb1ES3_N6thrust23THRUST_200600_302600_NS6detail15normal_iteratorINS9_10device_ptrIiEEEESE_SE_iNS9_4plusIvEENS9_8equal_toIvEEiEE10hipError_tPvRmT2_T3_T4_T5_mT6_T7_P12ihipStream_tbENKUlT_T0_E_clISt17integral_constantIbLb0EESZ_EEDaSU_SV_EUlSU_E_NS1_11comp_targetILNS1_3genE3ELNS1_11target_archE908ELNS1_3gpuE7ELNS1_3repE0EEENS1_30default_config_static_selectorELNS0_4arch9wavefront6targetE1EEEvT1_,"axG",@progbits,_ZN7rocprim17ROCPRIM_400000_NS6detail17trampoline_kernelINS0_14default_configENS1_27scan_by_key_config_selectorIiiEEZZNS1_16scan_by_key_implILNS1_25lookback_scan_determinismE0ELb1ES3_N6thrust23THRUST_200600_302600_NS6detail15normal_iteratorINS9_10device_ptrIiEEEESE_SE_iNS9_4plusIvEENS9_8equal_toIvEEiEE10hipError_tPvRmT2_T3_T4_T5_mT6_T7_P12ihipStream_tbENKUlT_T0_E_clISt17integral_constantIbLb0EESZ_EEDaSU_SV_EUlSU_E_NS1_11comp_targetILNS1_3genE3ELNS1_11target_archE908ELNS1_3gpuE7ELNS1_3repE0EEENS1_30default_config_static_selectorELNS0_4arch9wavefront6targetE1EEEvT1_,comdat
	.protected	_ZN7rocprim17ROCPRIM_400000_NS6detail17trampoline_kernelINS0_14default_configENS1_27scan_by_key_config_selectorIiiEEZZNS1_16scan_by_key_implILNS1_25lookback_scan_determinismE0ELb1ES3_N6thrust23THRUST_200600_302600_NS6detail15normal_iteratorINS9_10device_ptrIiEEEESE_SE_iNS9_4plusIvEENS9_8equal_toIvEEiEE10hipError_tPvRmT2_T3_T4_T5_mT6_T7_P12ihipStream_tbENKUlT_T0_E_clISt17integral_constantIbLb0EESZ_EEDaSU_SV_EUlSU_E_NS1_11comp_targetILNS1_3genE3ELNS1_11target_archE908ELNS1_3gpuE7ELNS1_3repE0EEENS1_30default_config_static_selectorELNS0_4arch9wavefront6targetE1EEEvT1_ ; -- Begin function _ZN7rocprim17ROCPRIM_400000_NS6detail17trampoline_kernelINS0_14default_configENS1_27scan_by_key_config_selectorIiiEEZZNS1_16scan_by_key_implILNS1_25lookback_scan_determinismE0ELb1ES3_N6thrust23THRUST_200600_302600_NS6detail15normal_iteratorINS9_10device_ptrIiEEEESE_SE_iNS9_4plusIvEENS9_8equal_toIvEEiEE10hipError_tPvRmT2_T3_T4_T5_mT6_T7_P12ihipStream_tbENKUlT_T0_E_clISt17integral_constantIbLb0EESZ_EEDaSU_SV_EUlSU_E_NS1_11comp_targetILNS1_3genE3ELNS1_11target_archE908ELNS1_3gpuE7ELNS1_3repE0EEENS1_30default_config_static_selectorELNS0_4arch9wavefront6targetE1EEEvT1_
	.globl	_ZN7rocprim17ROCPRIM_400000_NS6detail17trampoline_kernelINS0_14default_configENS1_27scan_by_key_config_selectorIiiEEZZNS1_16scan_by_key_implILNS1_25lookback_scan_determinismE0ELb1ES3_N6thrust23THRUST_200600_302600_NS6detail15normal_iteratorINS9_10device_ptrIiEEEESE_SE_iNS9_4plusIvEENS9_8equal_toIvEEiEE10hipError_tPvRmT2_T3_T4_T5_mT6_T7_P12ihipStream_tbENKUlT_T0_E_clISt17integral_constantIbLb0EESZ_EEDaSU_SV_EUlSU_E_NS1_11comp_targetILNS1_3genE3ELNS1_11target_archE908ELNS1_3gpuE7ELNS1_3repE0EEENS1_30default_config_static_selectorELNS0_4arch9wavefront6targetE1EEEvT1_
	.p2align	8
	.type	_ZN7rocprim17ROCPRIM_400000_NS6detail17trampoline_kernelINS0_14default_configENS1_27scan_by_key_config_selectorIiiEEZZNS1_16scan_by_key_implILNS1_25lookback_scan_determinismE0ELb1ES3_N6thrust23THRUST_200600_302600_NS6detail15normal_iteratorINS9_10device_ptrIiEEEESE_SE_iNS9_4plusIvEENS9_8equal_toIvEEiEE10hipError_tPvRmT2_T3_T4_T5_mT6_T7_P12ihipStream_tbENKUlT_T0_E_clISt17integral_constantIbLb0EESZ_EEDaSU_SV_EUlSU_E_NS1_11comp_targetILNS1_3genE3ELNS1_11target_archE908ELNS1_3gpuE7ELNS1_3repE0EEENS1_30default_config_static_selectorELNS0_4arch9wavefront6targetE1EEEvT1_,@function
_ZN7rocprim17ROCPRIM_400000_NS6detail17trampoline_kernelINS0_14default_configENS1_27scan_by_key_config_selectorIiiEEZZNS1_16scan_by_key_implILNS1_25lookback_scan_determinismE0ELb1ES3_N6thrust23THRUST_200600_302600_NS6detail15normal_iteratorINS9_10device_ptrIiEEEESE_SE_iNS9_4plusIvEENS9_8equal_toIvEEiEE10hipError_tPvRmT2_T3_T4_T5_mT6_T7_P12ihipStream_tbENKUlT_T0_E_clISt17integral_constantIbLb0EESZ_EEDaSU_SV_EUlSU_E_NS1_11comp_targetILNS1_3genE3ELNS1_11target_archE908ELNS1_3gpuE7ELNS1_3repE0EEENS1_30default_config_static_selectorELNS0_4arch9wavefront6targetE1EEEvT1_: ; @_ZN7rocprim17ROCPRIM_400000_NS6detail17trampoline_kernelINS0_14default_configENS1_27scan_by_key_config_selectorIiiEEZZNS1_16scan_by_key_implILNS1_25lookback_scan_determinismE0ELb1ES3_N6thrust23THRUST_200600_302600_NS6detail15normal_iteratorINS9_10device_ptrIiEEEESE_SE_iNS9_4plusIvEENS9_8equal_toIvEEiEE10hipError_tPvRmT2_T3_T4_T5_mT6_T7_P12ihipStream_tbENKUlT_T0_E_clISt17integral_constantIbLb0EESZ_EEDaSU_SV_EUlSU_E_NS1_11comp_targetILNS1_3genE3ELNS1_11target_archE908ELNS1_3gpuE7ELNS1_3repE0EEENS1_30default_config_static_selectorELNS0_4arch9wavefront6targetE1EEEvT1_
; %bb.0:
	.section	.rodata,"a",@progbits
	.p2align	6, 0x0
	.amdhsa_kernel _ZN7rocprim17ROCPRIM_400000_NS6detail17trampoline_kernelINS0_14default_configENS1_27scan_by_key_config_selectorIiiEEZZNS1_16scan_by_key_implILNS1_25lookback_scan_determinismE0ELb1ES3_N6thrust23THRUST_200600_302600_NS6detail15normal_iteratorINS9_10device_ptrIiEEEESE_SE_iNS9_4plusIvEENS9_8equal_toIvEEiEE10hipError_tPvRmT2_T3_T4_T5_mT6_T7_P12ihipStream_tbENKUlT_T0_E_clISt17integral_constantIbLb0EESZ_EEDaSU_SV_EUlSU_E_NS1_11comp_targetILNS1_3genE3ELNS1_11target_archE908ELNS1_3gpuE7ELNS1_3repE0EEENS1_30default_config_static_selectorELNS0_4arch9wavefront6targetE1EEEvT1_
		.amdhsa_group_segment_fixed_size 0
		.amdhsa_private_segment_fixed_size 0
		.amdhsa_kernarg_size 112
		.amdhsa_user_sgpr_count 6
		.amdhsa_user_sgpr_private_segment_buffer 1
		.amdhsa_user_sgpr_dispatch_ptr 0
		.amdhsa_user_sgpr_queue_ptr 0
		.amdhsa_user_sgpr_kernarg_segment_ptr 1
		.amdhsa_user_sgpr_dispatch_id 0
		.amdhsa_user_sgpr_flat_scratch_init 0
		.amdhsa_user_sgpr_kernarg_preload_length 0
		.amdhsa_user_sgpr_kernarg_preload_offset 0
		.amdhsa_user_sgpr_private_segment_size 0
		.amdhsa_uses_dynamic_stack 0
		.amdhsa_system_sgpr_private_segment_wavefront_offset 0
		.amdhsa_system_sgpr_workgroup_id_x 1
		.amdhsa_system_sgpr_workgroup_id_y 0
		.amdhsa_system_sgpr_workgroup_id_z 0
		.amdhsa_system_sgpr_workgroup_info 0
		.amdhsa_system_vgpr_workitem_id 0
		.amdhsa_next_free_vgpr 1
		.amdhsa_next_free_sgpr 0
		.amdhsa_accum_offset 4
		.amdhsa_reserve_vcc 0
		.amdhsa_reserve_flat_scratch 0
		.amdhsa_float_round_mode_32 0
		.amdhsa_float_round_mode_16_64 0
		.amdhsa_float_denorm_mode_32 3
		.amdhsa_float_denorm_mode_16_64 3
		.amdhsa_dx10_clamp 1
		.amdhsa_ieee_mode 1
		.amdhsa_fp16_overflow 0
		.amdhsa_tg_split 0
		.amdhsa_exception_fp_ieee_invalid_op 0
		.amdhsa_exception_fp_denorm_src 0
		.amdhsa_exception_fp_ieee_div_zero 0
		.amdhsa_exception_fp_ieee_overflow 0
		.amdhsa_exception_fp_ieee_underflow 0
		.amdhsa_exception_fp_ieee_inexact 0
		.amdhsa_exception_int_div_zero 0
	.end_amdhsa_kernel
	.section	.text._ZN7rocprim17ROCPRIM_400000_NS6detail17trampoline_kernelINS0_14default_configENS1_27scan_by_key_config_selectorIiiEEZZNS1_16scan_by_key_implILNS1_25lookback_scan_determinismE0ELb1ES3_N6thrust23THRUST_200600_302600_NS6detail15normal_iteratorINS9_10device_ptrIiEEEESE_SE_iNS9_4plusIvEENS9_8equal_toIvEEiEE10hipError_tPvRmT2_T3_T4_T5_mT6_T7_P12ihipStream_tbENKUlT_T0_E_clISt17integral_constantIbLb0EESZ_EEDaSU_SV_EUlSU_E_NS1_11comp_targetILNS1_3genE3ELNS1_11target_archE908ELNS1_3gpuE7ELNS1_3repE0EEENS1_30default_config_static_selectorELNS0_4arch9wavefront6targetE1EEEvT1_,"axG",@progbits,_ZN7rocprim17ROCPRIM_400000_NS6detail17trampoline_kernelINS0_14default_configENS1_27scan_by_key_config_selectorIiiEEZZNS1_16scan_by_key_implILNS1_25lookback_scan_determinismE0ELb1ES3_N6thrust23THRUST_200600_302600_NS6detail15normal_iteratorINS9_10device_ptrIiEEEESE_SE_iNS9_4plusIvEENS9_8equal_toIvEEiEE10hipError_tPvRmT2_T3_T4_T5_mT6_T7_P12ihipStream_tbENKUlT_T0_E_clISt17integral_constantIbLb0EESZ_EEDaSU_SV_EUlSU_E_NS1_11comp_targetILNS1_3genE3ELNS1_11target_archE908ELNS1_3gpuE7ELNS1_3repE0EEENS1_30default_config_static_selectorELNS0_4arch9wavefront6targetE1EEEvT1_,comdat
.Lfunc_end85:
	.size	_ZN7rocprim17ROCPRIM_400000_NS6detail17trampoline_kernelINS0_14default_configENS1_27scan_by_key_config_selectorIiiEEZZNS1_16scan_by_key_implILNS1_25lookback_scan_determinismE0ELb1ES3_N6thrust23THRUST_200600_302600_NS6detail15normal_iteratorINS9_10device_ptrIiEEEESE_SE_iNS9_4plusIvEENS9_8equal_toIvEEiEE10hipError_tPvRmT2_T3_T4_T5_mT6_T7_P12ihipStream_tbENKUlT_T0_E_clISt17integral_constantIbLb0EESZ_EEDaSU_SV_EUlSU_E_NS1_11comp_targetILNS1_3genE3ELNS1_11target_archE908ELNS1_3gpuE7ELNS1_3repE0EEENS1_30default_config_static_selectorELNS0_4arch9wavefront6targetE1EEEvT1_, .Lfunc_end85-_ZN7rocprim17ROCPRIM_400000_NS6detail17trampoline_kernelINS0_14default_configENS1_27scan_by_key_config_selectorIiiEEZZNS1_16scan_by_key_implILNS1_25lookback_scan_determinismE0ELb1ES3_N6thrust23THRUST_200600_302600_NS6detail15normal_iteratorINS9_10device_ptrIiEEEESE_SE_iNS9_4plusIvEENS9_8equal_toIvEEiEE10hipError_tPvRmT2_T3_T4_T5_mT6_T7_P12ihipStream_tbENKUlT_T0_E_clISt17integral_constantIbLb0EESZ_EEDaSU_SV_EUlSU_E_NS1_11comp_targetILNS1_3genE3ELNS1_11target_archE908ELNS1_3gpuE7ELNS1_3repE0EEENS1_30default_config_static_selectorELNS0_4arch9wavefront6targetE1EEEvT1_
                                        ; -- End function
	.section	.AMDGPU.csdata,"",@progbits
; Kernel info:
; codeLenInByte = 0
; NumSgprs: 4
; NumVgprs: 0
; NumAgprs: 0
; TotalNumVgprs: 0
; ScratchSize: 0
; MemoryBound: 0
; FloatMode: 240
; IeeeMode: 1
; LDSByteSize: 0 bytes/workgroup (compile time only)
; SGPRBlocks: 0
; VGPRBlocks: 0
; NumSGPRsForWavesPerEU: 4
; NumVGPRsForWavesPerEU: 1
; AccumOffset: 4
; Occupancy: 8
; WaveLimiterHint : 0
; COMPUTE_PGM_RSRC2:SCRATCH_EN: 0
; COMPUTE_PGM_RSRC2:USER_SGPR: 6
; COMPUTE_PGM_RSRC2:TRAP_HANDLER: 0
; COMPUTE_PGM_RSRC2:TGID_X_EN: 1
; COMPUTE_PGM_RSRC2:TGID_Y_EN: 0
; COMPUTE_PGM_RSRC2:TGID_Z_EN: 0
; COMPUTE_PGM_RSRC2:TIDIG_COMP_CNT: 0
; COMPUTE_PGM_RSRC3_GFX90A:ACCUM_OFFSET: 0
; COMPUTE_PGM_RSRC3_GFX90A:TG_SPLIT: 0
	.section	.text._ZN7rocprim17ROCPRIM_400000_NS6detail17trampoline_kernelINS0_14default_configENS1_27scan_by_key_config_selectorIiiEEZZNS1_16scan_by_key_implILNS1_25lookback_scan_determinismE0ELb1ES3_N6thrust23THRUST_200600_302600_NS6detail15normal_iteratorINS9_10device_ptrIiEEEESE_SE_iNS9_4plusIvEENS9_8equal_toIvEEiEE10hipError_tPvRmT2_T3_T4_T5_mT6_T7_P12ihipStream_tbENKUlT_T0_E_clISt17integral_constantIbLb0EESZ_EEDaSU_SV_EUlSU_E_NS1_11comp_targetILNS1_3genE2ELNS1_11target_archE906ELNS1_3gpuE6ELNS1_3repE0EEENS1_30default_config_static_selectorELNS0_4arch9wavefront6targetE1EEEvT1_,"axG",@progbits,_ZN7rocprim17ROCPRIM_400000_NS6detail17trampoline_kernelINS0_14default_configENS1_27scan_by_key_config_selectorIiiEEZZNS1_16scan_by_key_implILNS1_25lookback_scan_determinismE0ELb1ES3_N6thrust23THRUST_200600_302600_NS6detail15normal_iteratorINS9_10device_ptrIiEEEESE_SE_iNS9_4plusIvEENS9_8equal_toIvEEiEE10hipError_tPvRmT2_T3_T4_T5_mT6_T7_P12ihipStream_tbENKUlT_T0_E_clISt17integral_constantIbLb0EESZ_EEDaSU_SV_EUlSU_E_NS1_11comp_targetILNS1_3genE2ELNS1_11target_archE906ELNS1_3gpuE6ELNS1_3repE0EEENS1_30default_config_static_selectorELNS0_4arch9wavefront6targetE1EEEvT1_,comdat
	.protected	_ZN7rocprim17ROCPRIM_400000_NS6detail17trampoline_kernelINS0_14default_configENS1_27scan_by_key_config_selectorIiiEEZZNS1_16scan_by_key_implILNS1_25lookback_scan_determinismE0ELb1ES3_N6thrust23THRUST_200600_302600_NS6detail15normal_iteratorINS9_10device_ptrIiEEEESE_SE_iNS9_4plusIvEENS9_8equal_toIvEEiEE10hipError_tPvRmT2_T3_T4_T5_mT6_T7_P12ihipStream_tbENKUlT_T0_E_clISt17integral_constantIbLb0EESZ_EEDaSU_SV_EUlSU_E_NS1_11comp_targetILNS1_3genE2ELNS1_11target_archE906ELNS1_3gpuE6ELNS1_3repE0EEENS1_30default_config_static_selectorELNS0_4arch9wavefront6targetE1EEEvT1_ ; -- Begin function _ZN7rocprim17ROCPRIM_400000_NS6detail17trampoline_kernelINS0_14default_configENS1_27scan_by_key_config_selectorIiiEEZZNS1_16scan_by_key_implILNS1_25lookback_scan_determinismE0ELb1ES3_N6thrust23THRUST_200600_302600_NS6detail15normal_iteratorINS9_10device_ptrIiEEEESE_SE_iNS9_4plusIvEENS9_8equal_toIvEEiEE10hipError_tPvRmT2_T3_T4_T5_mT6_T7_P12ihipStream_tbENKUlT_T0_E_clISt17integral_constantIbLb0EESZ_EEDaSU_SV_EUlSU_E_NS1_11comp_targetILNS1_3genE2ELNS1_11target_archE906ELNS1_3gpuE6ELNS1_3repE0EEENS1_30default_config_static_selectorELNS0_4arch9wavefront6targetE1EEEvT1_
	.globl	_ZN7rocprim17ROCPRIM_400000_NS6detail17trampoline_kernelINS0_14default_configENS1_27scan_by_key_config_selectorIiiEEZZNS1_16scan_by_key_implILNS1_25lookback_scan_determinismE0ELb1ES3_N6thrust23THRUST_200600_302600_NS6detail15normal_iteratorINS9_10device_ptrIiEEEESE_SE_iNS9_4plusIvEENS9_8equal_toIvEEiEE10hipError_tPvRmT2_T3_T4_T5_mT6_T7_P12ihipStream_tbENKUlT_T0_E_clISt17integral_constantIbLb0EESZ_EEDaSU_SV_EUlSU_E_NS1_11comp_targetILNS1_3genE2ELNS1_11target_archE906ELNS1_3gpuE6ELNS1_3repE0EEENS1_30default_config_static_selectorELNS0_4arch9wavefront6targetE1EEEvT1_
	.p2align	8
	.type	_ZN7rocprim17ROCPRIM_400000_NS6detail17trampoline_kernelINS0_14default_configENS1_27scan_by_key_config_selectorIiiEEZZNS1_16scan_by_key_implILNS1_25lookback_scan_determinismE0ELb1ES3_N6thrust23THRUST_200600_302600_NS6detail15normal_iteratorINS9_10device_ptrIiEEEESE_SE_iNS9_4plusIvEENS9_8equal_toIvEEiEE10hipError_tPvRmT2_T3_T4_T5_mT6_T7_P12ihipStream_tbENKUlT_T0_E_clISt17integral_constantIbLb0EESZ_EEDaSU_SV_EUlSU_E_NS1_11comp_targetILNS1_3genE2ELNS1_11target_archE906ELNS1_3gpuE6ELNS1_3repE0EEENS1_30default_config_static_selectorELNS0_4arch9wavefront6targetE1EEEvT1_,@function
_ZN7rocprim17ROCPRIM_400000_NS6detail17trampoline_kernelINS0_14default_configENS1_27scan_by_key_config_selectorIiiEEZZNS1_16scan_by_key_implILNS1_25lookback_scan_determinismE0ELb1ES3_N6thrust23THRUST_200600_302600_NS6detail15normal_iteratorINS9_10device_ptrIiEEEESE_SE_iNS9_4plusIvEENS9_8equal_toIvEEiEE10hipError_tPvRmT2_T3_T4_T5_mT6_T7_P12ihipStream_tbENKUlT_T0_E_clISt17integral_constantIbLb0EESZ_EEDaSU_SV_EUlSU_E_NS1_11comp_targetILNS1_3genE2ELNS1_11target_archE906ELNS1_3gpuE6ELNS1_3repE0EEENS1_30default_config_static_selectorELNS0_4arch9wavefront6targetE1EEEvT1_: ; @_ZN7rocprim17ROCPRIM_400000_NS6detail17trampoline_kernelINS0_14default_configENS1_27scan_by_key_config_selectorIiiEEZZNS1_16scan_by_key_implILNS1_25lookback_scan_determinismE0ELb1ES3_N6thrust23THRUST_200600_302600_NS6detail15normal_iteratorINS9_10device_ptrIiEEEESE_SE_iNS9_4plusIvEENS9_8equal_toIvEEiEE10hipError_tPvRmT2_T3_T4_T5_mT6_T7_P12ihipStream_tbENKUlT_T0_E_clISt17integral_constantIbLb0EESZ_EEDaSU_SV_EUlSU_E_NS1_11comp_targetILNS1_3genE2ELNS1_11target_archE906ELNS1_3gpuE6ELNS1_3repE0EEENS1_30default_config_static_selectorELNS0_4arch9wavefront6targetE1EEEvT1_
; %bb.0:
	.section	.rodata,"a",@progbits
	.p2align	6, 0x0
	.amdhsa_kernel _ZN7rocprim17ROCPRIM_400000_NS6detail17trampoline_kernelINS0_14default_configENS1_27scan_by_key_config_selectorIiiEEZZNS1_16scan_by_key_implILNS1_25lookback_scan_determinismE0ELb1ES3_N6thrust23THRUST_200600_302600_NS6detail15normal_iteratorINS9_10device_ptrIiEEEESE_SE_iNS9_4plusIvEENS9_8equal_toIvEEiEE10hipError_tPvRmT2_T3_T4_T5_mT6_T7_P12ihipStream_tbENKUlT_T0_E_clISt17integral_constantIbLb0EESZ_EEDaSU_SV_EUlSU_E_NS1_11comp_targetILNS1_3genE2ELNS1_11target_archE906ELNS1_3gpuE6ELNS1_3repE0EEENS1_30default_config_static_selectorELNS0_4arch9wavefront6targetE1EEEvT1_
		.amdhsa_group_segment_fixed_size 0
		.amdhsa_private_segment_fixed_size 0
		.amdhsa_kernarg_size 112
		.amdhsa_user_sgpr_count 6
		.amdhsa_user_sgpr_private_segment_buffer 1
		.amdhsa_user_sgpr_dispatch_ptr 0
		.amdhsa_user_sgpr_queue_ptr 0
		.amdhsa_user_sgpr_kernarg_segment_ptr 1
		.amdhsa_user_sgpr_dispatch_id 0
		.amdhsa_user_sgpr_flat_scratch_init 0
		.amdhsa_user_sgpr_kernarg_preload_length 0
		.amdhsa_user_sgpr_kernarg_preload_offset 0
		.amdhsa_user_sgpr_private_segment_size 0
		.amdhsa_uses_dynamic_stack 0
		.amdhsa_system_sgpr_private_segment_wavefront_offset 0
		.amdhsa_system_sgpr_workgroup_id_x 1
		.amdhsa_system_sgpr_workgroup_id_y 0
		.amdhsa_system_sgpr_workgroup_id_z 0
		.amdhsa_system_sgpr_workgroup_info 0
		.amdhsa_system_vgpr_workitem_id 0
		.amdhsa_next_free_vgpr 1
		.amdhsa_next_free_sgpr 0
		.amdhsa_accum_offset 4
		.amdhsa_reserve_vcc 0
		.amdhsa_reserve_flat_scratch 0
		.amdhsa_float_round_mode_32 0
		.amdhsa_float_round_mode_16_64 0
		.amdhsa_float_denorm_mode_32 3
		.amdhsa_float_denorm_mode_16_64 3
		.amdhsa_dx10_clamp 1
		.amdhsa_ieee_mode 1
		.amdhsa_fp16_overflow 0
		.amdhsa_tg_split 0
		.amdhsa_exception_fp_ieee_invalid_op 0
		.amdhsa_exception_fp_denorm_src 0
		.amdhsa_exception_fp_ieee_div_zero 0
		.amdhsa_exception_fp_ieee_overflow 0
		.amdhsa_exception_fp_ieee_underflow 0
		.amdhsa_exception_fp_ieee_inexact 0
		.amdhsa_exception_int_div_zero 0
	.end_amdhsa_kernel
	.section	.text._ZN7rocprim17ROCPRIM_400000_NS6detail17trampoline_kernelINS0_14default_configENS1_27scan_by_key_config_selectorIiiEEZZNS1_16scan_by_key_implILNS1_25lookback_scan_determinismE0ELb1ES3_N6thrust23THRUST_200600_302600_NS6detail15normal_iteratorINS9_10device_ptrIiEEEESE_SE_iNS9_4plusIvEENS9_8equal_toIvEEiEE10hipError_tPvRmT2_T3_T4_T5_mT6_T7_P12ihipStream_tbENKUlT_T0_E_clISt17integral_constantIbLb0EESZ_EEDaSU_SV_EUlSU_E_NS1_11comp_targetILNS1_3genE2ELNS1_11target_archE906ELNS1_3gpuE6ELNS1_3repE0EEENS1_30default_config_static_selectorELNS0_4arch9wavefront6targetE1EEEvT1_,"axG",@progbits,_ZN7rocprim17ROCPRIM_400000_NS6detail17trampoline_kernelINS0_14default_configENS1_27scan_by_key_config_selectorIiiEEZZNS1_16scan_by_key_implILNS1_25lookback_scan_determinismE0ELb1ES3_N6thrust23THRUST_200600_302600_NS6detail15normal_iteratorINS9_10device_ptrIiEEEESE_SE_iNS9_4plusIvEENS9_8equal_toIvEEiEE10hipError_tPvRmT2_T3_T4_T5_mT6_T7_P12ihipStream_tbENKUlT_T0_E_clISt17integral_constantIbLb0EESZ_EEDaSU_SV_EUlSU_E_NS1_11comp_targetILNS1_3genE2ELNS1_11target_archE906ELNS1_3gpuE6ELNS1_3repE0EEENS1_30default_config_static_selectorELNS0_4arch9wavefront6targetE1EEEvT1_,comdat
.Lfunc_end86:
	.size	_ZN7rocprim17ROCPRIM_400000_NS6detail17trampoline_kernelINS0_14default_configENS1_27scan_by_key_config_selectorIiiEEZZNS1_16scan_by_key_implILNS1_25lookback_scan_determinismE0ELb1ES3_N6thrust23THRUST_200600_302600_NS6detail15normal_iteratorINS9_10device_ptrIiEEEESE_SE_iNS9_4plusIvEENS9_8equal_toIvEEiEE10hipError_tPvRmT2_T3_T4_T5_mT6_T7_P12ihipStream_tbENKUlT_T0_E_clISt17integral_constantIbLb0EESZ_EEDaSU_SV_EUlSU_E_NS1_11comp_targetILNS1_3genE2ELNS1_11target_archE906ELNS1_3gpuE6ELNS1_3repE0EEENS1_30default_config_static_selectorELNS0_4arch9wavefront6targetE1EEEvT1_, .Lfunc_end86-_ZN7rocprim17ROCPRIM_400000_NS6detail17trampoline_kernelINS0_14default_configENS1_27scan_by_key_config_selectorIiiEEZZNS1_16scan_by_key_implILNS1_25lookback_scan_determinismE0ELb1ES3_N6thrust23THRUST_200600_302600_NS6detail15normal_iteratorINS9_10device_ptrIiEEEESE_SE_iNS9_4plusIvEENS9_8equal_toIvEEiEE10hipError_tPvRmT2_T3_T4_T5_mT6_T7_P12ihipStream_tbENKUlT_T0_E_clISt17integral_constantIbLb0EESZ_EEDaSU_SV_EUlSU_E_NS1_11comp_targetILNS1_3genE2ELNS1_11target_archE906ELNS1_3gpuE6ELNS1_3repE0EEENS1_30default_config_static_selectorELNS0_4arch9wavefront6targetE1EEEvT1_
                                        ; -- End function
	.section	.AMDGPU.csdata,"",@progbits
; Kernel info:
; codeLenInByte = 0
; NumSgprs: 4
; NumVgprs: 0
; NumAgprs: 0
; TotalNumVgprs: 0
; ScratchSize: 0
; MemoryBound: 0
; FloatMode: 240
; IeeeMode: 1
; LDSByteSize: 0 bytes/workgroup (compile time only)
; SGPRBlocks: 0
; VGPRBlocks: 0
; NumSGPRsForWavesPerEU: 4
; NumVGPRsForWavesPerEU: 1
; AccumOffset: 4
; Occupancy: 8
; WaveLimiterHint : 0
; COMPUTE_PGM_RSRC2:SCRATCH_EN: 0
; COMPUTE_PGM_RSRC2:USER_SGPR: 6
; COMPUTE_PGM_RSRC2:TRAP_HANDLER: 0
; COMPUTE_PGM_RSRC2:TGID_X_EN: 1
; COMPUTE_PGM_RSRC2:TGID_Y_EN: 0
; COMPUTE_PGM_RSRC2:TGID_Z_EN: 0
; COMPUTE_PGM_RSRC2:TIDIG_COMP_CNT: 0
; COMPUTE_PGM_RSRC3_GFX90A:ACCUM_OFFSET: 0
; COMPUTE_PGM_RSRC3_GFX90A:TG_SPLIT: 0
	.section	.text._ZN7rocprim17ROCPRIM_400000_NS6detail17trampoline_kernelINS0_14default_configENS1_27scan_by_key_config_selectorIiiEEZZNS1_16scan_by_key_implILNS1_25lookback_scan_determinismE0ELb1ES3_N6thrust23THRUST_200600_302600_NS6detail15normal_iteratorINS9_10device_ptrIiEEEESE_SE_iNS9_4plusIvEENS9_8equal_toIvEEiEE10hipError_tPvRmT2_T3_T4_T5_mT6_T7_P12ihipStream_tbENKUlT_T0_E_clISt17integral_constantIbLb0EESZ_EEDaSU_SV_EUlSU_E_NS1_11comp_targetILNS1_3genE10ELNS1_11target_archE1200ELNS1_3gpuE4ELNS1_3repE0EEENS1_30default_config_static_selectorELNS0_4arch9wavefront6targetE1EEEvT1_,"axG",@progbits,_ZN7rocprim17ROCPRIM_400000_NS6detail17trampoline_kernelINS0_14default_configENS1_27scan_by_key_config_selectorIiiEEZZNS1_16scan_by_key_implILNS1_25lookback_scan_determinismE0ELb1ES3_N6thrust23THRUST_200600_302600_NS6detail15normal_iteratorINS9_10device_ptrIiEEEESE_SE_iNS9_4plusIvEENS9_8equal_toIvEEiEE10hipError_tPvRmT2_T3_T4_T5_mT6_T7_P12ihipStream_tbENKUlT_T0_E_clISt17integral_constantIbLb0EESZ_EEDaSU_SV_EUlSU_E_NS1_11comp_targetILNS1_3genE10ELNS1_11target_archE1200ELNS1_3gpuE4ELNS1_3repE0EEENS1_30default_config_static_selectorELNS0_4arch9wavefront6targetE1EEEvT1_,comdat
	.protected	_ZN7rocprim17ROCPRIM_400000_NS6detail17trampoline_kernelINS0_14default_configENS1_27scan_by_key_config_selectorIiiEEZZNS1_16scan_by_key_implILNS1_25lookback_scan_determinismE0ELb1ES3_N6thrust23THRUST_200600_302600_NS6detail15normal_iteratorINS9_10device_ptrIiEEEESE_SE_iNS9_4plusIvEENS9_8equal_toIvEEiEE10hipError_tPvRmT2_T3_T4_T5_mT6_T7_P12ihipStream_tbENKUlT_T0_E_clISt17integral_constantIbLb0EESZ_EEDaSU_SV_EUlSU_E_NS1_11comp_targetILNS1_3genE10ELNS1_11target_archE1200ELNS1_3gpuE4ELNS1_3repE0EEENS1_30default_config_static_selectorELNS0_4arch9wavefront6targetE1EEEvT1_ ; -- Begin function _ZN7rocprim17ROCPRIM_400000_NS6detail17trampoline_kernelINS0_14default_configENS1_27scan_by_key_config_selectorIiiEEZZNS1_16scan_by_key_implILNS1_25lookback_scan_determinismE0ELb1ES3_N6thrust23THRUST_200600_302600_NS6detail15normal_iteratorINS9_10device_ptrIiEEEESE_SE_iNS9_4plusIvEENS9_8equal_toIvEEiEE10hipError_tPvRmT2_T3_T4_T5_mT6_T7_P12ihipStream_tbENKUlT_T0_E_clISt17integral_constantIbLb0EESZ_EEDaSU_SV_EUlSU_E_NS1_11comp_targetILNS1_3genE10ELNS1_11target_archE1200ELNS1_3gpuE4ELNS1_3repE0EEENS1_30default_config_static_selectorELNS0_4arch9wavefront6targetE1EEEvT1_
	.globl	_ZN7rocprim17ROCPRIM_400000_NS6detail17trampoline_kernelINS0_14default_configENS1_27scan_by_key_config_selectorIiiEEZZNS1_16scan_by_key_implILNS1_25lookback_scan_determinismE0ELb1ES3_N6thrust23THRUST_200600_302600_NS6detail15normal_iteratorINS9_10device_ptrIiEEEESE_SE_iNS9_4plusIvEENS9_8equal_toIvEEiEE10hipError_tPvRmT2_T3_T4_T5_mT6_T7_P12ihipStream_tbENKUlT_T0_E_clISt17integral_constantIbLb0EESZ_EEDaSU_SV_EUlSU_E_NS1_11comp_targetILNS1_3genE10ELNS1_11target_archE1200ELNS1_3gpuE4ELNS1_3repE0EEENS1_30default_config_static_selectorELNS0_4arch9wavefront6targetE1EEEvT1_
	.p2align	8
	.type	_ZN7rocprim17ROCPRIM_400000_NS6detail17trampoline_kernelINS0_14default_configENS1_27scan_by_key_config_selectorIiiEEZZNS1_16scan_by_key_implILNS1_25lookback_scan_determinismE0ELb1ES3_N6thrust23THRUST_200600_302600_NS6detail15normal_iteratorINS9_10device_ptrIiEEEESE_SE_iNS9_4plusIvEENS9_8equal_toIvEEiEE10hipError_tPvRmT2_T3_T4_T5_mT6_T7_P12ihipStream_tbENKUlT_T0_E_clISt17integral_constantIbLb0EESZ_EEDaSU_SV_EUlSU_E_NS1_11comp_targetILNS1_3genE10ELNS1_11target_archE1200ELNS1_3gpuE4ELNS1_3repE0EEENS1_30default_config_static_selectorELNS0_4arch9wavefront6targetE1EEEvT1_,@function
_ZN7rocprim17ROCPRIM_400000_NS6detail17trampoline_kernelINS0_14default_configENS1_27scan_by_key_config_selectorIiiEEZZNS1_16scan_by_key_implILNS1_25lookback_scan_determinismE0ELb1ES3_N6thrust23THRUST_200600_302600_NS6detail15normal_iteratorINS9_10device_ptrIiEEEESE_SE_iNS9_4plusIvEENS9_8equal_toIvEEiEE10hipError_tPvRmT2_T3_T4_T5_mT6_T7_P12ihipStream_tbENKUlT_T0_E_clISt17integral_constantIbLb0EESZ_EEDaSU_SV_EUlSU_E_NS1_11comp_targetILNS1_3genE10ELNS1_11target_archE1200ELNS1_3gpuE4ELNS1_3repE0EEENS1_30default_config_static_selectorELNS0_4arch9wavefront6targetE1EEEvT1_: ; @_ZN7rocprim17ROCPRIM_400000_NS6detail17trampoline_kernelINS0_14default_configENS1_27scan_by_key_config_selectorIiiEEZZNS1_16scan_by_key_implILNS1_25lookback_scan_determinismE0ELb1ES3_N6thrust23THRUST_200600_302600_NS6detail15normal_iteratorINS9_10device_ptrIiEEEESE_SE_iNS9_4plusIvEENS9_8equal_toIvEEiEE10hipError_tPvRmT2_T3_T4_T5_mT6_T7_P12ihipStream_tbENKUlT_T0_E_clISt17integral_constantIbLb0EESZ_EEDaSU_SV_EUlSU_E_NS1_11comp_targetILNS1_3genE10ELNS1_11target_archE1200ELNS1_3gpuE4ELNS1_3repE0EEENS1_30default_config_static_selectorELNS0_4arch9wavefront6targetE1EEEvT1_
; %bb.0:
	.section	.rodata,"a",@progbits
	.p2align	6, 0x0
	.amdhsa_kernel _ZN7rocprim17ROCPRIM_400000_NS6detail17trampoline_kernelINS0_14default_configENS1_27scan_by_key_config_selectorIiiEEZZNS1_16scan_by_key_implILNS1_25lookback_scan_determinismE0ELb1ES3_N6thrust23THRUST_200600_302600_NS6detail15normal_iteratorINS9_10device_ptrIiEEEESE_SE_iNS9_4plusIvEENS9_8equal_toIvEEiEE10hipError_tPvRmT2_T3_T4_T5_mT6_T7_P12ihipStream_tbENKUlT_T0_E_clISt17integral_constantIbLb0EESZ_EEDaSU_SV_EUlSU_E_NS1_11comp_targetILNS1_3genE10ELNS1_11target_archE1200ELNS1_3gpuE4ELNS1_3repE0EEENS1_30default_config_static_selectorELNS0_4arch9wavefront6targetE1EEEvT1_
		.amdhsa_group_segment_fixed_size 0
		.amdhsa_private_segment_fixed_size 0
		.amdhsa_kernarg_size 112
		.amdhsa_user_sgpr_count 6
		.amdhsa_user_sgpr_private_segment_buffer 1
		.amdhsa_user_sgpr_dispatch_ptr 0
		.amdhsa_user_sgpr_queue_ptr 0
		.amdhsa_user_sgpr_kernarg_segment_ptr 1
		.amdhsa_user_sgpr_dispatch_id 0
		.amdhsa_user_sgpr_flat_scratch_init 0
		.amdhsa_user_sgpr_kernarg_preload_length 0
		.amdhsa_user_sgpr_kernarg_preload_offset 0
		.amdhsa_user_sgpr_private_segment_size 0
		.amdhsa_uses_dynamic_stack 0
		.amdhsa_system_sgpr_private_segment_wavefront_offset 0
		.amdhsa_system_sgpr_workgroup_id_x 1
		.amdhsa_system_sgpr_workgroup_id_y 0
		.amdhsa_system_sgpr_workgroup_id_z 0
		.amdhsa_system_sgpr_workgroup_info 0
		.amdhsa_system_vgpr_workitem_id 0
		.amdhsa_next_free_vgpr 1
		.amdhsa_next_free_sgpr 0
		.amdhsa_accum_offset 4
		.amdhsa_reserve_vcc 0
		.amdhsa_reserve_flat_scratch 0
		.amdhsa_float_round_mode_32 0
		.amdhsa_float_round_mode_16_64 0
		.amdhsa_float_denorm_mode_32 3
		.amdhsa_float_denorm_mode_16_64 3
		.amdhsa_dx10_clamp 1
		.amdhsa_ieee_mode 1
		.amdhsa_fp16_overflow 0
		.amdhsa_tg_split 0
		.amdhsa_exception_fp_ieee_invalid_op 0
		.amdhsa_exception_fp_denorm_src 0
		.amdhsa_exception_fp_ieee_div_zero 0
		.amdhsa_exception_fp_ieee_overflow 0
		.amdhsa_exception_fp_ieee_underflow 0
		.amdhsa_exception_fp_ieee_inexact 0
		.amdhsa_exception_int_div_zero 0
	.end_amdhsa_kernel
	.section	.text._ZN7rocprim17ROCPRIM_400000_NS6detail17trampoline_kernelINS0_14default_configENS1_27scan_by_key_config_selectorIiiEEZZNS1_16scan_by_key_implILNS1_25lookback_scan_determinismE0ELb1ES3_N6thrust23THRUST_200600_302600_NS6detail15normal_iteratorINS9_10device_ptrIiEEEESE_SE_iNS9_4plusIvEENS9_8equal_toIvEEiEE10hipError_tPvRmT2_T3_T4_T5_mT6_T7_P12ihipStream_tbENKUlT_T0_E_clISt17integral_constantIbLb0EESZ_EEDaSU_SV_EUlSU_E_NS1_11comp_targetILNS1_3genE10ELNS1_11target_archE1200ELNS1_3gpuE4ELNS1_3repE0EEENS1_30default_config_static_selectorELNS0_4arch9wavefront6targetE1EEEvT1_,"axG",@progbits,_ZN7rocprim17ROCPRIM_400000_NS6detail17trampoline_kernelINS0_14default_configENS1_27scan_by_key_config_selectorIiiEEZZNS1_16scan_by_key_implILNS1_25lookback_scan_determinismE0ELb1ES3_N6thrust23THRUST_200600_302600_NS6detail15normal_iteratorINS9_10device_ptrIiEEEESE_SE_iNS9_4plusIvEENS9_8equal_toIvEEiEE10hipError_tPvRmT2_T3_T4_T5_mT6_T7_P12ihipStream_tbENKUlT_T0_E_clISt17integral_constantIbLb0EESZ_EEDaSU_SV_EUlSU_E_NS1_11comp_targetILNS1_3genE10ELNS1_11target_archE1200ELNS1_3gpuE4ELNS1_3repE0EEENS1_30default_config_static_selectorELNS0_4arch9wavefront6targetE1EEEvT1_,comdat
.Lfunc_end87:
	.size	_ZN7rocprim17ROCPRIM_400000_NS6detail17trampoline_kernelINS0_14default_configENS1_27scan_by_key_config_selectorIiiEEZZNS1_16scan_by_key_implILNS1_25lookback_scan_determinismE0ELb1ES3_N6thrust23THRUST_200600_302600_NS6detail15normal_iteratorINS9_10device_ptrIiEEEESE_SE_iNS9_4plusIvEENS9_8equal_toIvEEiEE10hipError_tPvRmT2_T3_T4_T5_mT6_T7_P12ihipStream_tbENKUlT_T0_E_clISt17integral_constantIbLb0EESZ_EEDaSU_SV_EUlSU_E_NS1_11comp_targetILNS1_3genE10ELNS1_11target_archE1200ELNS1_3gpuE4ELNS1_3repE0EEENS1_30default_config_static_selectorELNS0_4arch9wavefront6targetE1EEEvT1_, .Lfunc_end87-_ZN7rocprim17ROCPRIM_400000_NS6detail17trampoline_kernelINS0_14default_configENS1_27scan_by_key_config_selectorIiiEEZZNS1_16scan_by_key_implILNS1_25lookback_scan_determinismE0ELb1ES3_N6thrust23THRUST_200600_302600_NS6detail15normal_iteratorINS9_10device_ptrIiEEEESE_SE_iNS9_4plusIvEENS9_8equal_toIvEEiEE10hipError_tPvRmT2_T3_T4_T5_mT6_T7_P12ihipStream_tbENKUlT_T0_E_clISt17integral_constantIbLb0EESZ_EEDaSU_SV_EUlSU_E_NS1_11comp_targetILNS1_3genE10ELNS1_11target_archE1200ELNS1_3gpuE4ELNS1_3repE0EEENS1_30default_config_static_selectorELNS0_4arch9wavefront6targetE1EEEvT1_
                                        ; -- End function
	.section	.AMDGPU.csdata,"",@progbits
; Kernel info:
; codeLenInByte = 0
; NumSgprs: 4
; NumVgprs: 0
; NumAgprs: 0
; TotalNumVgprs: 0
; ScratchSize: 0
; MemoryBound: 0
; FloatMode: 240
; IeeeMode: 1
; LDSByteSize: 0 bytes/workgroup (compile time only)
; SGPRBlocks: 0
; VGPRBlocks: 0
; NumSGPRsForWavesPerEU: 4
; NumVGPRsForWavesPerEU: 1
; AccumOffset: 4
; Occupancy: 8
; WaveLimiterHint : 0
; COMPUTE_PGM_RSRC2:SCRATCH_EN: 0
; COMPUTE_PGM_RSRC2:USER_SGPR: 6
; COMPUTE_PGM_RSRC2:TRAP_HANDLER: 0
; COMPUTE_PGM_RSRC2:TGID_X_EN: 1
; COMPUTE_PGM_RSRC2:TGID_Y_EN: 0
; COMPUTE_PGM_RSRC2:TGID_Z_EN: 0
; COMPUTE_PGM_RSRC2:TIDIG_COMP_CNT: 0
; COMPUTE_PGM_RSRC3_GFX90A:ACCUM_OFFSET: 0
; COMPUTE_PGM_RSRC3_GFX90A:TG_SPLIT: 0
	.section	.text._ZN7rocprim17ROCPRIM_400000_NS6detail17trampoline_kernelINS0_14default_configENS1_27scan_by_key_config_selectorIiiEEZZNS1_16scan_by_key_implILNS1_25lookback_scan_determinismE0ELb1ES3_N6thrust23THRUST_200600_302600_NS6detail15normal_iteratorINS9_10device_ptrIiEEEESE_SE_iNS9_4plusIvEENS9_8equal_toIvEEiEE10hipError_tPvRmT2_T3_T4_T5_mT6_T7_P12ihipStream_tbENKUlT_T0_E_clISt17integral_constantIbLb0EESZ_EEDaSU_SV_EUlSU_E_NS1_11comp_targetILNS1_3genE9ELNS1_11target_archE1100ELNS1_3gpuE3ELNS1_3repE0EEENS1_30default_config_static_selectorELNS0_4arch9wavefront6targetE1EEEvT1_,"axG",@progbits,_ZN7rocprim17ROCPRIM_400000_NS6detail17trampoline_kernelINS0_14default_configENS1_27scan_by_key_config_selectorIiiEEZZNS1_16scan_by_key_implILNS1_25lookback_scan_determinismE0ELb1ES3_N6thrust23THRUST_200600_302600_NS6detail15normal_iteratorINS9_10device_ptrIiEEEESE_SE_iNS9_4plusIvEENS9_8equal_toIvEEiEE10hipError_tPvRmT2_T3_T4_T5_mT6_T7_P12ihipStream_tbENKUlT_T0_E_clISt17integral_constantIbLb0EESZ_EEDaSU_SV_EUlSU_E_NS1_11comp_targetILNS1_3genE9ELNS1_11target_archE1100ELNS1_3gpuE3ELNS1_3repE0EEENS1_30default_config_static_selectorELNS0_4arch9wavefront6targetE1EEEvT1_,comdat
	.protected	_ZN7rocprim17ROCPRIM_400000_NS6detail17trampoline_kernelINS0_14default_configENS1_27scan_by_key_config_selectorIiiEEZZNS1_16scan_by_key_implILNS1_25lookback_scan_determinismE0ELb1ES3_N6thrust23THRUST_200600_302600_NS6detail15normal_iteratorINS9_10device_ptrIiEEEESE_SE_iNS9_4plusIvEENS9_8equal_toIvEEiEE10hipError_tPvRmT2_T3_T4_T5_mT6_T7_P12ihipStream_tbENKUlT_T0_E_clISt17integral_constantIbLb0EESZ_EEDaSU_SV_EUlSU_E_NS1_11comp_targetILNS1_3genE9ELNS1_11target_archE1100ELNS1_3gpuE3ELNS1_3repE0EEENS1_30default_config_static_selectorELNS0_4arch9wavefront6targetE1EEEvT1_ ; -- Begin function _ZN7rocprim17ROCPRIM_400000_NS6detail17trampoline_kernelINS0_14default_configENS1_27scan_by_key_config_selectorIiiEEZZNS1_16scan_by_key_implILNS1_25lookback_scan_determinismE0ELb1ES3_N6thrust23THRUST_200600_302600_NS6detail15normal_iteratorINS9_10device_ptrIiEEEESE_SE_iNS9_4plusIvEENS9_8equal_toIvEEiEE10hipError_tPvRmT2_T3_T4_T5_mT6_T7_P12ihipStream_tbENKUlT_T0_E_clISt17integral_constantIbLb0EESZ_EEDaSU_SV_EUlSU_E_NS1_11comp_targetILNS1_3genE9ELNS1_11target_archE1100ELNS1_3gpuE3ELNS1_3repE0EEENS1_30default_config_static_selectorELNS0_4arch9wavefront6targetE1EEEvT1_
	.globl	_ZN7rocprim17ROCPRIM_400000_NS6detail17trampoline_kernelINS0_14default_configENS1_27scan_by_key_config_selectorIiiEEZZNS1_16scan_by_key_implILNS1_25lookback_scan_determinismE0ELb1ES3_N6thrust23THRUST_200600_302600_NS6detail15normal_iteratorINS9_10device_ptrIiEEEESE_SE_iNS9_4plusIvEENS9_8equal_toIvEEiEE10hipError_tPvRmT2_T3_T4_T5_mT6_T7_P12ihipStream_tbENKUlT_T0_E_clISt17integral_constantIbLb0EESZ_EEDaSU_SV_EUlSU_E_NS1_11comp_targetILNS1_3genE9ELNS1_11target_archE1100ELNS1_3gpuE3ELNS1_3repE0EEENS1_30default_config_static_selectorELNS0_4arch9wavefront6targetE1EEEvT1_
	.p2align	8
	.type	_ZN7rocprim17ROCPRIM_400000_NS6detail17trampoline_kernelINS0_14default_configENS1_27scan_by_key_config_selectorIiiEEZZNS1_16scan_by_key_implILNS1_25lookback_scan_determinismE0ELb1ES3_N6thrust23THRUST_200600_302600_NS6detail15normal_iteratorINS9_10device_ptrIiEEEESE_SE_iNS9_4plusIvEENS9_8equal_toIvEEiEE10hipError_tPvRmT2_T3_T4_T5_mT6_T7_P12ihipStream_tbENKUlT_T0_E_clISt17integral_constantIbLb0EESZ_EEDaSU_SV_EUlSU_E_NS1_11comp_targetILNS1_3genE9ELNS1_11target_archE1100ELNS1_3gpuE3ELNS1_3repE0EEENS1_30default_config_static_selectorELNS0_4arch9wavefront6targetE1EEEvT1_,@function
_ZN7rocprim17ROCPRIM_400000_NS6detail17trampoline_kernelINS0_14default_configENS1_27scan_by_key_config_selectorIiiEEZZNS1_16scan_by_key_implILNS1_25lookback_scan_determinismE0ELb1ES3_N6thrust23THRUST_200600_302600_NS6detail15normal_iteratorINS9_10device_ptrIiEEEESE_SE_iNS9_4plusIvEENS9_8equal_toIvEEiEE10hipError_tPvRmT2_T3_T4_T5_mT6_T7_P12ihipStream_tbENKUlT_T0_E_clISt17integral_constantIbLb0EESZ_EEDaSU_SV_EUlSU_E_NS1_11comp_targetILNS1_3genE9ELNS1_11target_archE1100ELNS1_3gpuE3ELNS1_3repE0EEENS1_30default_config_static_selectorELNS0_4arch9wavefront6targetE1EEEvT1_: ; @_ZN7rocprim17ROCPRIM_400000_NS6detail17trampoline_kernelINS0_14default_configENS1_27scan_by_key_config_selectorIiiEEZZNS1_16scan_by_key_implILNS1_25lookback_scan_determinismE0ELb1ES3_N6thrust23THRUST_200600_302600_NS6detail15normal_iteratorINS9_10device_ptrIiEEEESE_SE_iNS9_4plusIvEENS9_8equal_toIvEEiEE10hipError_tPvRmT2_T3_T4_T5_mT6_T7_P12ihipStream_tbENKUlT_T0_E_clISt17integral_constantIbLb0EESZ_EEDaSU_SV_EUlSU_E_NS1_11comp_targetILNS1_3genE9ELNS1_11target_archE1100ELNS1_3gpuE3ELNS1_3repE0EEENS1_30default_config_static_selectorELNS0_4arch9wavefront6targetE1EEEvT1_
; %bb.0:
	.section	.rodata,"a",@progbits
	.p2align	6, 0x0
	.amdhsa_kernel _ZN7rocprim17ROCPRIM_400000_NS6detail17trampoline_kernelINS0_14default_configENS1_27scan_by_key_config_selectorIiiEEZZNS1_16scan_by_key_implILNS1_25lookback_scan_determinismE0ELb1ES3_N6thrust23THRUST_200600_302600_NS6detail15normal_iteratorINS9_10device_ptrIiEEEESE_SE_iNS9_4plusIvEENS9_8equal_toIvEEiEE10hipError_tPvRmT2_T3_T4_T5_mT6_T7_P12ihipStream_tbENKUlT_T0_E_clISt17integral_constantIbLb0EESZ_EEDaSU_SV_EUlSU_E_NS1_11comp_targetILNS1_3genE9ELNS1_11target_archE1100ELNS1_3gpuE3ELNS1_3repE0EEENS1_30default_config_static_selectorELNS0_4arch9wavefront6targetE1EEEvT1_
		.amdhsa_group_segment_fixed_size 0
		.amdhsa_private_segment_fixed_size 0
		.amdhsa_kernarg_size 112
		.amdhsa_user_sgpr_count 6
		.amdhsa_user_sgpr_private_segment_buffer 1
		.amdhsa_user_sgpr_dispatch_ptr 0
		.amdhsa_user_sgpr_queue_ptr 0
		.amdhsa_user_sgpr_kernarg_segment_ptr 1
		.amdhsa_user_sgpr_dispatch_id 0
		.amdhsa_user_sgpr_flat_scratch_init 0
		.amdhsa_user_sgpr_kernarg_preload_length 0
		.amdhsa_user_sgpr_kernarg_preload_offset 0
		.amdhsa_user_sgpr_private_segment_size 0
		.amdhsa_uses_dynamic_stack 0
		.amdhsa_system_sgpr_private_segment_wavefront_offset 0
		.amdhsa_system_sgpr_workgroup_id_x 1
		.amdhsa_system_sgpr_workgroup_id_y 0
		.amdhsa_system_sgpr_workgroup_id_z 0
		.amdhsa_system_sgpr_workgroup_info 0
		.amdhsa_system_vgpr_workitem_id 0
		.amdhsa_next_free_vgpr 1
		.amdhsa_next_free_sgpr 0
		.amdhsa_accum_offset 4
		.amdhsa_reserve_vcc 0
		.amdhsa_reserve_flat_scratch 0
		.amdhsa_float_round_mode_32 0
		.amdhsa_float_round_mode_16_64 0
		.amdhsa_float_denorm_mode_32 3
		.amdhsa_float_denorm_mode_16_64 3
		.amdhsa_dx10_clamp 1
		.amdhsa_ieee_mode 1
		.amdhsa_fp16_overflow 0
		.amdhsa_tg_split 0
		.amdhsa_exception_fp_ieee_invalid_op 0
		.amdhsa_exception_fp_denorm_src 0
		.amdhsa_exception_fp_ieee_div_zero 0
		.amdhsa_exception_fp_ieee_overflow 0
		.amdhsa_exception_fp_ieee_underflow 0
		.amdhsa_exception_fp_ieee_inexact 0
		.amdhsa_exception_int_div_zero 0
	.end_amdhsa_kernel
	.section	.text._ZN7rocprim17ROCPRIM_400000_NS6detail17trampoline_kernelINS0_14default_configENS1_27scan_by_key_config_selectorIiiEEZZNS1_16scan_by_key_implILNS1_25lookback_scan_determinismE0ELb1ES3_N6thrust23THRUST_200600_302600_NS6detail15normal_iteratorINS9_10device_ptrIiEEEESE_SE_iNS9_4plusIvEENS9_8equal_toIvEEiEE10hipError_tPvRmT2_T3_T4_T5_mT6_T7_P12ihipStream_tbENKUlT_T0_E_clISt17integral_constantIbLb0EESZ_EEDaSU_SV_EUlSU_E_NS1_11comp_targetILNS1_3genE9ELNS1_11target_archE1100ELNS1_3gpuE3ELNS1_3repE0EEENS1_30default_config_static_selectorELNS0_4arch9wavefront6targetE1EEEvT1_,"axG",@progbits,_ZN7rocprim17ROCPRIM_400000_NS6detail17trampoline_kernelINS0_14default_configENS1_27scan_by_key_config_selectorIiiEEZZNS1_16scan_by_key_implILNS1_25lookback_scan_determinismE0ELb1ES3_N6thrust23THRUST_200600_302600_NS6detail15normal_iteratorINS9_10device_ptrIiEEEESE_SE_iNS9_4plusIvEENS9_8equal_toIvEEiEE10hipError_tPvRmT2_T3_T4_T5_mT6_T7_P12ihipStream_tbENKUlT_T0_E_clISt17integral_constantIbLb0EESZ_EEDaSU_SV_EUlSU_E_NS1_11comp_targetILNS1_3genE9ELNS1_11target_archE1100ELNS1_3gpuE3ELNS1_3repE0EEENS1_30default_config_static_selectorELNS0_4arch9wavefront6targetE1EEEvT1_,comdat
.Lfunc_end88:
	.size	_ZN7rocprim17ROCPRIM_400000_NS6detail17trampoline_kernelINS0_14default_configENS1_27scan_by_key_config_selectorIiiEEZZNS1_16scan_by_key_implILNS1_25lookback_scan_determinismE0ELb1ES3_N6thrust23THRUST_200600_302600_NS6detail15normal_iteratorINS9_10device_ptrIiEEEESE_SE_iNS9_4plusIvEENS9_8equal_toIvEEiEE10hipError_tPvRmT2_T3_T4_T5_mT6_T7_P12ihipStream_tbENKUlT_T0_E_clISt17integral_constantIbLb0EESZ_EEDaSU_SV_EUlSU_E_NS1_11comp_targetILNS1_3genE9ELNS1_11target_archE1100ELNS1_3gpuE3ELNS1_3repE0EEENS1_30default_config_static_selectorELNS0_4arch9wavefront6targetE1EEEvT1_, .Lfunc_end88-_ZN7rocprim17ROCPRIM_400000_NS6detail17trampoline_kernelINS0_14default_configENS1_27scan_by_key_config_selectorIiiEEZZNS1_16scan_by_key_implILNS1_25lookback_scan_determinismE0ELb1ES3_N6thrust23THRUST_200600_302600_NS6detail15normal_iteratorINS9_10device_ptrIiEEEESE_SE_iNS9_4plusIvEENS9_8equal_toIvEEiEE10hipError_tPvRmT2_T3_T4_T5_mT6_T7_P12ihipStream_tbENKUlT_T0_E_clISt17integral_constantIbLb0EESZ_EEDaSU_SV_EUlSU_E_NS1_11comp_targetILNS1_3genE9ELNS1_11target_archE1100ELNS1_3gpuE3ELNS1_3repE0EEENS1_30default_config_static_selectorELNS0_4arch9wavefront6targetE1EEEvT1_
                                        ; -- End function
	.section	.AMDGPU.csdata,"",@progbits
; Kernel info:
; codeLenInByte = 0
; NumSgprs: 4
; NumVgprs: 0
; NumAgprs: 0
; TotalNumVgprs: 0
; ScratchSize: 0
; MemoryBound: 0
; FloatMode: 240
; IeeeMode: 1
; LDSByteSize: 0 bytes/workgroup (compile time only)
; SGPRBlocks: 0
; VGPRBlocks: 0
; NumSGPRsForWavesPerEU: 4
; NumVGPRsForWavesPerEU: 1
; AccumOffset: 4
; Occupancy: 8
; WaveLimiterHint : 0
; COMPUTE_PGM_RSRC2:SCRATCH_EN: 0
; COMPUTE_PGM_RSRC2:USER_SGPR: 6
; COMPUTE_PGM_RSRC2:TRAP_HANDLER: 0
; COMPUTE_PGM_RSRC2:TGID_X_EN: 1
; COMPUTE_PGM_RSRC2:TGID_Y_EN: 0
; COMPUTE_PGM_RSRC2:TGID_Z_EN: 0
; COMPUTE_PGM_RSRC2:TIDIG_COMP_CNT: 0
; COMPUTE_PGM_RSRC3_GFX90A:ACCUM_OFFSET: 0
; COMPUTE_PGM_RSRC3_GFX90A:TG_SPLIT: 0
	.section	.text._ZN7rocprim17ROCPRIM_400000_NS6detail17trampoline_kernelINS0_14default_configENS1_27scan_by_key_config_selectorIiiEEZZNS1_16scan_by_key_implILNS1_25lookback_scan_determinismE0ELb1ES3_N6thrust23THRUST_200600_302600_NS6detail15normal_iteratorINS9_10device_ptrIiEEEESE_SE_iNS9_4plusIvEENS9_8equal_toIvEEiEE10hipError_tPvRmT2_T3_T4_T5_mT6_T7_P12ihipStream_tbENKUlT_T0_E_clISt17integral_constantIbLb0EESZ_EEDaSU_SV_EUlSU_E_NS1_11comp_targetILNS1_3genE8ELNS1_11target_archE1030ELNS1_3gpuE2ELNS1_3repE0EEENS1_30default_config_static_selectorELNS0_4arch9wavefront6targetE1EEEvT1_,"axG",@progbits,_ZN7rocprim17ROCPRIM_400000_NS6detail17trampoline_kernelINS0_14default_configENS1_27scan_by_key_config_selectorIiiEEZZNS1_16scan_by_key_implILNS1_25lookback_scan_determinismE0ELb1ES3_N6thrust23THRUST_200600_302600_NS6detail15normal_iteratorINS9_10device_ptrIiEEEESE_SE_iNS9_4plusIvEENS9_8equal_toIvEEiEE10hipError_tPvRmT2_T3_T4_T5_mT6_T7_P12ihipStream_tbENKUlT_T0_E_clISt17integral_constantIbLb0EESZ_EEDaSU_SV_EUlSU_E_NS1_11comp_targetILNS1_3genE8ELNS1_11target_archE1030ELNS1_3gpuE2ELNS1_3repE0EEENS1_30default_config_static_selectorELNS0_4arch9wavefront6targetE1EEEvT1_,comdat
	.protected	_ZN7rocprim17ROCPRIM_400000_NS6detail17trampoline_kernelINS0_14default_configENS1_27scan_by_key_config_selectorIiiEEZZNS1_16scan_by_key_implILNS1_25lookback_scan_determinismE0ELb1ES3_N6thrust23THRUST_200600_302600_NS6detail15normal_iteratorINS9_10device_ptrIiEEEESE_SE_iNS9_4plusIvEENS9_8equal_toIvEEiEE10hipError_tPvRmT2_T3_T4_T5_mT6_T7_P12ihipStream_tbENKUlT_T0_E_clISt17integral_constantIbLb0EESZ_EEDaSU_SV_EUlSU_E_NS1_11comp_targetILNS1_3genE8ELNS1_11target_archE1030ELNS1_3gpuE2ELNS1_3repE0EEENS1_30default_config_static_selectorELNS0_4arch9wavefront6targetE1EEEvT1_ ; -- Begin function _ZN7rocprim17ROCPRIM_400000_NS6detail17trampoline_kernelINS0_14default_configENS1_27scan_by_key_config_selectorIiiEEZZNS1_16scan_by_key_implILNS1_25lookback_scan_determinismE0ELb1ES3_N6thrust23THRUST_200600_302600_NS6detail15normal_iteratorINS9_10device_ptrIiEEEESE_SE_iNS9_4plusIvEENS9_8equal_toIvEEiEE10hipError_tPvRmT2_T3_T4_T5_mT6_T7_P12ihipStream_tbENKUlT_T0_E_clISt17integral_constantIbLb0EESZ_EEDaSU_SV_EUlSU_E_NS1_11comp_targetILNS1_3genE8ELNS1_11target_archE1030ELNS1_3gpuE2ELNS1_3repE0EEENS1_30default_config_static_selectorELNS0_4arch9wavefront6targetE1EEEvT1_
	.globl	_ZN7rocprim17ROCPRIM_400000_NS6detail17trampoline_kernelINS0_14default_configENS1_27scan_by_key_config_selectorIiiEEZZNS1_16scan_by_key_implILNS1_25lookback_scan_determinismE0ELb1ES3_N6thrust23THRUST_200600_302600_NS6detail15normal_iteratorINS9_10device_ptrIiEEEESE_SE_iNS9_4plusIvEENS9_8equal_toIvEEiEE10hipError_tPvRmT2_T3_T4_T5_mT6_T7_P12ihipStream_tbENKUlT_T0_E_clISt17integral_constantIbLb0EESZ_EEDaSU_SV_EUlSU_E_NS1_11comp_targetILNS1_3genE8ELNS1_11target_archE1030ELNS1_3gpuE2ELNS1_3repE0EEENS1_30default_config_static_selectorELNS0_4arch9wavefront6targetE1EEEvT1_
	.p2align	8
	.type	_ZN7rocprim17ROCPRIM_400000_NS6detail17trampoline_kernelINS0_14default_configENS1_27scan_by_key_config_selectorIiiEEZZNS1_16scan_by_key_implILNS1_25lookback_scan_determinismE0ELb1ES3_N6thrust23THRUST_200600_302600_NS6detail15normal_iteratorINS9_10device_ptrIiEEEESE_SE_iNS9_4plusIvEENS9_8equal_toIvEEiEE10hipError_tPvRmT2_T3_T4_T5_mT6_T7_P12ihipStream_tbENKUlT_T0_E_clISt17integral_constantIbLb0EESZ_EEDaSU_SV_EUlSU_E_NS1_11comp_targetILNS1_3genE8ELNS1_11target_archE1030ELNS1_3gpuE2ELNS1_3repE0EEENS1_30default_config_static_selectorELNS0_4arch9wavefront6targetE1EEEvT1_,@function
_ZN7rocprim17ROCPRIM_400000_NS6detail17trampoline_kernelINS0_14default_configENS1_27scan_by_key_config_selectorIiiEEZZNS1_16scan_by_key_implILNS1_25lookback_scan_determinismE0ELb1ES3_N6thrust23THRUST_200600_302600_NS6detail15normal_iteratorINS9_10device_ptrIiEEEESE_SE_iNS9_4plusIvEENS9_8equal_toIvEEiEE10hipError_tPvRmT2_T3_T4_T5_mT6_T7_P12ihipStream_tbENKUlT_T0_E_clISt17integral_constantIbLb0EESZ_EEDaSU_SV_EUlSU_E_NS1_11comp_targetILNS1_3genE8ELNS1_11target_archE1030ELNS1_3gpuE2ELNS1_3repE0EEENS1_30default_config_static_selectorELNS0_4arch9wavefront6targetE1EEEvT1_: ; @_ZN7rocprim17ROCPRIM_400000_NS6detail17trampoline_kernelINS0_14default_configENS1_27scan_by_key_config_selectorIiiEEZZNS1_16scan_by_key_implILNS1_25lookback_scan_determinismE0ELb1ES3_N6thrust23THRUST_200600_302600_NS6detail15normal_iteratorINS9_10device_ptrIiEEEESE_SE_iNS9_4plusIvEENS9_8equal_toIvEEiEE10hipError_tPvRmT2_T3_T4_T5_mT6_T7_P12ihipStream_tbENKUlT_T0_E_clISt17integral_constantIbLb0EESZ_EEDaSU_SV_EUlSU_E_NS1_11comp_targetILNS1_3genE8ELNS1_11target_archE1030ELNS1_3gpuE2ELNS1_3repE0EEENS1_30default_config_static_selectorELNS0_4arch9wavefront6targetE1EEEvT1_
; %bb.0:
	.section	.rodata,"a",@progbits
	.p2align	6, 0x0
	.amdhsa_kernel _ZN7rocprim17ROCPRIM_400000_NS6detail17trampoline_kernelINS0_14default_configENS1_27scan_by_key_config_selectorIiiEEZZNS1_16scan_by_key_implILNS1_25lookback_scan_determinismE0ELb1ES3_N6thrust23THRUST_200600_302600_NS6detail15normal_iteratorINS9_10device_ptrIiEEEESE_SE_iNS9_4plusIvEENS9_8equal_toIvEEiEE10hipError_tPvRmT2_T3_T4_T5_mT6_T7_P12ihipStream_tbENKUlT_T0_E_clISt17integral_constantIbLb0EESZ_EEDaSU_SV_EUlSU_E_NS1_11comp_targetILNS1_3genE8ELNS1_11target_archE1030ELNS1_3gpuE2ELNS1_3repE0EEENS1_30default_config_static_selectorELNS0_4arch9wavefront6targetE1EEEvT1_
		.amdhsa_group_segment_fixed_size 0
		.amdhsa_private_segment_fixed_size 0
		.amdhsa_kernarg_size 112
		.amdhsa_user_sgpr_count 6
		.amdhsa_user_sgpr_private_segment_buffer 1
		.amdhsa_user_sgpr_dispatch_ptr 0
		.amdhsa_user_sgpr_queue_ptr 0
		.amdhsa_user_sgpr_kernarg_segment_ptr 1
		.amdhsa_user_sgpr_dispatch_id 0
		.amdhsa_user_sgpr_flat_scratch_init 0
		.amdhsa_user_sgpr_kernarg_preload_length 0
		.amdhsa_user_sgpr_kernarg_preload_offset 0
		.amdhsa_user_sgpr_private_segment_size 0
		.amdhsa_uses_dynamic_stack 0
		.amdhsa_system_sgpr_private_segment_wavefront_offset 0
		.amdhsa_system_sgpr_workgroup_id_x 1
		.amdhsa_system_sgpr_workgroup_id_y 0
		.amdhsa_system_sgpr_workgroup_id_z 0
		.amdhsa_system_sgpr_workgroup_info 0
		.amdhsa_system_vgpr_workitem_id 0
		.amdhsa_next_free_vgpr 1
		.amdhsa_next_free_sgpr 0
		.amdhsa_accum_offset 4
		.amdhsa_reserve_vcc 0
		.amdhsa_reserve_flat_scratch 0
		.amdhsa_float_round_mode_32 0
		.amdhsa_float_round_mode_16_64 0
		.amdhsa_float_denorm_mode_32 3
		.amdhsa_float_denorm_mode_16_64 3
		.amdhsa_dx10_clamp 1
		.amdhsa_ieee_mode 1
		.amdhsa_fp16_overflow 0
		.amdhsa_tg_split 0
		.amdhsa_exception_fp_ieee_invalid_op 0
		.amdhsa_exception_fp_denorm_src 0
		.amdhsa_exception_fp_ieee_div_zero 0
		.amdhsa_exception_fp_ieee_overflow 0
		.amdhsa_exception_fp_ieee_underflow 0
		.amdhsa_exception_fp_ieee_inexact 0
		.amdhsa_exception_int_div_zero 0
	.end_amdhsa_kernel
	.section	.text._ZN7rocprim17ROCPRIM_400000_NS6detail17trampoline_kernelINS0_14default_configENS1_27scan_by_key_config_selectorIiiEEZZNS1_16scan_by_key_implILNS1_25lookback_scan_determinismE0ELb1ES3_N6thrust23THRUST_200600_302600_NS6detail15normal_iteratorINS9_10device_ptrIiEEEESE_SE_iNS9_4plusIvEENS9_8equal_toIvEEiEE10hipError_tPvRmT2_T3_T4_T5_mT6_T7_P12ihipStream_tbENKUlT_T0_E_clISt17integral_constantIbLb0EESZ_EEDaSU_SV_EUlSU_E_NS1_11comp_targetILNS1_3genE8ELNS1_11target_archE1030ELNS1_3gpuE2ELNS1_3repE0EEENS1_30default_config_static_selectorELNS0_4arch9wavefront6targetE1EEEvT1_,"axG",@progbits,_ZN7rocprim17ROCPRIM_400000_NS6detail17trampoline_kernelINS0_14default_configENS1_27scan_by_key_config_selectorIiiEEZZNS1_16scan_by_key_implILNS1_25lookback_scan_determinismE0ELb1ES3_N6thrust23THRUST_200600_302600_NS6detail15normal_iteratorINS9_10device_ptrIiEEEESE_SE_iNS9_4plusIvEENS9_8equal_toIvEEiEE10hipError_tPvRmT2_T3_T4_T5_mT6_T7_P12ihipStream_tbENKUlT_T0_E_clISt17integral_constantIbLb0EESZ_EEDaSU_SV_EUlSU_E_NS1_11comp_targetILNS1_3genE8ELNS1_11target_archE1030ELNS1_3gpuE2ELNS1_3repE0EEENS1_30default_config_static_selectorELNS0_4arch9wavefront6targetE1EEEvT1_,comdat
.Lfunc_end89:
	.size	_ZN7rocprim17ROCPRIM_400000_NS6detail17trampoline_kernelINS0_14default_configENS1_27scan_by_key_config_selectorIiiEEZZNS1_16scan_by_key_implILNS1_25lookback_scan_determinismE0ELb1ES3_N6thrust23THRUST_200600_302600_NS6detail15normal_iteratorINS9_10device_ptrIiEEEESE_SE_iNS9_4plusIvEENS9_8equal_toIvEEiEE10hipError_tPvRmT2_T3_T4_T5_mT6_T7_P12ihipStream_tbENKUlT_T0_E_clISt17integral_constantIbLb0EESZ_EEDaSU_SV_EUlSU_E_NS1_11comp_targetILNS1_3genE8ELNS1_11target_archE1030ELNS1_3gpuE2ELNS1_3repE0EEENS1_30default_config_static_selectorELNS0_4arch9wavefront6targetE1EEEvT1_, .Lfunc_end89-_ZN7rocprim17ROCPRIM_400000_NS6detail17trampoline_kernelINS0_14default_configENS1_27scan_by_key_config_selectorIiiEEZZNS1_16scan_by_key_implILNS1_25lookback_scan_determinismE0ELb1ES3_N6thrust23THRUST_200600_302600_NS6detail15normal_iteratorINS9_10device_ptrIiEEEESE_SE_iNS9_4plusIvEENS9_8equal_toIvEEiEE10hipError_tPvRmT2_T3_T4_T5_mT6_T7_P12ihipStream_tbENKUlT_T0_E_clISt17integral_constantIbLb0EESZ_EEDaSU_SV_EUlSU_E_NS1_11comp_targetILNS1_3genE8ELNS1_11target_archE1030ELNS1_3gpuE2ELNS1_3repE0EEENS1_30default_config_static_selectorELNS0_4arch9wavefront6targetE1EEEvT1_
                                        ; -- End function
	.section	.AMDGPU.csdata,"",@progbits
; Kernel info:
; codeLenInByte = 0
; NumSgprs: 4
; NumVgprs: 0
; NumAgprs: 0
; TotalNumVgprs: 0
; ScratchSize: 0
; MemoryBound: 0
; FloatMode: 240
; IeeeMode: 1
; LDSByteSize: 0 bytes/workgroup (compile time only)
; SGPRBlocks: 0
; VGPRBlocks: 0
; NumSGPRsForWavesPerEU: 4
; NumVGPRsForWavesPerEU: 1
; AccumOffset: 4
; Occupancy: 8
; WaveLimiterHint : 0
; COMPUTE_PGM_RSRC2:SCRATCH_EN: 0
; COMPUTE_PGM_RSRC2:USER_SGPR: 6
; COMPUTE_PGM_RSRC2:TRAP_HANDLER: 0
; COMPUTE_PGM_RSRC2:TGID_X_EN: 1
; COMPUTE_PGM_RSRC2:TGID_Y_EN: 0
; COMPUTE_PGM_RSRC2:TGID_Z_EN: 0
; COMPUTE_PGM_RSRC2:TIDIG_COMP_CNT: 0
; COMPUTE_PGM_RSRC3_GFX90A:ACCUM_OFFSET: 0
; COMPUTE_PGM_RSRC3_GFX90A:TG_SPLIT: 0
	.section	.text._ZN7rocprim17ROCPRIM_400000_NS6detail17trampoline_kernelINS0_14default_configENS1_27scan_by_key_config_selectorIiiEEZZNS1_16scan_by_key_implILNS1_25lookback_scan_determinismE0ELb1ES3_N6thrust23THRUST_200600_302600_NS6detail15normal_iteratorINS9_10device_ptrIiEEEESE_SE_iNS9_4plusIvEENS9_8equal_toIvEEiEE10hipError_tPvRmT2_T3_T4_T5_mT6_T7_P12ihipStream_tbENKUlT_T0_E_clISt17integral_constantIbLb1EESZ_EEDaSU_SV_EUlSU_E_NS1_11comp_targetILNS1_3genE0ELNS1_11target_archE4294967295ELNS1_3gpuE0ELNS1_3repE0EEENS1_30default_config_static_selectorELNS0_4arch9wavefront6targetE1EEEvT1_,"axG",@progbits,_ZN7rocprim17ROCPRIM_400000_NS6detail17trampoline_kernelINS0_14default_configENS1_27scan_by_key_config_selectorIiiEEZZNS1_16scan_by_key_implILNS1_25lookback_scan_determinismE0ELb1ES3_N6thrust23THRUST_200600_302600_NS6detail15normal_iteratorINS9_10device_ptrIiEEEESE_SE_iNS9_4plusIvEENS9_8equal_toIvEEiEE10hipError_tPvRmT2_T3_T4_T5_mT6_T7_P12ihipStream_tbENKUlT_T0_E_clISt17integral_constantIbLb1EESZ_EEDaSU_SV_EUlSU_E_NS1_11comp_targetILNS1_3genE0ELNS1_11target_archE4294967295ELNS1_3gpuE0ELNS1_3repE0EEENS1_30default_config_static_selectorELNS0_4arch9wavefront6targetE1EEEvT1_,comdat
	.protected	_ZN7rocprim17ROCPRIM_400000_NS6detail17trampoline_kernelINS0_14default_configENS1_27scan_by_key_config_selectorIiiEEZZNS1_16scan_by_key_implILNS1_25lookback_scan_determinismE0ELb1ES3_N6thrust23THRUST_200600_302600_NS6detail15normal_iteratorINS9_10device_ptrIiEEEESE_SE_iNS9_4plusIvEENS9_8equal_toIvEEiEE10hipError_tPvRmT2_T3_T4_T5_mT6_T7_P12ihipStream_tbENKUlT_T0_E_clISt17integral_constantIbLb1EESZ_EEDaSU_SV_EUlSU_E_NS1_11comp_targetILNS1_3genE0ELNS1_11target_archE4294967295ELNS1_3gpuE0ELNS1_3repE0EEENS1_30default_config_static_selectorELNS0_4arch9wavefront6targetE1EEEvT1_ ; -- Begin function _ZN7rocprim17ROCPRIM_400000_NS6detail17trampoline_kernelINS0_14default_configENS1_27scan_by_key_config_selectorIiiEEZZNS1_16scan_by_key_implILNS1_25lookback_scan_determinismE0ELb1ES3_N6thrust23THRUST_200600_302600_NS6detail15normal_iteratorINS9_10device_ptrIiEEEESE_SE_iNS9_4plusIvEENS9_8equal_toIvEEiEE10hipError_tPvRmT2_T3_T4_T5_mT6_T7_P12ihipStream_tbENKUlT_T0_E_clISt17integral_constantIbLb1EESZ_EEDaSU_SV_EUlSU_E_NS1_11comp_targetILNS1_3genE0ELNS1_11target_archE4294967295ELNS1_3gpuE0ELNS1_3repE0EEENS1_30default_config_static_selectorELNS0_4arch9wavefront6targetE1EEEvT1_
	.globl	_ZN7rocprim17ROCPRIM_400000_NS6detail17trampoline_kernelINS0_14default_configENS1_27scan_by_key_config_selectorIiiEEZZNS1_16scan_by_key_implILNS1_25lookback_scan_determinismE0ELb1ES3_N6thrust23THRUST_200600_302600_NS6detail15normal_iteratorINS9_10device_ptrIiEEEESE_SE_iNS9_4plusIvEENS9_8equal_toIvEEiEE10hipError_tPvRmT2_T3_T4_T5_mT6_T7_P12ihipStream_tbENKUlT_T0_E_clISt17integral_constantIbLb1EESZ_EEDaSU_SV_EUlSU_E_NS1_11comp_targetILNS1_3genE0ELNS1_11target_archE4294967295ELNS1_3gpuE0ELNS1_3repE0EEENS1_30default_config_static_selectorELNS0_4arch9wavefront6targetE1EEEvT1_
	.p2align	8
	.type	_ZN7rocprim17ROCPRIM_400000_NS6detail17trampoline_kernelINS0_14default_configENS1_27scan_by_key_config_selectorIiiEEZZNS1_16scan_by_key_implILNS1_25lookback_scan_determinismE0ELb1ES3_N6thrust23THRUST_200600_302600_NS6detail15normal_iteratorINS9_10device_ptrIiEEEESE_SE_iNS9_4plusIvEENS9_8equal_toIvEEiEE10hipError_tPvRmT2_T3_T4_T5_mT6_T7_P12ihipStream_tbENKUlT_T0_E_clISt17integral_constantIbLb1EESZ_EEDaSU_SV_EUlSU_E_NS1_11comp_targetILNS1_3genE0ELNS1_11target_archE4294967295ELNS1_3gpuE0ELNS1_3repE0EEENS1_30default_config_static_selectorELNS0_4arch9wavefront6targetE1EEEvT1_,@function
_ZN7rocprim17ROCPRIM_400000_NS6detail17trampoline_kernelINS0_14default_configENS1_27scan_by_key_config_selectorIiiEEZZNS1_16scan_by_key_implILNS1_25lookback_scan_determinismE0ELb1ES3_N6thrust23THRUST_200600_302600_NS6detail15normal_iteratorINS9_10device_ptrIiEEEESE_SE_iNS9_4plusIvEENS9_8equal_toIvEEiEE10hipError_tPvRmT2_T3_T4_T5_mT6_T7_P12ihipStream_tbENKUlT_T0_E_clISt17integral_constantIbLb1EESZ_EEDaSU_SV_EUlSU_E_NS1_11comp_targetILNS1_3genE0ELNS1_11target_archE4294967295ELNS1_3gpuE0ELNS1_3repE0EEENS1_30default_config_static_selectorELNS0_4arch9wavefront6targetE1EEEvT1_: ; @_ZN7rocprim17ROCPRIM_400000_NS6detail17trampoline_kernelINS0_14default_configENS1_27scan_by_key_config_selectorIiiEEZZNS1_16scan_by_key_implILNS1_25lookback_scan_determinismE0ELb1ES3_N6thrust23THRUST_200600_302600_NS6detail15normal_iteratorINS9_10device_ptrIiEEEESE_SE_iNS9_4plusIvEENS9_8equal_toIvEEiEE10hipError_tPvRmT2_T3_T4_T5_mT6_T7_P12ihipStream_tbENKUlT_T0_E_clISt17integral_constantIbLb1EESZ_EEDaSU_SV_EUlSU_E_NS1_11comp_targetILNS1_3genE0ELNS1_11target_archE4294967295ELNS1_3gpuE0ELNS1_3repE0EEENS1_30default_config_static_selectorELNS0_4arch9wavefront6targetE1EEEvT1_
; %bb.0:
	.section	.rodata,"a",@progbits
	.p2align	6, 0x0
	.amdhsa_kernel _ZN7rocprim17ROCPRIM_400000_NS6detail17trampoline_kernelINS0_14default_configENS1_27scan_by_key_config_selectorIiiEEZZNS1_16scan_by_key_implILNS1_25lookback_scan_determinismE0ELb1ES3_N6thrust23THRUST_200600_302600_NS6detail15normal_iteratorINS9_10device_ptrIiEEEESE_SE_iNS9_4plusIvEENS9_8equal_toIvEEiEE10hipError_tPvRmT2_T3_T4_T5_mT6_T7_P12ihipStream_tbENKUlT_T0_E_clISt17integral_constantIbLb1EESZ_EEDaSU_SV_EUlSU_E_NS1_11comp_targetILNS1_3genE0ELNS1_11target_archE4294967295ELNS1_3gpuE0ELNS1_3repE0EEENS1_30default_config_static_selectorELNS0_4arch9wavefront6targetE1EEEvT1_
		.amdhsa_group_segment_fixed_size 0
		.amdhsa_private_segment_fixed_size 0
		.amdhsa_kernarg_size 112
		.amdhsa_user_sgpr_count 6
		.amdhsa_user_sgpr_private_segment_buffer 1
		.amdhsa_user_sgpr_dispatch_ptr 0
		.amdhsa_user_sgpr_queue_ptr 0
		.amdhsa_user_sgpr_kernarg_segment_ptr 1
		.amdhsa_user_sgpr_dispatch_id 0
		.amdhsa_user_sgpr_flat_scratch_init 0
		.amdhsa_user_sgpr_kernarg_preload_length 0
		.amdhsa_user_sgpr_kernarg_preload_offset 0
		.amdhsa_user_sgpr_private_segment_size 0
		.amdhsa_uses_dynamic_stack 0
		.amdhsa_system_sgpr_private_segment_wavefront_offset 0
		.amdhsa_system_sgpr_workgroup_id_x 1
		.amdhsa_system_sgpr_workgroup_id_y 0
		.amdhsa_system_sgpr_workgroup_id_z 0
		.amdhsa_system_sgpr_workgroup_info 0
		.amdhsa_system_vgpr_workitem_id 0
		.amdhsa_next_free_vgpr 1
		.amdhsa_next_free_sgpr 0
		.amdhsa_accum_offset 4
		.amdhsa_reserve_vcc 0
		.amdhsa_reserve_flat_scratch 0
		.amdhsa_float_round_mode_32 0
		.amdhsa_float_round_mode_16_64 0
		.amdhsa_float_denorm_mode_32 3
		.amdhsa_float_denorm_mode_16_64 3
		.amdhsa_dx10_clamp 1
		.amdhsa_ieee_mode 1
		.amdhsa_fp16_overflow 0
		.amdhsa_tg_split 0
		.amdhsa_exception_fp_ieee_invalid_op 0
		.amdhsa_exception_fp_denorm_src 0
		.amdhsa_exception_fp_ieee_div_zero 0
		.amdhsa_exception_fp_ieee_overflow 0
		.amdhsa_exception_fp_ieee_underflow 0
		.amdhsa_exception_fp_ieee_inexact 0
		.amdhsa_exception_int_div_zero 0
	.end_amdhsa_kernel
	.section	.text._ZN7rocprim17ROCPRIM_400000_NS6detail17trampoline_kernelINS0_14default_configENS1_27scan_by_key_config_selectorIiiEEZZNS1_16scan_by_key_implILNS1_25lookback_scan_determinismE0ELb1ES3_N6thrust23THRUST_200600_302600_NS6detail15normal_iteratorINS9_10device_ptrIiEEEESE_SE_iNS9_4plusIvEENS9_8equal_toIvEEiEE10hipError_tPvRmT2_T3_T4_T5_mT6_T7_P12ihipStream_tbENKUlT_T0_E_clISt17integral_constantIbLb1EESZ_EEDaSU_SV_EUlSU_E_NS1_11comp_targetILNS1_3genE0ELNS1_11target_archE4294967295ELNS1_3gpuE0ELNS1_3repE0EEENS1_30default_config_static_selectorELNS0_4arch9wavefront6targetE1EEEvT1_,"axG",@progbits,_ZN7rocprim17ROCPRIM_400000_NS6detail17trampoline_kernelINS0_14default_configENS1_27scan_by_key_config_selectorIiiEEZZNS1_16scan_by_key_implILNS1_25lookback_scan_determinismE0ELb1ES3_N6thrust23THRUST_200600_302600_NS6detail15normal_iteratorINS9_10device_ptrIiEEEESE_SE_iNS9_4plusIvEENS9_8equal_toIvEEiEE10hipError_tPvRmT2_T3_T4_T5_mT6_T7_P12ihipStream_tbENKUlT_T0_E_clISt17integral_constantIbLb1EESZ_EEDaSU_SV_EUlSU_E_NS1_11comp_targetILNS1_3genE0ELNS1_11target_archE4294967295ELNS1_3gpuE0ELNS1_3repE0EEENS1_30default_config_static_selectorELNS0_4arch9wavefront6targetE1EEEvT1_,comdat
.Lfunc_end90:
	.size	_ZN7rocprim17ROCPRIM_400000_NS6detail17trampoline_kernelINS0_14default_configENS1_27scan_by_key_config_selectorIiiEEZZNS1_16scan_by_key_implILNS1_25lookback_scan_determinismE0ELb1ES3_N6thrust23THRUST_200600_302600_NS6detail15normal_iteratorINS9_10device_ptrIiEEEESE_SE_iNS9_4plusIvEENS9_8equal_toIvEEiEE10hipError_tPvRmT2_T3_T4_T5_mT6_T7_P12ihipStream_tbENKUlT_T0_E_clISt17integral_constantIbLb1EESZ_EEDaSU_SV_EUlSU_E_NS1_11comp_targetILNS1_3genE0ELNS1_11target_archE4294967295ELNS1_3gpuE0ELNS1_3repE0EEENS1_30default_config_static_selectorELNS0_4arch9wavefront6targetE1EEEvT1_, .Lfunc_end90-_ZN7rocprim17ROCPRIM_400000_NS6detail17trampoline_kernelINS0_14default_configENS1_27scan_by_key_config_selectorIiiEEZZNS1_16scan_by_key_implILNS1_25lookback_scan_determinismE0ELb1ES3_N6thrust23THRUST_200600_302600_NS6detail15normal_iteratorINS9_10device_ptrIiEEEESE_SE_iNS9_4plusIvEENS9_8equal_toIvEEiEE10hipError_tPvRmT2_T3_T4_T5_mT6_T7_P12ihipStream_tbENKUlT_T0_E_clISt17integral_constantIbLb1EESZ_EEDaSU_SV_EUlSU_E_NS1_11comp_targetILNS1_3genE0ELNS1_11target_archE4294967295ELNS1_3gpuE0ELNS1_3repE0EEENS1_30default_config_static_selectorELNS0_4arch9wavefront6targetE1EEEvT1_
                                        ; -- End function
	.section	.AMDGPU.csdata,"",@progbits
; Kernel info:
; codeLenInByte = 0
; NumSgprs: 4
; NumVgprs: 0
; NumAgprs: 0
; TotalNumVgprs: 0
; ScratchSize: 0
; MemoryBound: 0
; FloatMode: 240
; IeeeMode: 1
; LDSByteSize: 0 bytes/workgroup (compile time only)
; SGPRBlocks: 0
; VGPRBlocks: 0
; NumSGPRsForWavesPerEU: 4
; NumVGPRsForWavesPerEU: 1
; AccumOffset: 4
; Occupancy: 8
; WaveLimiterHint : 0
; COMPUTE_PGM_RSRC2:SCRATCH_EN: 0
; COMPUTE_PGM_RSRC2:USER_SGPR: 6
; COMPUTE_PGM_RSRC2:TRAP_HANDLER: 0
; COMPUTE_PGM_RSRC2:TGID_X_EN: 1
; COMPUTE_PGM_RSRC2:TGID_Y_EN: 0
; COMPUTE_PGM_RSRC2:TGID_Z_EN: 0
; COMPUTE_PGM_RSRC2:TIDIG_COMP_CNT: 0
; COMPUTE_PGM_RSRC3_GFX90A:ACCUM_OFFSET: 0
; COMPUTE_PGM_RSRC3_GFX90A:TG_SPLIT: 0
	.section	.text._ZN7rocprim17ROCPRIM_400000_NS6detail17trampoline_kernelINS0_14default_configENS1_27scan_by_key_config_selectorIiiEEZZNS1_16scan_by_key_implILNS1_25lookback_scan_determinismE0ELb1ES3_N6thrust23THRUST_200600_302600_NS6detail15normal_iteratorINS9_10device_ptrIiEEEESE_SE_iNS9_4plusIvEENS9_8equal_toIvEEiEE10hipError_tPvRmT2_T3_T4_T5_mT6_T7_P12ihipStream_tbENKUlT_T0_E_clISt17integral_constantIbLb1EESZ_EEDaSU_SV_EUlSU_E_NS1_11comp_targetILNS1_3genE10ELNS1_11target_archE1201ELNS1_3gpuE5ELNS1_3repE0EEENS1_30default_config_static_selectorELNS0_4arch9wavefront6targetE1EEEvT1_,"axG",@progbits,_ZN7rocprim17ROCPRIM_400000_NS6detail17trampoline_kernelINS0_14default_configENS1_27scan_by_key_config_selectorIiiEEZZNS1_16scan_by_key_implILNS1_25lookback_scan_determinismE0ELb1ES3_N6thrust23THRUST_200600_302600_NS6detail15normal_iteratorINS9_10device_ptrIiEEEESE_SE_iNS9_4plusIvEENS9_8equal_toIvEEiEE10hipError_tPvRmT2_T3_T4_T5_mT6_T7_P12ihipStream_tbENKUlT_T0_E_clISt17integral_constantIbLb1EESZ_EEDaSU_SV_EUlSU_E_NS1_11comp_targetILNS1_3genE10ELNS1_11target_archE1201ELNS1_3gpuE5ELNS1_3repE0EEENS1_30default_config_static_selectorELNS0_4arch9wavefront6targetE1EEEvT1_,comdat
	.protected	_ZN7rocprim17ROCPRIM_400000_NS6detail17trampoline_kernelINS0_14default_configENS1_27scan_by_key_config_selectorIiiEEZZNS1_16scan_by_key_implILNS1_25lookback_scan_determinismE0ELb1ES3_N6thrust23THRUST_200600_302600_NS6detail15normal_iteratorINS9_10device_ptrIiEEEESE_SE_iNS9_4plusIvEENS9_8equal_toIvEEiEE10hipError_tPvRmT2_T3_T4_T5_mT6_T7_P12ihipStream_tbENKUlT_T0_E_clISt17integral_constantIbLb1EESZ_EEDaSU_SV_EUlSU_E_NS1_11comp_targetILNS1_3genE10ELNS1_11target_archE1201ELNS1_3gpuE5ELNS1_3repE0EEENS1_30default_config_static_selectorELNS0_4arch9wavefront6targetE1EEEvT1_ ; -- Begin function _ZN7rocprim17ROCPRIM_400000_NS6detail17trampoline_kernelINS0_14default_configENS1_27scan_by_key_config_selectorIiiEEZZNS1_16scan_by_key_implILNS1_25lookback_scan_determinismE0ELb1ES3_N6thrust23THRUST_200600_302600_NS6detail15normal_iteratorINS9_10device_ptrIiEEEESE_SE_iNS9_4plusIvEENS9_8equal_toIvEEiEE10hipError_tPvRmT2_T3_T4_T5_mT6_T7_P12ihipStream_tbENKUlT_T0_E_clISt17integral_constantIbLb1EESZ_EEDaSU_SV_EUlSU_E_NS1_11comp_targetILNS1_3genE10ELNS1_11target_archE1201ELNS1_3gpuE5ELNS1_3repE0EEENS1_30default_config_static_selectorELNS0_4arch9wavefront6targetE1EEEvT1_
	.globl	_ZN7rocprim17ROCPRIM_400000_NS6detail17trampoline_kernelINS0_14default_configENS1_27scan_by_key_config_selectorIiiEEZZNS1_16scan_by_key_implILNS1_25lookback_scan_determinismE0ELb1ES3_N6thrust23THRUST_200600_302600_NS6detail15normal_iteratorINS9_10device_ptrIiEEEESE_SE_iNS9_4plusIvEENS9_8equal_toIvEEiEE10hipError_tPvRmT2_T3_T4_T5_mT6_T7_P12ihipStream_tbENKUlT_T0_E_clISt17integral_constantIbLb1EESZ_EEDaSU_SV_EUlSU_E_NS1_11comp_targetILNS1_3genE10ELNS1_11target_archE1201ELNS1_3gpuE5ELNS1_3repE0EEENS1_30default_config_static_selectorELNS0_4arch9wavefront6targetE1EEEvT1_
	.p2align	8
	.type	_ZN7rocprim17ROCPRIM_400000_NS6detail17trampoline_kernelINS0_14default_configENS1_27scan_by_key_config_selectorIiiEEZZNS1_16scan_by_key_implILNS1_25lookback_scan_determinismE0ELb1ES3_N6thrust23THRUST_200600_302600_NS6detail15normal_iteratorINS9_10device_ptrIiEEEESE_SE_iNS9_4plusIvEENS9_8equal_toIvEEiEE10hipError_tPvRmT2_T3_T4_T5_mT6_T7_P12ihipStream_tbENKUlT_T0_E_clISt17integral_constantIbLb1EESZ_EEDaSU_SV_EUlSU_E_NS1_11comp_targetILNS1_3genE10ELNS1_11target_archE1201ELNS1_3gpuE5ELNS1_3repE0EEENS1_30default_config_static_selectorELNS0_4arch9wavefront6targetE1EEEvT1_,@function
_ZN7rocprim17ROCPRIM_400000_NS6detail17trampoline_kernelINS0_14default_configENS1_27scan_by_key_config_selectorIiiEEZZNS1_16scan_by_key_implILNS1_25lookback_scan_determinismE0ELb1ES3_N6thrust23THRUST_200600_302600_NS6detail15normal_iteratorINS9_10device_ptrIiEEEESE_SE_iNS9_4plusIvEENS9_8equal_toIvEEiEE10hipError_tPvRmT2_T3_T4_T5_mT6_T7_P12ihipStream_tbENKUlT_T0_E_clISt17integral_constantIbLb1EESZ_EEDaSU_SV_EUlSU_E_NS1_11comp_targetILNS1_3genE10ELNS1_11target_archE1201ELNS1_3gpuE5ELNS1_3repE0EEENS1_30default_config_static_selectorELNS0_4arch9wavefront6targetE1EEEvT1_: ; @_ZN7rocprim17ROCPRIM_400000_NS6detail17trampoline_kernelINS0_14default_configENS1_27scan_by_key_config_selectorIiiEEZZNS1_16scan_by_key_implILNS1_25lookback_scan_determinismE0ELb1ES3_N6thrust23THRUST_200600_302600_NS6detail15normal_iteratorINS9_10device_ptrIiEEEESE_SE_iNS9_4plusIvEENS9_8equal_toIvEEiEE10hipError_tPvRmT2_T3_T4_T5_mT6_T7_P12ihipStream_tbENKUlT_T0_E_clISt17integral_constantIbLb1EESZ_EEDaSU_SV_EUlSU_E_NS1_11comp_targetILNS1_3genE10ELNS1_11target_archE1201ELNS1_3gpuE5ELNS1_3repE0EEENS1_30default_config_static_selectorELNS0_4arch9wavefront6targetE1EEEvT1_
; %bb.0:
	.section	.rodata,"a",@progbits
	.p2align	6, 0x0
	.amdhsa_kernel _ZN7rocprim17ROCPRIM_400000_NS6detail17trampoline_kernelINS0_14default_configENS1_27scan_by_key_config_selectorIiiEEZZNS1_16scan_by_key_implILNS1_25lookback_scan_determinismE0ELb1ES3_N6thrust23THRUST_200600_302600_NS6detail15normal_iteratorINS9_10device_ptrIiEEEESE_SE_iNS9_4plusIvEENS9_8equal_toIvEEiEE10hipError_tPvRmT2_T3_T4_T5_mT6_T7_P12ihipStream_tbENKUlT_T0_E_clISt17integral_constantIbLb1EESZ_EEDaSU_SV_EUlSU_E_NS1_11comp_targetILNS1_3genE10ELNS1_11target_archE1201ELNS1_3gpuE5ELNS1_3repE0EEENS1_30default_config_static_selectorELNS0_4arch9wavefront6targetE1EEEvT1_
		.amdhsa_group_segment_fixed_size 0
		.amdhsa_private_segment_fixed_size 0
		.amdhsa_kernarg_size 112
		.amdhsa_user_sgpr_count 6
		.amdhsa_user_sgpr_private_segment_buffer 1
		.amdhsa_user_sgpr_dispatch_ptr 0
		.amdhsa_user_sgpr_queue_ptr 0
		.amdhsa_user_sgpr_kernarg_segment_ptr 1
		.amdhsa_user_sgpr_dispatch_id 0
		.amdhsa_user_sgpr_flat_scratch_init 0
		.amdhsa_user_sgpr_kernarg_preload_length 0
		.amdhsa_user_sgpr_kernarg_preload_offset 0
		.amdhsa_user_sgpr_private_segment_size 0
		.amdhsa_uses_dynamic_stack 0
		.amdhsa_system_sgpr_private_segment_wavefront_offset 0
		.amdhsa_system_sgpr_workgroup_id_x 1
		.amdhsa_system_sgpr_workgroup_id_y 0
		.amdhsa_system_sgpr_workgroup_id_z 0
		.amdhsa_system_sgpr_workgroup_info 0
		.amdhsa_system_vgpr_workitem_id 0
		.amdhsa_next_free_vgpr 1
		.amdhsa_next_free_sgpr 0
		.amdhsa_accum_offset 4
		.amdhsa_reserve_vcc 0
		.amdhsa_reserve_flat_scratch 0
		.amdhsa_float_round_mode_32 0
		.amdhsa_float_round_mode_16_64 0
		.amdhsa_float_denorm_mode_32 3
		.amdhsa_float_denorm_mode_16_64 3
		.amdhsa_dx10_clamp 1
		.amdhsa_ieee_mode 1
		.amdhsa_fp16_overflow 0
		.amdhsa_tg_split 0
		.amdhsa_exception_fp_ieee_invalid_op 0
		.amdhsa_exception_fp_denorm_src 0
		.amdhsa_exception_fp_ieee_div_zero 0
		.amdhsa_exception_fp_ieee_overflow 0
		.amdhsa_exception_fp_ieee_underflow 0
		.amdhsa_exception_fp_ieee_inexact 0
		.amdhsa_exception_int_div_zero 0
	.end_amdhsa_kernel
	.section	.text._ZN7rocprim17ROCPRIM_400000_NS6detail17trampoline_kernelINS0_14default_configENS1_27scan_by_key_config_selectorIiiEEZZNS1_16scan_by_key_implILNS1_25lookback_scan_determinismE0ELb1ES3_N6thrust23THRUST_200600_302600_NS6detail15normal_iteratorINS9_10device_ptrIiEEEESE_SE_iNS9_4plusIvEENS9_8equal_toIvEEiEE10hipError_tPvRmT2_T3_T4_T5_mT6_T7_P12ihipStream_tbENKUlT_T0_E_clISt17integral_constantIbLb1EESZ_EEDaSU_SV_EUlSU_E_NS1_11comp_targetILNS1_3genE10ELNS1_11target_archE1201ELNS1_3gpuE5ELNS1_3repE0EEENS1_30default_config_static_selectorELNS0_4arch9wavefront6targetE1EEEvT1_,"axG",@progbits,_ZN7rocprim17ROCPRIM_400000_NS6detail17trampoline_kernelINS0_14default_configENS1_27scan_by_key_config_selectorIiiEEZZNS1_16scan_by_key_implILNS1_25lookback_scan_determinismE0ELb1ES3_N6thrust23THRUST_200600_302600_NS6detail15normal_iteratorINS9_10device_ptrIiEEEESE_SE_iNS9_4plusIvEENS9_8equal_toIvEEiEE10hipError_tPvRmT2_T3_T4_T5_mT6_T7_P12ihipStream_tbENKUlT_T0_E_clISt17integral_constantIbLb1EESZ_EEDaSU_SV_EUlSU_E_NS1_11comp_targetILNS1_3genE10ELNS1_11target_archE1201ELNS1_3gpuE5ELNS1_3repE0EEENS1_30default_config_static_selectorELNS0_4arch9wavefront6targetE1EEEvT1_,comdat
.Lfunc_end91:
	.size	_ZN7rocprim17ROCPRIM_400000_NS6detail17trampoline_kernelINS0_14default_configENS1_27scan_by_key_config_selectorIiiEEZZNS1_16scan_by_key_implILNS1_25lookback_scan_determinismE0ELb1ES3_N6thrust23THRUST_200600_302600_NS6detail15normal_iteratorINS9_10device_ptrIiEEEESE_SE_iNS9_4plusIvEENS9_8equal_toIvEEiEE10hipError_tPvRmT2_T3_T4_T5_mT6_T7_P12ihipStream_tbENKUlT_T0_E_clISt17integral_constantIbLb1EESZ_EEDaSU_SV_EUlSU_E_NS1_11comp_targetILNS1_3genE10ELNS1_11target_archE1201ELNS1_3gpuE5ELNS1_3repE0EEENS1_30default_config_static_selectorELNS0_4arch9wavefront6targetE1EEEvT1_, .Lfunc_end91-_ZN7rocprim17ROCPRIM_400000_NS6detail17trampoline_kernelINS0_14default_configENS1_27scan_by_key_config_selectorIiiEEZZNS1_16scan_by_key_implILNS1_25lookback_scan_determinismE0ELb1ES3_N6thrust23THRUST_200600_302600_NS6detail15normal_iteratorINS9_10device_ptrIiEEEESE_SE_iNS9_4plusIvEENS9_8equal_toIvEEiEE10hipError_tPvRmT2_T3_T4_T5_mT6_T7_P12ihipStream_tbENKUlT_T0_E_clISt17integral_constantIbLb1EESZ_EEDaSU_SV_EUlSU_E_NS1_11comp_targetILNS1_3genE10ELNS1_11target_archE1201ELNS1_3gpuE5ELNS1_3repE0EEENS1_30default_config_static_selectorELNS0_4arch9wavefront6targetE1EEEvT1_
                                        ; -- End function
	.section	.AMDGPU.csdata,"",@progbits
; Kernel info:
; codeLenInByte = 0
; NumSgprs: 4
; NumVgprs: 0
; NumAgprs: 0
; TotalNumVgprs: 0
; ScratchSize: 0
; MemoryBound: 0
; FloatMode: 240
; IeeeMode: 1
; LDSByteSize: 0 bytes/workgroup (compile time only)
; SGPRBlocks: 0
; VGPRBlocks: 0
; NumSGPRsForWavesPerEU: 4
; NumVGPRsForWavesPerEU: 1
; AccumOffset: 4
; Occupancy: 8
; WaveLimiterHint : 0
; COMPUTE_PGM_RSRC2:SCRATCH_EN: 0
; COMPUTE_PGM_RSRC2:USER_SGPR: 6
; COMPUTE_PGM_RSRC2:TRAP_HANDLER: 0
; COMPUTE_PGM_RSRC2:TGID_X_EN: 1
; COMPUTE_PGM_RSRC2:TGID_Y_EN: 0
; COMPUTE_PGM_RSRC2:TGID_Z_EN: 0
; COMPUTE_PGM_RSRC2:TIDIG_COMP_CNT: 0
; COMPUTE_PGM_RSRC3_GFX90A:ACCUM_OFFSET: 0
; COMPUTE_PGM_RSRC3_GFX90A:TG_SPLIT: 0
	.section	.text._ZN7rocprim17ROCPRIM_400000_NS6detail17trampoline_kernelINS0_14default_configENS1_27scan_by_key_config_selectorIiiEEZZNS1_16scan_by_key_implILNS1_25lookback_scan_determinismE0ELb1ES3_N6thrust23THRUST_200600_302600_NS6detail15normal_iteratorINS9_10device_ptrIiEEEESE_SE_iNS9_4plusIvEENS9_8equal_toIvEEiEE10hipError_tPvRmT2_T3_T4_T5_mT6_T7_P12ihipStream_tbENKUlT_T0_E_clISt17integral_constantIbLb1EESZ_EEDaSU_SV_EUlSU_E_NS1_11comp_targetILNS1_3genE5ELNS1_11target_archE942ELNS1_3gpuE9ELNS1_3repE0EEENS1_30default_config_static_selectorELNS0_4arch9wavefront6targetE1EEEvT1_,"axG",@progbits,_ZN7rocprim17ROCPRIM_400000_NS6detail17trampoline_kernelINS0_14default_configENS1_27scan_by_key_config_selectorIiiEEZZNS1_16scan_by_key_implILNS1_25lookback_scan_determinismE0ELb1ES3_N6thrust23THRUST_200600_302600_NS6detail15normal_iteratorINS9_10device_ptrIiEEEESE_SE_iNS9_4plusIvEENS9_8equal_toIvEEiEE10hipError_tPvRmT2_T3_T4_T5_mT6_T7_P12ihipStream_tbENKUlT_T0_E_clISt17integral_constantIbLb1EESZ_EEDaSU_SV_EUlSU_E_NS1_11comp_targetILNS1_3genE5ELNS1_11target_archE942ELNS1_3gpuE9ELNS1_3repE0EEENS1_30default_config_static_selectorELNS0_4arch9wavefront6targetE1EEEvT1_,comdat
	.protected	_ZN7rocprim17ROCPRIM_400000_NS6detail17trampoline_kernelINS0_14default_configENS1_27scan_by_key_config_selectorIiiEEZZNS1_16scan_by_key_implILNS1_25lookback_scan_determinismE0ELb1ES3_N6thrust23THRUST_200600_302600_NS6detail15normal_iteratorINS9_10device_ptrIiEEEESE_SE_iNS9_4plusIvEENS9_8equal_toIvEEiEE10hipError_tPvRmT2_T3_T4_T5_mT6_T7_P12ihipStream_tbENKUlT_T0_E_clISt17integral_constantIbLb1EESZ_EEDaSU_SV_EUlSU_E_NS1_11comp_targetILNS1_3genE5ELNS1_11target_archE942ELNS1_3gpuE9ELNS1_3repE0EEENS1_30default_config_static_selectorELNS0_4arch9wavefront6targetE1EEEvT1_ ; -- Begin function _ZN7rocprim17ROCPRIM_400000_NS6detail17trampoline_kernelINS0_14default_configENS1_27scan_by_key_config_selectorIiiEEZZNS1_16scan_by_key_implILNS1_25lookback_scan_determinismE0ELb1ES3_N6thrust23THRUST_200600_302600_NS6detail15normal_iteratorINS9_10device_ptrIiEEEESE_SE_iNS9_4plusIvEENS9_8equal_toIvEEiEE10hipError_tPvRmT2_T3_T4_T5_mT6_T7_P12ihipStream_tbENKUlT_T0_E_clISt17integral_constantIbLb1EESZ_EEDaSU_SV_EUlSU_E_NS1_11comp_targetILNS1_3genE5ELNS1_11target_archE942ELNS1_3gpuE9ELNS1_3repE0EEENS1_30default_config_static_selectorELNS0_4arch9wavefront6targetE1EEEvT1_
	.globl	_ZN7rocprim17ROCPRIM_400000_NS6detail17trampoline_kernelINS0_14default_configENS1_27scan_by_key_config_selectorIiiEEZZNS1_16scan_by_key_implILNS1_25lookback_scan_determinismE0ELb1ES3_N6thrust23THRUST_200600_302600_NS6detail15normal_iteratorINS9_10device_ptrIiEEEESE_SE_iNS9_4plusIvEENS9_8equal_toIvEEiEE10hipError_tPvRmT2_T3_T4_T5_mT6_T7_P12ihipStream_tbENKUlT_T0_E_clISt17integral_constantIbLb1EESZ_EEDaSU_SV_EUlSU_E_NS1_11comp_targetILNS1_3genE5ELNS1_11target_archE942ELNS1_3gpuE9ELNS1_3repE0EEENS1_30default_config_static_selectorELNS0_4arch9wavefront6targetE1EEEvT1_
	.p2align	8
	.type	_ZN7rocprim17ROCPRIM_400000_NS6detail17trampoline_kernelINS0_14default_configENS1_27scan_by_key_config_selectorIiiEEZZNS1_16scan_by_key_implILNS1_25lookback_scan_determinismE0ELb1ES3_N6thrust23THRUST_200600_302600_NS6detail15normal_iteratorINS9_10device_ptrIiEEEESE_SE_iNS9_4plusIvEENS9_8equal_toIvEEiEE10hipError_tPvRmT2_T3_T4_T5_mT6_T7_P12ihipStream_tbENKUlT_T0_E_clISt17integral_constantIbLb1EESZ_EEDaSU_SV_EUlSU_E_NS1_11comp_targetILNS1_3genE5ELNS1_11target_archE942ELNS1_3gpuE9ELNS1_3repE0EEENS1_30default_config_static_selectorELNS0_4arch9wavefront6targetE1EEEvT1_,@function
_ZN7rocprim17ROCPRIM_400000_NS6detail17trampoline_kernelINS0_14default_configENS1_27scan_by_key_config_selectorIiiEEZZNS1_16scan_by_key_implILNS1_25lookback_scan_determinismE0ELb1ES3_N6thrust23THRUST_200600_302600_NS6detail15normal_iteratorINS9_10device_ptrIiEEEESE_SE_iNS9_4plusIvEENS9_8equal_toIvEEiEE10hipError_tPvRmT2_T3_T4_T5_mT6_T7_P12ihipStream_tbENKUlT_T0_E_clISt17integral_constantIbLb1EESZ_EEDaSU_SV_EUlSU_E_NS1_11comp_targetILNS1_3genE5ELNS1_11target_archE942ELNS1_3gpuE9ELNS1_3repE0EEENS1_30default_config_static_selectorELNS0_4arch9wavefront6targetE1EEEvT1_: ; @_ZN7rocprim17ROCPRIM_400000_NS6detail17trampoline_kernelINS0_14default_configENS1_27scan_by_key_config_selectorIiiEEZZNS1_16scan_by_key_implILNS1_25lookback_scan_determinismE0ELb1ES3_N6thrust23THRUST_200600_302600_NS6detail15normal_iteratorINS9_10device_ptrIiEEEESE_SE_iNS9_4plusIvEENS9_8equal_toIvEEiEE10hipError_tPvRmT2_T3_T4_T5_mT6_T7_P12ihipStream_tbENKUlT_T0_E_clISt17integral_constantIbLb1EESZ_EEDaSU_SV_EUlSU_E_NS1_11comp_targetILNS1_3genE5ELNS1_11target_archE942ELNS1_3gpuE9ELNS1_3repE0EEENS1_30default_config_static_selectorELNS0_4arch9wavefront6targetE1EEEvT1_
; %bb.0:
	.section	.rodata,"a",@progbits
	.p2align	6, 0x0
	.amdhsa_kernel _ZN7rocprim17ROCPRIM_400000_NS6detail17trampoline_kernelINS0_14default_configENS1_27scan_by_key_config_selectorIiiEEZZNS1_16scan_by_key_implILNS1_25lookback_scan_determinismE0ELb1ES3_N6thrust23THRUST_200600_302600_NS6detail15normal_iteratorINS9_10device_ptrIiEEEESE_SE_iNS9_4plusIvEENS9_8equal_toIvEEiEE10hipError_tPvRmT2_T3_T4_T5_mT6_T7_P12ihipStream_tbENKUlT_T0_E_clISt17integral_constantIbLb1EESZ_EEDaSU_SV_EUlSU_E_NS1_11comp_targetILNS1_3genE5ELNS1_11target_archE942ELNS1_3gpuE9ELNS1_3repE0EEENS1_30default_config_static_selectorELNS0_4arch9wavefront6targetE1EEEvT1_
		.amdhsa_group_segment_fixed_size 0
		.amdhsa_private_segment_fixed_size 0
		.amdhsa_kernarg_size 112
		.amdhsa_user_sgpr_count 6
		.amdhsa_user_sgpr_private_segment_buffer 1
		.amdhsa_user_sgpr_dispatch_ptr 0
		.amdhsa_user_sgpr_queue_ptr 0
		.amdhsa_user_sgpr_kernarg_segment_ptr 1
		.amdhsa_user_sgpr_dispatch_id 0
		.amdhsa_user_sgpr_flat_scratch_init 0
		.amdhsa_user_sgpr_kernarg_preload_length 0
		.amdhsa_user_sgpr_kernarg_preload_offset 0
		.amdhsa_user_sgpr_private_segment_size 0
		.amdhsa_uses_dynamic_stack 0
		.amdhsa_system_sgpr_private_segment_wavefront_offset 0
		.amdhsa_system_sgpr_workgroup_id_x 1
		.amdhsa_system_sgpr_workgroup_id_y 0
		.amdhsa_system_sgpr_workgroup_id_z 0
		.amdhsa_system_sgpr_workgroup_info 0
		.amdhsa_system_vgpr_workitem_id 0
		.amdhsa_next_free_vgpr 1
		.amdhsa_next_free_sgpr 0
		.amdhsa_accum_offset 4
		.amdhsa_reserve_vcc 0
		.amdhsa_reserve_flat_scratch 0
		.amdhsa_float_round_mode_32 0
		.amdhsa_float_round_mode_16_64 0
		.amdhsa_float_denorm_mode_32 3
		.amdhsa_float_denorm_mode_16_64 3
		.amdhsa_dx10_clamp 1
		.amdhsa_ieee_mode 1
		.amdhsa_fp16_overflow 0
		.amdhsa_tg_split 0
		.amdhsa_exception_fp_ieee_invalid_op 0
		.amdhsa_exception_fp_denorm_src 0
		.amdhsa_exception_fp_ieee_div_zero 0
		.amdhsa_exception_fp_ieee_overflow 0
		.amdhsa_exception_fp_ieee_underflow 0
		.amdhsa_exception_fp_ieee_inexact 0
		.amdhsa_exception_int_div_zero 0
	.end_amdhsa_kernel
	.section	.text._ZN7rocprim17ROCPRIM_400000_NS6detail17trampoline_kernelINS0_14default_configENS1_27scan_by_key_config_selectorIiiEEZZNS1_16scan_by_key_implILNS1_25lookback_scan_determinismE0ELb1ES3_N6thrust23THRUST_200600_302600_NS6detail15normal_iteratorINS9_10device_ptrIiEEEESE_SE_iNS9_4plusIvEENS9_8equal_toIvEEiEE10hipError_tPvRmT2_T3_T4_T5_mT6_T7_P12ihipStream_tbENKUlT_T0_E_clISt17integral_constantIbLb1EESZ_EEDaSU_SV_EUlSU_E_NS1_11comp_targetILNS1_3genE5ELNS1_11target_archE942ELNS1_3gpuE9ELNS1_3repE0EEENS1_30default_config_static_selectorELNS0_4arch9wavefront6targetE1EEEvT1_,"axG",@progbits,_ZN7rocprim17ROCPRIM_400000_NS6detail17trampoline_kernelINS0_14default_configENS1_27scan_by_key_config_selectorIiiEEZZNS1_16scan_by_key_implILNS1_25lookback_scan_determinismE0ELb1ES3_N6thrust23THRUST_200600_302600_NS6detail15normal_iteratorINS9_10device_ptrIiEEEESE_SE_iNS9_4plusIvEENS9_8equal_toIvEEiEE10hipError_tPvRmT2_T3_T4_T5_mT6_T7_P12ihipStream_tbENKUlT_T0_E_clISt17integral_constantIbLb1EESZ_EEDaSU_SV_EUlSU_E_NS1_11comp_targetILNS1_3genE5ELNS1_11target_archE942ELNS1_3gpuE9ELNS1_3repE0EEENS1_30default_config_static_selectorELNS0_4arch9wavefront6targetE1EEEvT1_,comdat
.Lfunc_end92:
	.size	_ZN7rocprim17ROCPRIM_400000_NS6detail17trampoline_kernelINS0_14default_configENS1_27scan_by_key_config_selectorIiiEEZZNS1_16scan_by_key_implILNS1_25lookback_scan_determinismE0ELb1ES3_N6thrust23THRUST_200600_302600_NS6detail15normal_iteratorINS9_10device_ptrIiEEEESE_SE_iNS9_4plusIvEENS9_8equal_toIvEEiEE10hipError_tPvRmT2_T3_T4_T5_mT6_T7_P12ihipStream_tbENKUlT_T0_E_clISt17integral_constantIbLb1EESZ_EEDaSU_SV_EUlSU_E_NS1_11comp_targetILNS1_3genE5ELNS1_11target_archE942ELNS1_3gpuE9ELNS1_3repE0EEENS1_30default_config_static_selectorELNS0_4arch9wavefront6targetE1EEEvT1_, .Lfunc_end92-_ZN7rocprim17ROCPRIM_400000_NS6detail17trampoline_kernelINS0_14default_configENS1_27scan_by_key_config_selectorIiiEEZZNS1_16scan_by_key_implILNS1_25lookback_scan_determinismE0ELb1ES3_N6thrust23THRUST_200600_302600_NS6detail15normal_iteratorINS9_10device_ptrIiEEEESE_SE_iNS9_4plusIvEENS9_8equal_toIvEEiEE10hipError_tPvRmT2_T3_T4_T5_mT6_T7_P12ihipStream_tbENKUlT_T0_E_clISt17integral_constantIbLb1EESZ_EEDaSU_SV_EUlSU_E_NS1_11comp_targetILNS1_3genE5ELNS1_11target_archE942ELNS1_3gpuE9ELNS1_3repE0EEENS1_30default_config_static_selectorELNS0_4arch9wavefront6targetE1EEEvT1_
                                        ; -- End function
	.section	.AMDGPU.csdata,"",@progbits
; Kernel info:
; codeLenInByte = 0
; NumSgprs: 4
; NumVgprs: 0
; NumAgprs: 0
; TotalNumVgprs: 0
; ScratchSize: 0
; MemoryBound: 0
; FloatMode: 240
; IeeeMode: 1
; LDSByteSize: 0 bytes/workgroup (compile time only)
; SGPRBlocks: 0
; VGPRBlocks: 0
; NumSGPRsForWavesPerEU: 4
; NumVGPRsForWavesPerEU: 1
; AccumOffset: 4
; Occupancy: 8
; WaveLimiterHint : 0
; COMPUTE_PGM_RSRC2:SCRATCH_EN: 0
; COMPUTE_PGM_RSRC2:USER_SGPR: 6
; COMPUTE_PGM_RSRC2:TRAP_HANDLER: 0
; COMPUTE_PGM_RSRC2:TGID_X_EN: 1
; COMPUTE_PGM_RSRC2:TGID_Y_EN: 0
; COMPUTE_PGM_RSRC2:TGID_Z_EN: 0
; COMPUTE_PGM_RSRC2:TIDIG_COMP_CNT: 0
; COMPUTE_PGM_RSRC3_GFX90A:ACCUM_OFFSET: 0
; COMPUTE_PGM_RSRC3_GFX90A:TG_SPLIT: 0
	.section	.text._ZN7rocprim17ROCPRIM_400000_NS6detail17trampoline_kernelINS0_14default_configENS1_27scan_by_key_config_selectorIiiEEZZNS1_16scan_by_key_implILNS1_25lookback_scan_determinismE0ELb1ES3_N6thrust23THRUST_200600_302600_NS6detail15normal_iteratorINS9_10device_ptrIiEEEESE_SE_iNS9_4plusIvEENS9_8equal_toIvEEiEE10hipError_tPvRmT2_T3_T4_T5_mT6_T7_P12ihipStream_tbENKUlT_T0_E_clISt17integral_constantIbLb1EESZ_EEDaSU_SV_EUlSU_E_NS1_11comp_targetILNS1_3genE4ELNS1_11target_archE910ELNS1_3gpuE8ELNS1_3repE0EEENS1_30default_config_static_selectorELNS0_4arch9wavefront6targetE1EEEvT1_,"axG",@progbits,_ZN7rocprim17ROCPRIM_400000_NS6detail17trampoline_kernelINS0_14default_configENS1_27scan_by_key_config_selectorIiiEEZZNS1_16scan_by_key_implILNS1_25lookback_scan_determinismE0ELb1ES3_N6thrust23THRUST_200600_302600_NS6detail15normal_iteratorINS9_10device_ptrIiEEEESE_SE_iNS9_4plusIvEENS9_8equal_toIvEEiEE10hipError_tPvRmT2_T3_T4_T5_mT6_T7_P12ihipStream_tbENKUlT_T0_E_clISt17integral_constantIbLb1EESZ_EEDaSU_SV_EUlSU_E_NS1_11comp_targetILNS1_3genE4ELNS1_11target_archE910ELNS1_3gpuE8ELNS1_3repE0EEENS1_30default_config_static_selectorELNS0_4arch9wavefront6targetE1EEEvT1_,comdat
	.protected	_ZN7rocprim17ROCPRIM_400000_NS6detail17trampoline_kernelINS0_14default_configENS1_27scan_by_key_config_selectorIiiEEZZNS1_16scan_by_key_implILNS1_25lookback_scan_determinismE0ELb1ES3_N6thrust23THRUST_200600_302600_NS6detail15normal_iteratorINS9_10device_ptrIiEEEESE_SE_iNS9_4plusIvEENS9_8equal_toIvEEiEE10hipError_tPvRmT2_T3_T4_T5_mT6_T7_P12ihipStream_tbENKUlT_T0_E_clISt17integral_constantIbLb1EESZ_EEDaSU_SV_EUlSU_E_NS1_11comp_targetILNS1_3genE4ELNS1_11target_archE910ELNS1_3gpuE8ELNS1_3repE0EEENS1_30default_config_static_selectorELNS0_4arch9wavefront6targetE1EEEvT1_ ; -- Begin function _ZN7rocprim17ROCPRIM_400000_NS6detail17trampoline_kernelINS0_14default_configENS1_27scan_by_key_config_selectorIiiEEZZNS1_16scan_by_key_implILNS1_25lookback_scan_determinismE0ELb1ES3_N6thrust23THRUST_200600_302600_NS6detail15normal_iteratorINS9_10device_ptrIiEEEESE_SE_iNS9_4plusIvEENS9_8equal_toIvEEiEE10hipError_tPvRmT2_T3_T4_T5_mT6_T7_P12ihipStream_tbENKUlT_T0_E_clISt17integral_constantIbLb1EESZ_EEDaSU_SV_EUlSU_E_NS1_11comp_targetILNS1_3genE4ELNS1_11target_archE910ELNS1_3gpuE8ELNS1_3repE0EEENS1_30default_config_static_selectorELNS0_4arch9wavefront6targetE1EEEvT1_
	.globl	_ZN7rocprim17ROCPRIM_400000_NS6detail17trampoline_kernelINS0_14default_configENS1_27scan_by_key_config_selectorIiiEEZZNS1_16scan_by_key_implILNS1_25lookback_scan_determinismE0ELb1ES3_N6thrust23THRUST_200600_302600_NS6detail15normal_iteratorINS9_10device_ptrIiEEEESE_SE_iNS9_4plusIvEENS9_8equal_toIvEEiEE10hipError_tPvRmT2_T3_T4_T5_mT6_T7_P12ihipStream_tbENKUlT_T0_E_clISt17integral_constantIbLb1EESZ_EEDaSU_SV_EUlSU_E_NS1_11comp_targetILNS1_3genE4ELNS1_11target_archE910ELNS1_3gpuE8ELNS1_3repE0EEENS1_30default_config_static_selectorELNS0_4arch9wavefront6targetE1EEEvT1_
	.p2align	8
	.type	_ZN7rocprim17ROCPRIM_400000_NS6detail17trampoline_kernelINS0_14default_configENS1_27scan_by_key_config_selectorIiiEEZZNS1_16scan_by_key_implILNS1_25lookback_scan_determinismE0ELb1ES3_N6thrust23THRUST_200600_302600_NS6detail15normal_iteratorINS9_10device_ptrIiEEEESE_SE_iNS9_4plusIvEENS9_8equal_toIvEEiEE10hipError_tPvRmT2_T3_T4_T5_mT6_T7_P12ihipStream_tbENKUlT_T0_E_clISt17integral_constantIbLb1EESZ_EEDaSU_SV_EUlSU_E_NS1_11comp_targetILNS1_3genE4ELNS1_11target_archE910ELNS1_3gpuE8ELNS1_3repE0EEENS1_30default_config_static_selectorELNS0_4arch9wavefront6targetE1EEEvT1_,@function
_ZN7rocprim17ROCPRIM_400000_NS6detail17trampoline_kernelINS0_14default_configENS1_27scan_by_key_config_selectorIiiEEZZNS1_16scan_by_key_implILNS1_25lookback_scan_determinismE0ELb1ES3_N6thrust23THRUST_200600_302600_NS6detail15normal_iteratorINS9_10device_ptrIiEEEESE_SE_iNS9_4plusIvEENS9_8equal_toIvEEiEE10hipError_tPvRmT2_T3_T4_T5_mT6_T7_P12ihipStream_tbENKUlT_T0_E_clISt17integral_constantIbLb1EESZ_EEDaSU_SV_EUlSU_E_NS1_11comp_targetILNS1_3genE4ELNS1_11target_archE910ELNS1_3gpuE8ELNS1_3repE0EEENS1_30default_config_static_selectorELNS0_4arch9wavefront6targetE1EEEvT1_: ; @_ZN7rocprim17ROCPRIM_400000_NS6detail17trampoline_kernelINS0_14default_configENS1_27scan_by_key_config_selectorIiiEEZZNS1_16scan_by_key_implILNS1_25lookback_scan_determinismE0ELb1ES3_N6thrust23THRUST_200600_302600_NS6detail15normal_iteratorINS9_10device_ptrIiEEEESE_SE_iNS9_4plusIvEENS9_8equal_toIvEEiEE10hipError_tPvRmT2_T3_T4_T5_mT6_T7_P12ihipStream_tbENKUlT_T0_E_clISt17integral_constantIbLb1EESZ_EEDaSU_SV_EUlSU_E_NS1_11comp_targetILNS1_3genE4ELNS1_11target_archE910ELNS1_3gpuE8ELNS1_3repE0EEENS1_30default_config_static_selectorELNS0_4arch9wavefront6targetE1EEEvT1_
; %bb.0:
	s_load_dword s54, s[4:5], 0x20
	s_load_dwordx4 s[44:47], s[4:5], 0x28
	s_load_dwordx2 s[52:53], s[4:5], 0x38
	v_cmp_eq_u32_e64 s[0:1], 0, v0
	s_and_saveexec_b64 s[2:3], s[0:1]
	s_cbranch_execz .LBB93_4
; %bb.1:
	s_mov_b64 s[8:9], exec
	v_mbcnt_lo_u32_b32 v1, s8, 0
	v_mbcnt_hi_u32_b32 v1, s9, v1
	v_cmp_eq_u32_e32 vcc, 0, v1
                                        ; implicit-def: $vgpr2
	s_and_saveexec_b64 s[6:7], vcc
	s_cbranch_execz .LBB93_3
; %bb.2:
	s_load_dwordx2 s[10:11], s[4:5], 0x68
	s_bcnt1_i32_b64 s8, s[8:9]
	v_mov_b32_e32 v2, 0
	v_mov_b32_e32 v3, s8
	s_waitcnt lgkmcnt(0)
	global_atomic_add v2, v2, v3, s[10:11] glc
.LBB93_3:
	s_or_b64 exec, exec, s[6:7]
	s_waitcnt vmcnt(0)
	v_readfirstlane_b32 s6, v2
	v_add_u32_e32 v1, s6, v1
	v_mov_b32_e32 v2, 0
	ds_write_b32 v2, v1
.LBB93_4:
	s_or_b64 exec, exec, s[2:3]
	s_load_dwordx8 s[36:43], s[4:5], 0x0
	s_load_dword s2, s[4:5], 0x40
	s_load_dwordx4 s[48:51], s[4:5], 0x48
	v_mov_b32_e32 v3, 0
	s_waitcnt lgkmcnt(0)
	s_lshl_b64 s[34:35], s[38:39], 2
	s_barrier
	ds_read_b32 v4, v3
	s_add_u32 s3, s36, s34
	s_addc_u32 s4, s37, s35
	s_add_u32 s5, s40, s34
	s_mul_i32 s7, s53, s2
	s_mul_hi_u32 s8, s52, s2
	s_addc_u32 s6, s41, s35
	s_add_i32 s7, s8, s7
	s_movk_i32 s8, 0xe00
	s_waitcnt lgkmcnt(0)
	v_mul_lo_u32 v2, v4, s8
	v_lshlrev_b64 v[38:39], 2, v[2:3]
	v_mov_b32_e32 v1, s4
	v_add_co_u32_e32 v42, vcc, s3, v38
	v_addc_co_u32_e32 v43, vcc, v1, v39, vcc
	v_mov_b32_e32 v2, s6
	v_add_co_u32_e32 v1, vcc, s5, v38
	s_mul_i32 s2, s52, s2
	v_addc_co_u32_e32 v48, vcc, v2, v39, vcc
	v_mov_b32_e32 v3, s7
	v_add_co_u32_e32 v2, vcc, s2, v4
	s_add_u32 s4, s48, -1
	v_addc_co_u32_e32 v3, vcc, 0, v3, vcc
	s_addc_u32 s5, s49, -1
	v_cmp_le_u64_e64 s[2:3], s[4:5], v[2:3]
	v_readfirstlane_b32 s47, v4
	s_mov_b64 s[12:13], -1
	s_and_b64 vcc, exec, s[2:3]
	s_mul_i32 s33, s4, 0xfffff200
	s_barrier
	s_barrier
	s_cbranch_vccz .LBB93_80
; %bb.5:
	flat_load_dword v13, v[42:43]
	s_add_i32 s40, s33, s46
	v_cmp_gt_u32_e32 vcc, s40, v0
	s_waitcnt vmcnt(0) lgkmcnt(0)
	v_mov_b32_e32 v14, v13
	s_and_saveexec_b64 s[6:7], vcc
	s_cbranch_execz .LBB93_7
; %bb.6:
	v_lshlrev_b32_e32 v2, 2, v0
	v_add_co_u32_e64 v2, s[4:5], v42, v2
	v_addc_co_u32_e64 v3, s[4:5], 0, v43, s[4:5]
	flat_load_dword v14, v[2:3]
.LBB93_7:
	s_or_b64 exec, exec, s[6:7]
	v_or_b32_e32 v2, 0x100, v0
	v_cmp_gt_u32_e64 s[4:5], s40, v2
	v_mov_b32_e32 v15, v13
	s_and_saveexec_b64 s[8:9], s[4:5]
	s_cbranch_execz .LBB93_9
; %bb.8:
	v_lshlrev_b32_e32 v2, 2, v0
	v_add_co_u32_e64 v2, s[6:7], v42, v2
	v_addc_co_u32_e64 v3, s[6:7], 0, v43, s[6:7]
	flat_load_dword v15, v[2:3] offset:1024
.LBB93_9:
	s_or_b64 exec, exec, s[8:9]
	v_or_b32_e32 v2, 0x200, v0
	v_cmp_gt_u32_e64 s[6:7], s40, v2
	v_mov_b32_e32 v16, v13
	s_and_saveexec_b64 s[10:11], s[6:7]
	s_cbranch_execz .LBB93_11
; %bb.10:
	v_lshlrev_b32_e32 v2, 2, v0
	v_add_co_u32_e64 v2, s[8:9], v42, v2
	v_addc_co_u32_e64 v3, s[8:9], 0, v43, s[8:9]
	flat_load_dword v16, v[2:3] offset:2048
.LBB93_11:
	;; [unrolled: 12-line block ×3, first 2 shown]
	s_or_b64 exec, exec, s[12:13]
	v_or_b32_e32 v2, 0x400, v0
	v_cmp_gt_u32_e64 s[10:11], s40, v2
	v_mov_b32_e32 v18, v13
	s_and_saveexec_b64 s[14:15], s[10:11]
	s_cbranch_execz .LBB93_15
; %bb.14:
	v_lshlrev_b32_e32 v3, 2, v2
	v_add_co_u32_e64 v4, s[12:13], v42, v3
	v_addc_co_u32_e64 v5, s[12:13], 0, v43, s[12:13]
	flat_load_dword v18, v[4:5]
.LBB93_15:
	s_or_b64 exec, exec, s[14:15]
	v_or_b32_e32 v3, 0x500, v0
	v_cmp_gt_u32_e64 s[12:13], s40, v3
	v_mov_b32_e32 v19, v13
	s_and_saveexec_b64 s[16:17], s[12:13]
	s_cbranch_execz .LBB93_17
; %bb.16:
	v_lshlrev_b32_e32 v4, 2, v3
	v_add_co_u32_e64 v4, s[14:15], v42, v4
	v_addc_co_u32_e64 v5, s[14:15], 0, v43, s[14:15]
	flat_load_dword v19, v[4:5]
.LBB93_17:
	;; [unrolled: 12-line block ×9, first 2 shown]
	s_or_b64 exec, exec, s[30:31]
	v_or_b32_e32 v11, 0xd00, v0
	v_cmp_gt_u32_e64 s[28:29], s40, v11
	s_and_saveexec_b64 s[36:37], s[28:29]
	s_cbranch_execz .LBB93_33
; %bb.32:
	v_lshlrev_b32_e32 v12, 2, v11
	v_add_co_u32_e64 v12, s[30:31], v42, v12
	v_addc_co_u32_e64 v13, s[30:31], 0, v43, s[30:31]
	flat_load_dword v13, v[12:13]
.LBB93_33:
	s_or_b64 exec, exec, s[36:37]
	v_lshlrev_b32_e32 v12, 2, v0
	s_waitcnt vmcnt(0) lgkmcnt(0)
	ds_write2st64_b32 v12, v14, v15 offset1:4
	ds_write2st64_b32 v12, v16, v17 offset0:8 offset1:12
	ds_write2st64_b32 v12, v18, v19 offset0:16 offset1:20
	;; [unrolled: 1-line block ×6, first 2 shown]
	s_waitcnt lgkmcnt(0)
	s_barrier
	flat_load_dword v49, v[42:43]
	v_mad_u32_u24 v50, v0, 52, v12
	s_movk_i32 s30, 0xffcc
	ds_read2_b64 v[34:37], v50 offset1:1
	ds_read2_b64 v[30:33], v50 offset0:2 offset1:3
	ds_read2_b64 v[26:29], v50 offset0:4 offset1:5
	ds_read_b64 v[44:45], v50 offset:48
	v_mad_i32_i24 v13, v0, s30, v50
	s_movk_i32 s30, 0xff
	v_cmp_ne_u32_e64 s[30:31], s30, v0
	s_waitcnt lgkmcnt(0)
	ds_write_b32 v13, v34 offset:15360
	s_waitcnt lgkmcnt(0)
	s_barrier
	s_and_saveexec_b64 s[36:37], s[30:31]
	s_cbranch_execz .LBB93_35
; %bb.34:
	s_waitcnt vmcnt(0)
	ds_read_b32 v49, v12 offset:15364
.LBB93_35:
	s_or_b64 exec, exec, s[36:37]
	s_waitcnt lgkmcnt(0)
	s_barrier
	s_waitcnt lgkmcnt(0)
                                        ; implicit-def: $vgpr13
	s_and_saveexec_b64 s[30:31], vcc
	s_cbranch_execz .LBB93_121
; %bb.36:
	v_add_co_u32_e32 v14, vcc, v1, v12
	v_addc_co_u32_e32 v15, vcc, 0, v48, vcc
	flat_load_dword v13, v[14:15]
	s_or_b64 exec, exec, s[30:31]
                                        ; implicit-def: $vgpr14
	s_and_saveexec_b64 s[30:31], s[4:5]
	s_cbranch_execnz .LBB93_122
.LBB93_37:
	s_or_b64 exec, exec, s[30:31]
                                        ; implicit-def: $vgpr15
	s_and_saveexec_b64 s[4:5], s[6:7]
	s_cbranch_execz .LBB93_123
.LBB93_38:
	v_add_co_u32_e32 v16, vcc, v1, v12
	v_addc_co_u32_e32 v17, vcc, 0, v48, vcc
	flat_load_dword v15, v[16:17] offset:2048
	s_or_b64 exec, exec, s[4:5]
                                        ; implicit-def: $vgpr16
	s_and_saveexec_b64 s[4:5], s[8:9]
	s_cbranch_execnz .LBB93_124
.LBB93_39:
	s_or_b64 exec, exec, s[4:5]
                                        ; implicit-def: $vgpr17
	s_and_saveexec_b64 s[4:5], s[10:11]
	s_cbranch_execz .LBB93_125
.LBB93_40:
	v_lshlrev_b32_e32 v2, 2, v2
	v_add_co_u32_e32 v18, vcc, v1, v2
	v_addc_co_u32_e32 v19, vcc, 0, v48, vcc
	flat_load_dword v17, v[18:19]
	s_or_b64 exec, exec, s[4:5]
                                        ; implicit-def: $vgpr2
	s_and_saveexec_b64 s[4:5], s[12:13]
	s_cbranch_execnz .LBB93_126
.LBB93_41:
	s_or_b64 exec, exec, s[4:5]
                                        ; implicit-def: $vgpr3
	s_and_saveexec_b64 s[4:5], s[14:15]
	s_cbranch_execz .LBB93_127
.LBB93_42:
	v_lshlrev_b32_e32 v3, 2, v4
	v_add_co_u32_e32 v18, vcc, v1, v3
	v_addc_co_u32_e32 v19, vcc, 0, v48, vcc
	flat_load_dword v3, v[18:19]
	s_or_b64 exec, exec, s[4:5]
                                        ; implicit-def: $vgpr4
	s_and_saveexec_b64 s[4:5], s[16:17]
	s_cbranch_execnz .LBB93_128
.LBB93_43:
	s_or_b64 exec, exec, s[4:5]
                                        ; implicit-def: $vgpr5
	s_and_saveexec_b64 s[4:5], s[18:19]
	s_cbranch_execz .LBB93_129
.LBB93_44:
	v_lshlrev_b32_e32 v5, 2, v6
	v_add_co_u32_e32 v18, vcc, v1, v5
	v_addc_co_u32_e32 v19, vcc, 0, v48, vcc
	flat_load_dword v5, v[18:19]
	s_or_b64 exec, exec, s[4:5]
                                        ; implicit-def: $vgpr6
	s_and_saveexec_b64 s[4:5], s[20:21]
	s_cbranch_execnz .LBB93_130
.LBB93_45:
	s_or_b64 exec, exec, s[4:5]
                                        ; implicit-def: $vgpr7
	s_and_saveexec_b64 s[4:5], s[22:23]
	s_cbranch_execz .LBB93_131
.LBB93_46:
	v_lshlrev_b32_e32 v7, 2, v8
	v_add_co_u32_e32 v18, vcc, v1, v7
	v_addc_co_u32_e32 v19, vcc, 0, v48, vcc
	flat_load_dword v7, v[18:19]
	s_or_b64 exec, exec, s[4:5]
                                        ; implicit-def: $vgpr8
	s_and_saveexec_b64 s[4:5], s[24:25]
	s_cbranch_execnz .LBB93_132
.LBB93_47:
	s_or_b64 exec, exec, s[4:5]
                                        ; implicit-def: $vgpr9
	s_and_saveexec_b64 s[4:5], s[26:27]
	s_cbranch_execz .LBB93_49
.LBB93_48:
	v_lshlrev_b32_e32 v9, 2, v10
	v_add_co_u32_e32 v18, vcc, v1, v9
	v_addc_co_u32_e32 v19, vcc, 0, v48, vcc
	flat_load_dword v9, v[18:19]
.LBB93_49:
	s_or_b64 exec, exec, s[4:5]
	v_mul_u32_u24_e32 v51, 14, v0
                                        ; implicit-def: $vgpr10
	s_and_saveexec_b64 s[4:5], s[28:29]
	s_cbranch_execz .LBB93_51
; %bb.50:
	v_lshlrev_b32_e32 v10, 2, v11
	v_add_co_u32_e32 v10, vcc, v1, v10
	v_addc_co_u32_e32 v11, vcc, 0, v48, vcc
	flat_load_dword v10, v[10:11]
.LBB93_51:
	s_or_b64 exec, exec, s[4:5]
	s_mov_b32 s4, 0
	s_mov_b32 s5, s4
	s_waitcnt vmcnt(0) lgkmcnt(0)
	ds_write2st64_b32 v12, v13, v14 offset1:4
	ds_write2st64_b32 v12, v15, v16 offset0:8 offset1:12
	ds_write2st64_b32 v12, v17, v2 offset0:16 offset1:20
	;; [unrolled: 1-line block ×6, first 2 shown]
	s_mov_b32 s6, s4
	s_mov_b32 s7, s4
	;; [unrolled: 1-line block ×6, first 2 shown]
	v_pk_mov_b32 v[2:3], s[4:5], s[4:5] op_sel:[0,1]
	v_pk_mov_b32 v[8:9], s[10:11], s[10:11] op_sel:[0,1]
	v_pk_mov_b32 v[4:5], s[6:7], s[6:7] op_sel:[0,1]
	v_pk_mov_b32 v[6:7], s[8:9], s[8:9] op_sel:[0,1]
	v_pk_mov_b32 v[16:17], v[8:9], v[8:9] op_sel:[0,1]
	v_pk_mov_b32 v[24:25], v[8:9], v[8:9] op_sel:[0,1]
	v_cmp_gt_u32_e32 vcc, s40, v51
	s_mov_b64 s[12:13], 0
	v_pk_mov_b32 v[40:41], 0, 0
	s_mov_b64 s[18:19], 0
	v_pk_mov_b32 v[14:15], v[6:7], v[6:7] op_sel:[0,1]
	v_pk_mov_b32 v[12:13], v[4:5], v[4:5] op_sel:[0,1]
	;; [unrolled: 1-line block ×6, first 2 shown]
	s_waitcnt lgkmcnt(0)
	s_barrier
	s_waitcnt lgkmcnt(0)
                                        ; implicit-def: $sgpr16_sgpr17
                                        ; implicit-def: $vgpr46
	s_and_saveexec_b64 s[14:15], vcc
	s_cbranch_execz .LBB93_79
; %bb.52:
	ds_read_b32 v2, v50
	v_mov_b32_e32 v4, s54
	v_cmp_eq_u32_e32 vcc, v34, v35
	v_or_b32_e32 v3, 1, v51
                                        ; implicit-def: $vgpr46
	s_waitcnt lgkmcnt(0)
	v_cndmask_b32_e32 v40, v4, v2, vcc
	v_cmp_ne_u32_e32 vcc, v34, v35
	v_cndmask_b32_e64 v41, 0, 1, vcc
	v_cmp_gt_u32_e32 vcc, s40, v3
	v_pk_mov_b32 v[2:3], s[4:5], s[4:5] op_sel:[0,1]
	v_pk_mov_b32 v[8:9], s[10:11], s[10:11] op_sel:[0,1]
	;; [unrolled: 1-line block ×12, first 2 shown]
                                        ; implicit-def: $sgpr4_sgpr5
	s_and_saveexec_b64 s[16:17], vcc
	s_cbranch_execz .LBB93_78
; %bb.53:
	ds_read2_b32 v[46:47], v50 offset0:1 offset1:2
	s_mov_b32 s4, 0
	v_mov_b32_e32 v3, s54
	v_cmp_eq_u32_e32 vcc, v35, v36
	s_mov_b32 s10, s4
	s_mov_b32 s11, s4
	v_add_u32_e32 v2, 2, v51
	s_waitcnt lgkmcnt(0)
	v_cndmask_b32_e32 v8, v3, v46, vcc
	v_cmp_ne_u32_e32 vcc, v35, v36
	s_mov_b32 s5, s4
	s_mov_b32 s6, s4
	;; [unrolled: 1-line block ×5, first 2 shown]
	v_pk_mov_b32 v[16:17], s[10:11], s[10:11] op_sel:[0,1]
	v_cndmask_b32_e64 v9, 0, 1, vcc
	v_cmp_gt_u32_e32 vcc, s40, v2
	v_mov_b32_e32 v2, 0
	v_pk_mov_b32 v[14:15], s[8:9], s[8:9] op_sel:[0,1]
	v_pk_mov_b32 v[12:13], s[6:7], s[6:7] op_sel:[0,1]
	v_pk_mov_b32 v[10:11], s[4:5], s[4:5] op_sel:[0,1]
	v_pk_mov_b32 v[24:25], v[16:17], v[16:17] op_sel:[0,1]
	v_mov_b32_e32 v3, v2
	v_mov_b32_e32 v4, v2
	;; [unrolled: 1-line block ×5, first 2 shown]
	s_mov_b64 s[20:21], 0
	v_pk_mov_b32 v[22:23], v[14:15], v[14:15] op_sel:[0,1]
	v_pk_mov_b32 v[20:21], v[12:13], v[12:13] op_sel:[0,1]
	;; [unrolled: 1-line block ×3, first 2 shown]
                                        ; implicit-def: $sgpr24_sgpr25
                                        ; implicit-def: $vgpr46
	s_and_saveexec_b64 s[18:19], vcc
	s_cbranch_execz .LBB93_77
; %bb.54:
	v_mov_b32_e32 v4, s54
	v_cmp_eq_u32_e32 vcc, v36, v37
	v_pk_mov_b32 v[16:17], s[10:11], s[10:11] op_sel:[0,1]
	v_add_u32_e32 v3, 3, v51
	v_cndmask_b32_e32 v6, v4, v47, vcc
	v_cmp_ne_u32_e32 vcc, v36, v37
	v_pk_mov_b32 v[14:15], s[8:9], s[8:9] op_sel:[0,1]
	v_pk_mov_b32 v[12:13], s[6:7], s[6:7] op_sel:[0,1]
	;; [unrolled: 1-line block ×4, first 2 shown]
	v_cndmask_b32_e64 v7, 0, 1, vcc
	v_cmp_gt_u32_e32 vcc, s40, v3
	v_mov_b32_e32 v3, v2
	v_mov_b32_e32 v4, v2
	;; [unrolled: 1-line block ×3, first 2 shown]
	s_mov_b64 s[22:23], 0
	v_pk_mov_b32 v[22:23], v[14:15], v[14:15] op_sel:[0,1]
	v_pk_mov_b32 v[20:21], v[12:13], v[12:13] op_sel:[0,1]
	;; [unrolled: 1-line block ×3, first 2 shown]
                                        ; implicit-def: $sgpr4_sgpr5
                                        ; implicit-def: $vgpr46
	s_and_saveexec_b64 s[20:21], vcc
	s_cbranch_execz .LBB93_76
; %bb.55:
	ds_read2_b32 v[34:35], v50 offset0:3 offset1:4
	s_mov_b32 s4, 0
	s_mov_b32 s10, s4
	;; [unrolled: 1-line block ×3, first 2 shown]
	v_mov_b32_e32 v3, s54
	v_cmp_eq_u32_e32 vcc, v37, v30
	s_mov_b32 s5, s4
	s_mov_b32 s6, s4
	;; [unrolled: 1-line block ×5, first 2 shown]
	v_pk_mov_b32 v[16:17], s[10:11], s[10:11] op_sel:[0,1]
	v_add_u32_e32 v2, 4, v51
	s_waitcnt lgkmcnt(0)
	v_cndmask_b32_e32 v4, v3, v34, vcc
	v_cmp_ne_u32_e32 vcc, v37, v30
	v_pk_mov_b32 v[14:15], s[8:9], s[8:9] op_sel:[0,1]
	v_pk_mov_b32 v[12:13], s[6:7], s[6:7] op_sel:[0,1]
	;; [unrolled: 1-line block ×4, first 2 shown]
	v_cndmask_b32_e64 v5, 0, 1, vcc
	v_cmp_gt_u32_e32 vcc, s40, v2
	v_mov_b32_e32 v2, s4
	v_mov_b32_e32 v3, s4
	s_mov_b64 s[24:25], 0
	v_pk_mov_b32 v[22:23], v[14:15], v[14:15] op_sel:[0,1]
	v_pk_mov_b32 v[20:21], v[12:13], v[12:13] op_sel:[0,1]
	;; [unrolled: 1-line block ×3, first 2 shown]
                                        ; implicit-def: $sgpr26_sgpr27
                                        ; implicit-def: $vgpr46
	s_and_saveexec_b64 s[22:23], vcc
	s_cbranch_execz .LBB93_75
; %bb.56:
	v_mov_b32_e32 v2, s54
	v_cmp_eq_u32_e32 vcc, v30, v31
	v_add_u32_e32 v10, 5, v51
	v_cndmask_b32_e32 v2, v2, v35, vcc
	v_cmp_ne_u32_e32 vcc, v30, v31
	v_cndmask_b32_e64 v3, 0, 1, vcc
	v_cmp_gt_u32_e32 vcc, s40, v10
	v_pk_mov_b32 v[16:17], s[10:11], s[10:11] op_sel:[0,1]
	v_pk_mov_b32 v[14:15], s[8:9], s[8:9] op_sel:[0,1]
	;; [unrolled: 1-line block ×5, first 2 shown]
	s_mov_b64 s[28:29], 0
	v_pk_mov_b32 v[22:23], v[14:15], v[14:15] op_sel:[0,1]
	v_pk_mov_b32 v[20:21], v[12:13], v[12:13] op_sel:[0,1]
	;; [unrolled: 1-line block ×3, first 2 shown]
                                        ; implicit-def: $sgpr4_sgpr5
                                        ; implicit-def: $vgpr46
	s_and_saveexec_b64 s[24:25], vcc
	s_cbranch_execz .LBB93_74
; %bb.57:
	ds_read2_b32 v[34:35], v50 offset0:5 offset1:6
	v_mov_b32_e32 v11, s54
	v_cmp_eq_u32_e32 vcc, v31, v32
	s_mov_b32 s4, 0
	v_add_u32_e32 v10, 6, v51
	s_waitcnt lgkmcnt(0)
	v_cndmask_b32_e32 v16, v11, v34, vcc
	v_cmp_ne_u32_e32 vcc, v31, v32
	s_mov_b32 s10, s4
	s_mov_b32 s11, s4
	v_cndmask_b32_e64 v17, 0, 1, vcc
	v_cmp_gt_u32_e32 vcc, s40, v10
	v_mov_b32_e32 v10, 0
	s_mov_b32 s5, s4
	s_mov_b32 s6, s4
	;; [unrolled: 1-line block ×5, first 2 shown]
	v_pk_mov_b32 v[24:25], s[10:11], s[10:11] op_sel:[0,1]
	v_mov_b32_e32 v11, v10
	v_mov_b32_e32 v12, v10
	;; [unrolled: 1-line block ×5, first 2 shown]
	v_pk_mov_b32 v[22:23], s[8:9], s[8:9] op_sel:[0,1]
	v_pk_mov_b32 v[20:21], s[6:7], s[6:7] op_sel:[0,1]
	v_pk_mov_b32 v[18:19], s[4:5], s[4:5] op_sel:[0,1]
                                        ; implicit-def: $sgpr36_sgpr37
                                        ; implicit-def: $vgpr46
	s_and_saveexec_b64 s[26:27], vcc
	s_cbranch_execz .LBB93_73
; %bb.58:
	v_mov_b32_e32 v12, s54
	v_cmp_eq_u32_e32 vcc, v32, v33
	v_add_u32_e32 v11, 7, v51
	v_cndmask_b32_e32 v14, v12, v35, vcc
	v_cmp_ne_u32_e32 vcc, v32, v33
	v_pk_mov_b32 v[24:25], s[10:11], s[10:11] op_sel:[0,1]
	v_cndmask_b32_e64 v15, 0, 1, vcc
	v_cmp_gt_u32_e32 vcc, s40, v11
	v_mov_b32_e32 v11, v10
	v_mov_b32_e32 v12, v10
	;; [unrolled: 1-line block ×3, first 2 shown]
	s_mov_b64 s[30:31], 0
	v_pk_mov_b32 v[22:23], s[8:9], s[8:9] op_sel:[0,1]
	v_pk_mov_b32 v[20:21], s[6:7], s[6:7] op_sel:[0,1]
	;; [unrolled: 1-line block ×3, first 2 shown]
                                        ; implicit-def: $sgpr4_sgpr5
                                        ; implicit-def: $vgpr46
	s_and_saveexec_b64 s[28:29], vcc
	s_cbranch_execz .LBB93_72
; %bb.59:
	ds_read2_b32 v[30:31], v50 offset0:7 offset1:8
	s_mov_b32 s4, 0
	v_mov_b32_e32 v11, s54
	v_cmp_eq_u32_e32 vcc, v33, v26
	s_mov_b32 s10, s4
	s_mov_b32 s11, s4
	v_add_u32_e32 v10, 8, v51
	s_waitcnt lgkmcnt(0)
	v_cndmask_b32_e32 v12, v11, v30, vcc
	v_cmp_ne_u32_e32 vcc, v33, v26
	s_mov_b32 s5, s4
	s_mov_b32 s6, s4
	;; [unrolled: 1-line block ×5, first 2 shown]
	v_pk_mov_b32 v[24:25], s[10:11], s[10:11] op_sel:[0,1]
	v_cndmask_b32_e64 v13, 0, 1, vcc
	v_cmp_gt_u32_e32 vcc, s40, v10
	v_mov_b32_e32 v10, s4
	v_mov_b32_e32 v11, s4
	s_mov_b64 s[36:37], 0
	v_pk_mov_b32 v[22:23], s[8:9], s[8:9] op_sel:[0,1]
	v_pk_mov_b32 v[20:21], s[6:7], s[6:7] op_sel:[0,1]
	;; [unrolled: 1-line block ×3, first 2 shown]
                                        ; implicit-def: $sgpr38_sgpr39
                                        ; implicit-def: $vgpr46
	s_and_saveexec_b64 s[30:31], vcc
	s_cbranch_execz .LBB93_71
; %bb.60:
	v_mov_b32_e32 v10, s54
	v_cmp_eq_u32_e32 vcc, v26, v27
	v_add_u32_e32 v18, 9, v51
	v_cndmask_b32_e32 v10, v10, v31, vcc
	v_cmp_ne_u32_e32 vcc, v26, v27
	v_cndmask_b32_e64 v11, 0, 1, vcc
	v_cmp_gt_u32_e32 vcc, s40, v18
	v_pk_mov_b32 v[24:25], s[10:11], s[10:11] op_sel:[0,1]
	v_pk_mov_b32 v[22:23], s[8:9], s[8:9] op_sel:[0,1]
	;; [unrolled: 1-line block ×4, first 2 shown]
                                        ; implicit-def: $sgpr6_sgpr7
                                        ; implicit-def: $vgpr46
	s_and_saveexec_b64 s[4:5], vcc
	s_cbranch_execz .LBB93_70
; %bb.61:
	ds_read2_b32 v[30:31], v50 offset0:9 offset1:10
	v_mov_b32_e32 v18, s54
	v_cmp_eq_u32_e32 vcc, v27, v28
	v_add_u32_e32 v20, 10, v51
	v_mov_b32_e32 v22, 0
	s_waitcnt lgkmcnt(0)
	v_cndmask_b32_e32 v18, v18, v30, vcc
	v_cmp_ne_u32_e32 vcc, v27, v28
	v_cndmask_b32_e64 v19, 0, 1, vcc
	v_cmp_gt_u32_e32 vcc, s40, v20
	v_mov_b32_e32 v20, v22
	v_mov_b32_e32 v21, v22
	;; [unrolled: 1-line block ×5, first 2 shown]
	s_mov_b64 s[8:9], 0
                                        ; implicit-def: $sgpr36_sgpr37
                                        ; implicit-def: $vgpr46
	s_and_saveexec_b64 s[6:7], vcc
	s_cbranch_execz .LBB93_69
; %bb.62:
	v_mov_b32_e32 v20, s54
	v_cmp_eq_u32_e32 vcc, v28, v29
	v_add_u32_e32 v23, 11, v51
	v_cndmask_b32_e32 v20, v20, v31, vcc
	v_cmp_ne_u32_e32 vcc, v28, v29
	v_cndmask_b32_e64 v21, 0, 1, vcc
	v_cmp_gt_u32_e32 vcc, s40, v23
	s_mov_b32 s36, 0
	v_mov_b32_e32 v23, v22
	v_mov_b32_e32 v24, v22
	;; [unrolled: 1-line block ×3, first 2 shown]
	s_mov_b64 s[10:11], 0
                                        ; implicit-def: $sgpr38_sgpr39
                                        ; implicit-def: $vgpr46
	s_and_saveexec_b64 s[8:9], vcc
	s_cbranch_execz .LBB93_68
; %bb.63:
	ds_read2_b32 v[26:27], v50 offset0:11 offset1:12
	v_mov_b32_e32 v22, s54
	v_cmp_eq_u32_e32 vcc, v29, v44
	v_add_u32_e32 v24, 12, v51
	v_mov_b32_e32 v25, s36
	s_waitcnt lgkmcnt(0)
	v_cndmask_b32_e32 v22, v22, v26, vcc
	v_cmp_ne_u32_e32 vcc, v29, v44
	v_cndmask_b32_e64 v23, 0, 1, vcc
	v_cmp_gt_u32_e32 vcc, s40, v24
	v_mov_b32_e32 v24, s36
	s_mov_b64 s[36:37], 0
                                        ; implicit-def: $sgpr38_sgpr39
                                        ; implicit-def: $vgpr46
	s_and_saveexec_b64 s[10:11], vcc
	s_cbranch_execz .LBB93_67
; %bb.64:
	v_mov_b32_e32 v24, s54
	v_cmp_eq_u32_e32 vcc, v44, v45
	v_add_u32_e32 v26, 13, v51
	v_cndmask_b32_e32 v24, v24, v27, vcc
	v_cmp_ne_u32_e32 vcc, v44, v45
	v_cndmask_b32_e64 v25, 0, 1, vcc
	v_cmp_gt_u32_e32 vcc, s40, v26
                                        ; implicit-def: $sgpr38_sgpr39
                                        ; implicit-def: $vgpr46
	s_and_saveexec_b64 s[40:41], vcc
	s_xor_b64 s[40:41], exec, s[40:41]
	s_cbranch_execz .LBB93_66
; %bb.65:
	ds_read_b32 v26, v50 offset:52
	v_mov_b32_e32 v27, s54
	v_cmp_ne_u32_e32 vcc, v45, v49
	s_mov_b64 s[36:37], exec
	s_and_b64 s[38:39], vcc, exec
	s_waitcnt lgkmcnt(0)
	v_cndmask_b32_e32 v46, v26, v27, vcc
.LBB93_66:
	s_or_b64 exec, exec, s[40:41]
	s_and_b64 s[38:39], s[38:39], exec
	s_and_b64 s[36:37], s[36:37], exec
.LBB93_67:
	s_or_b64 exec, exec, s[10:11]
	s_and_b64 s[38:39], s[38:39], exec
	s_and_b64 s[10:11], s[36:37], exec
.LBB93_68:
	s_or_b64 exec, exec, s[8:9]
	s_and_b64 s[36:37], s[38:39], exec
	s_and_b64 s[8:9], s[10:11], exec
.LBB93_69:
	s_or_b64 exec, exec, s[6:7]
	s_and_b64 s[6:7], s[36:37], exec
	s_and_b64 s[36:37], s[8:9], exec
.LBB93_70:
	s_or_b64 exec, exec, s[4:5]
	s_and_b64 s[38:39], s[6:7], exec
	s_and_b64 s[36:37], s[36:37], exec
.LBB93_71:
	s_or_b64 exec, exec, s[30:31]
	s_and_b64 s[4:5], s[38:39], exec
	s_and_b64 s[30:31], s[36:37], exec
.LBB93_72:
	s_or_b64 exec, exec, s[28:29]
	s_and_b64 s[36:37], s[4:5], exec
	s_and_b64 s[28:29], s[30:31], exec
.LBB93_73:
	s_or_b64 exec, exec, s[26:27]
	s_and_b64 s[4:5], s[36:37], exec
	s_and_b64 s[28:29], s[28:29], exec
.LBB93_74:
	s_or_b64 exec, exec, s[24:25]
	s_and_b64 s[26:27], s[4:5], exec
	s_and_b64 s[24:25], s[28:29], exec
.LBB93_75:
	s_or_b64 exec, exec, s[22:23]
	s_and_b64 s[4:5], s[26:27], exec
	s_and_b64 s[22:23], s[24:25], exec
.LBB93_76:
	s_or_b64 exec, exec, s[20:21]
	s_and_b64 s[24:25], s[4:5], exec
	s_and_b64 s[20:21], s[22:23], exec
.LBB93_77:
	s_or_b64 exec, exec, s[18:19]
	s_and_b64 s[4:5], s[24:25], exec
	s_and_b64 s[18:19], s[20:21], exec
.LBB93_78:
	s_or_b64 exec, exec, s[16:17]
	s_and_b64 s[16:17], s[4:5], exec
	s_and_b64 s[18:19], s[18:19], exec
.LBB93_79:
	s_or_b64 exec, exec, s[14:15]
	s_and_b64 vcc, exec, s[12:13]
	v_lshlrev_b32_e32 v52, 2, v0
	s_cbranch_vccnz .LBB93_81
	s_branch .LBB93_86
.LBB93_80:
	s_mov_b64 s[18:19], 0
                                        ; implicit-def: $sgpr16_sgpr17
                                        ; implicit-def: $vgpr2_vgpr3_vgpr4_vgpr5_vgpr6_vgpr7_vgpr8_vgpr9
                                        ; implicit-def: $vgpr10_vgpr11_vgpr12_vgpr13_vgpr14_vgpr15_vgpr16_vgpr17
                                        ; implicit-def: $vgpr18_vgpr19_vgpr20_vgpr21_vgpr22_vgpr23_vgpr24_vgpr25
                                        ; implicit-def: $vgpr46
                                        ; implicit-def: $vgpr40_vgpr41
	s_and_b64 vcc, exec, s[12:13]
	v_lshlrev_b32_e32 v52, 2, v0
	s_cbranch_vccz .LBB93_86
.LBB93_81:
	v_add_co_u32_e32 v2, vcc, v42, v52
	v_addc_co_u32_e32 v3, vcc, 0, v43, vcc
	v_add_co_u32_e32 v4, vcc, 0x1000, v2
	v_addc_co_u32_e32 v5, vcc, 0, v3, vcc
	flat_load_dword v6, v[2:3]
	flat_load_dword v7, v[2:3] offset:1024
	flat_load_dword v8, v[2:3] offset:2048
	;; [unrolled: 1-line block ×3, first 2 shown]
	flat_load_dword v10, v[4:5]
	flat_load_dword v11, v[4:5] offset:1024
	flat_load_dword v12, v[4:5] offset:2048
	;; [unrolled: 1-line block ×3, first 2 shown]
	v_add_co_u32_e32 v4, vcc, 0x2000, v2
	v_addc_co_u32_e32 v5, vcc, 0, v3, vcc
	v_add_co_u32_e32 v2, vcc, 0x3000, v2
	v_addc_co_u32_e32 v3, vcc, 0, v3, vcc
	flat_load_dword v14, v[4:5]
	flat_load_dword v15, v[4:5] offset:1024
	flat_load_dword v16, v[4:5] offset:2048
	;; [unrolled: 1-line block ×3, first 2 shown]
	flat_load_dword v18, v[2:3]
	flat_load_dword v19, v[2:3] offset:1024
	v_add_co_u32_e32 v2, vcc, 0x3000, v42
	v_addc_co_u32_e32 v3, vcc, 0, v43, vcc
	s_movk_i32 s6, 0xffcc
	s_movk_i32 s9, 0x1000
	s_mov_b32 s4, 0
	s_movk_i32 s8, 0x2000
	s_movk_i32 s5, 0x3000
	s_waitcnt vmcnt(0) lgkmcnt(0)
	ds_write2st64_b32 v52, v6, v7 offset1:4
	ds_write2st64_b32 v52, v8, v9 offset0:8 offset1:12
	ds_write2st64_b32 v52, v10, v11 offset0:16 offset1:20
	;; [unrolled: 1-line block ×6, first 2 shown]
	s_waitcnt lgkmcnt(0)
	s_barrier
	flat_load_dword v34, v[2:3] offset:2048
	v_mad_u32_u24 v6, v0, 52, v52
	v_mad_i32_i24 v2, v0, s6, v6
	s_movk_i32 s6, 0xff
	v_cmp_ne_u32_e32 vcc, s6, v0
	ds_read2_b32 v[26:27], v6 offset1:13
	ds_read2_b32 v[18:19], v6 offset0:7 offset1:8
	ds_read2_b32 v[20:21], v6 offset0:5 offset1:6
	;; [unrolled: 1-line block ×6, first 2 shown]
	s_waitcnt lgkmcnt(0)
	ds_write_b32 v2, v26 offset:15360
	s_waitcnt lgkmcnt(0)
	s_barrier
	s_and_saveexec_b64 s[6:7], vcc
	s_cbranch_execz .LBB93_83
; %bb.82:
	s_waitcnt vmcnt(0)
	ds_read_b32 v34, v52 offset:15364
.LBB93_83:
	s_or_b64 exec, exec, s[6:7]
	v_add_co_u32_e32 v2, vcc, v1, v52
	v_addc_co_u32_e32 v3, vcc, 0, v48, vcc
	v_add_co_u32_e32 v4, vcc, s9, v2
	v_addc_co_u32_e32 v5, vcc, 0, v3, vcc
	s_waitcnt lgkmcnt(0)
	s_barrier
	flat_load_dword v1, v[2:3]
	flat_load_dword v7, v[2:3] offset:1024
	flat_load_dword v8, v[2:3] offset:2048
	;; [unrolled: 1-line block ×3, first 2 shown]
	flat_load_dword v14, v[4:5]
	flat_load_dword v15, v[4:5] offset:1024
	flat_load_dword v16, v[4:5] offset:2048
	;; [unrolled: 1-line block ×3, first 2 shown]
	v_add_co_u32_e32 v4, vcc, s8, v2
	v_addc_co_u32_e32 v5, vcc, 0, v3, vcc
	v_add_co_u32_e32 v2, vcc, s5, v2
	v_addc_co_u32_e32 v3, vcc, 0, v3, vcc
	flat_load_dword v22, v[4:5]
	flat_load_dword v23, v[4:5] offset:1024
	flat_load_dword v24, v[4:5] offset:2048
	flat_load_dword v25, v[4:5] offset:3072
	flat_load_dword v32, v[2:3]
	flat_load_dword v33, v[2:3] offset:1024
	s_mov_b32 s5, 1
	v_cmp_eq_u32_e32 vcc, v26, v12
	v_pk_mov_b32 v[40:41], s[4:5], s[4:5] op_sel:[0,1]
	s_waitcnt vmcnt(0) lgkmcnt(0)
	ds_write2st64_b32 v52, v1, v7 offset1:4
	ds_write2st64_b32 v52, v8, v9 offset0:8 offset1:12
	ds_write2st64_b32 v52, v14, v15 offset0:16 offset1:20
	;; [unrolled: 1-line block ×6, first 2 shown]
	s_waitcnt lgkmcnt(0)
	s_barrier
	ds_read2_b32 v[24:25], v6 offset0:7 offset1:8
	ds_read2_b32 v[14:15], v6 offset0:5 offset1:6
	;; [unrolled: 1-line block ×4, first 2 shown]
	ds_read_b32 v1, v6 offset:52
	ds_read2_b32 v[22:23], v6 offset0:11 offset1:12
	ds_read2_b32 v[32:33], v6 offset0:9 offset1:10
	v_mov_b32_e32 v7, s54
	s_and_saveexec_b64 s[4:5], vcc
	s_cbranch_execz .LBB93_85
; %bb.84:
	ds_read_b32 v7, v6
	v_pk_mov_b32 v[40:41], 0, 0
.LBB93_85:
	s_or_b64 exec, exec, s[4:5]
	v_mov_b32_e32 v26, s54
	v_cmp_eq_u32_e32 vcc, v12, v13
	s_waitcnt lgkmcnt(3)
	v_cndmask_b32_e32 v8, v26, v4, vcc
	v_cmp_eq_u32_e32 vcc, v13, v10
	v_cndmask_b32_e32 v6, v26, v5, vcc
	v_cmp_eq_u32_e32 vcc, v10, v11
	;; [unrolled: 2-line block ×3, first 2 shown]
	v_cndmask_b32_e32 v2, v26, v3, vcc
	v_cmp_ne_u32_e32 vcc, v12, v13
	v_cndmask_b32_e64 v9, 0, 1, vcc
	v_cmp_ne_u32_e32 vcc, v13, v10
	s_waitcnt lgkmcnt(0)
	v_or_b32_e32 v40, v40, v7
	v_cndmask_b32_e64 v7, 0, 1, vcc
	v_cmp_ne_u32_e32 vcc, v10, v11
	v_cndmask_b32_e64 v5, 0, 1, vcc
	v_cmp_ne_u32_e32 vcc, v11, v20
	v_cndmask_b32_e64 v3, 0, 1, vcc
	v_cmp_eq_u32_e32 vcc, v20, v21
	v_cndmask_b32_e32 v16, v26, v14, vcc
	v_cmp_eq_u32_e32 vcc, v21, v18
	v_cndmask_b32_e32 v14, v26, v15, vcc
	;; [unrolled: 2-line block ×4, first 2 shown]
	v_cmp_ne_u32_e32 vcc, v20, v21
	v_cndmask_b32_e64 v17, 0, 1, vcc
	v_cmp_ne_u32_e32 vcc, v21, v18
	v_cndmask_b32_e64 v15, 0, 1, vcc
	v_cmp_ne_u32_e32 vcc, v18, v19
	v_cndmask_b32_e64 v13, 0, 1, vcc
	v_cmp_ne_u32_e32 vcc, v19, v28
	v_cndmask_b32_e64 v11, 0, 1, vcc
	v_cmp_eq_u32_e32 vcc, v31, v27
	v_cndmask_b32_e32 v24, v26, v23, vcc
	v_cmp_eq_u32_e32 vcc, v30, v31
	v_cndmask_b32_e32 v22, v26, v22, vcc
	;; [unrolled: 2-line block ×4, first 2 shown]
	v_cmp_ne_u32_e32 vcc, v31, v27
	v_cndmask_b32_e64 v25, 0, 1, vcc
	v_cmp_ne_u32_e32 vcc, v30, v31
	v_cndmask_b32_e64 v23, 0, 1, vcc
	;; [unrolled: 2-line block ×3, first 2 shown]
	v_cmp_ne_u32_e32 vcc, v28, v29
	v_cmp_ne_u32_e64 s[16:17], v27, v34
	v_cndmask_b32_e64 v19, 0, 1, vcc
	v_cndmask_b32_e64 v46, v1, v26, s[16:17]
	s_mov_b64 s[18:19], -1
                                        ; implicit-def: $sgpr12_sgpr13
.LBB93_86:
	v_pk_mov_b32 v[42:43], s[12:13], s[12:13] op_sel:[0,1]
	s_and_saveexec_b64 s[4:5], s[18:19]
; %bb.87:
	v_cndmask_b32_e64 v47, 0, 1, s[16:17]
	v_pk_mov_b32 v[42:43], v[46:47], v[46:47] op_sel:[0,1]
; %bb.88:
	s_or_b64 exec, exec, s[4:5]
	s_mov_b32 s28, 0
	s_cmp_lg_u32 s47, 0
	v_mbcnt_lo_u32_b32 v54, -1, 0
	v_lshrrev_b32_e32 v1, 6, v0
	v_or_b32_e32 v53, 63, v0
	s_barrier
	s_cbranch_scc0 .LBB93_133
; %bb.89:
	s_mov_b32 s29, 1
	v_cmp_gt_u64_e64 s[4:5], s[28:29], v[8:9]
	v_cndmask_b32_e64 v27, 0, v40, s[4:5]
	v_add_u32_e32 v27, v27, v8
	v_cmp_gt_u64_e64 s[6:7], s[28:29], v[6:7]
	v_cndmask_b32_e64 v27, 0, v27, s[6:7]
	v_add_u32_e32 v27, v27, v6
	;; [unrolled: 3-line block ×12, first 2 shown]
	v_cmp_gt_u64_e32 vcc, s[28:29], v[42:43]
	v_cndmask_b32_e32 v27, 0, v27, vcc
	v_add_u32_e32 v28, v27, v42
	v_or3_b32 v27, v43, v25, v23
	v_or3_b32 v27, v27, v21, v19
	;; [unrolled: 1-line block ×6, first 2 shown]
	v_mov_b32_e32 v26, 0
	v_and_b32_e32 v27, 1, v27
	v_cmp_eq_u64_e32 vcc, 0, v[26:27]
	v_cndmask_b32_e32 v27, 1, v41, vcc
	v_and_b32_e32 v29, 0xff, v27
	v_mov_b32_dpp v31, v28 row_shr:1 row_mask:0xf bank_mask:0xf
	v_cmp_eq_u16_e32 vcc, 0, v29
	v_mov_b32_dpp v32, v29 row_shr:1 row_mask:0xf bank_mask:0xf
	v_and_b32_e32 v33, 1, v27
	v_mbcnt_hi_u32_b32 v48, -1, v54
	v_cndmask_b32_e32 v31, 0, v31, vcc
	v_and_b32_e32 v32, 1, v32
	v_cmp_eq_u32_e32 vcc, 1, v33
	v_and_b32_e32 v30, 15, v48
	v_cndmask_b32_e64 v32, v32, 1, vcc
	v_and_b32_e32 v33, 0xffff, v32
	v_cmp_eq_u32_e32 vcc, 0, v30
	v_cndmask_b32_e32 v27, v32, v27, vcc
	v_cndmask_b32_e32 v29, v33, v29, vcc
	v_and_b32_e32 v33, 1, v27
	v_cndmask_b32_e64 v31, v31, 0, vcc
	v_mov_b32_dpp v32, v29 row_shr:2 row_mask:0xf bank_mask:0xf
	v_and_b32_e32 v32, 1, v32
	v_cmp_eq_u32_e32 vcc, 1, v33
	v_cndmask_b32_e64 v32, v32, 1, vcc
	v_and_b32_e32 v33, 0xffff, v32
	v_cmp_lt_u32_e32 vcc, 1, v30
	v_add_u32_e32 v28, v31, v28
	v_cmp_eq_u16_sdwa s[28:29], v27, v26 src0_sel:BYTE_0 src1_sel:DWORD
	v_cndmask_b32_e32 v27, v27, v32, vcc
	v_cndmask_b32_e32 v29, v29, v33, vcc
	v_mov_b32_dpp v31, v28 row_shr:2 row_mask:0xf bank_mask:0xf
	s_and_b64 vcc, vcc, s[28:29]
	v_mov_b32_dpp v32, v29 row_shr:4 row_mask:0xf bank_mask:0xf
	v_and_b32_e32 v33, 1, v27
	v_cndmask_b32_e32 v31, 0, v31, vcc
	v_and_b32_e32 v32, 1, v32
	v_cmp_eq_u32_e32 vcc, 1, v33
	v_cndmask_b32_e64 v32, v32, 1, vcc
	v_and_b32_e32 v33, 0xffff, v32
	v_cmp_lt_u32_e32 vcc, 3, v30
	v_add_u32_e32 v28, v31, v28
	v_cmp_eq_u16_sdwa s[28:29], v27, v26 src0_sel:BYTE_0 src1_sel:DWORD
	v_cndmask_b32_e32 v27, v27, v32, vcc
	v_cndmask_b32_e32 v29, v29, v33, vcc
	v_mov_b32_dpp v31, v28 row_shr:4 row_mask:0xf bank_mask:0xf
	s_and_b64 vcc, vcc, s[28:29]
	v_mov_b32_dpp v32, v29 row_shr:8 row_mask:0xf bank_mask:0xf
	v_and_b32_e32 v33, 1, v27
	v_cndmask_b32_e32 v31, 0, v31, vcc
	v_and_b32_e32 v32, 1, v32
	v_cmp_eq_u32_e32 vcc, 1, v33
	v_cndmask_b32_e64 v32, v32, 1, vcc
	v_add_u32_e32 v28, v31, v28
	v_cmp_eq_u16_sdwa s[28:29], v27, v26 src0_sel:BYTE_0 src1_sel:DWORD
	v_and_b32_e32 v33, 0xffff, v32
	v_cmp_lt_u32_e32 vcc, 7, v30
	v_mov_b32_dpp v31, v28 row_shr:8 row_mask:0xf bank_mask:0xf
	v_cndmask_b32_e32 v27, v27, v32, vcc
	v_cndmask_b32_e32 v29, v29, v33, vcc
	s_and_b64 vcc, vcc, s[28:29]
	v_cndmask_b32_e32 v30, 0, v31, vcc
	v_add_u32_e32 v28, v30, v28
	v_mov_b32_dpp v31, v29 row_bcast:15 row_mask:0xf bank_mask:0xf
	v_cmp_eq_u16_sdwa vcc, v27, v26 src0_sel:BYTE_0 src1_sel:DWORD
	v_mov_b32_dpp v30, v28 row_bcast:15 row_mask:0xf bank_mask:0xf
	v_and_b32_e32 v34, 1, v27
	v_cndmask_b32_e32 v30, 0, v30, vcc
	v_and_b32_e32 v31, 1, v31
	v_cmp_eq_u32_e32 vcc, 1, v34
	v_and_b32_e32 v33, 16, v48
	v_cndmask_b32_e64 v31, v31, 1, vcc
	v_and_b32_e32 v34, 0xffff, v31
	v_cmp_eq_u32_e32 vcc, 0, v33
	v_cndmask_b32_e32 v27, v31, v27, vcc
	v_cndmask_b32_e32 v29, v34, v29, vcc
	v_bfe_i32 v32, v48, 4, 1
	v_cmp_eq_u16_sdwa s[28:29], v27, v26 src0_sel:BYTE_0 src1_sel:DWORD
	v_mov_b32_dpp v29, v29 row_bcast:31 row_mask:0xf bank_mask:0xf
	v_and_b32_e32 v26, 1, v27
	v_and_b32_e32 v30, v32, v30
	;; [unrolled: 1-line block ×3, first 2 shown]
	v_cmp_eq_u32_e32 vcc, 1, v26
	v_add_u32_e32 v28, v30, v28
	v_cndmask_b32_e64 v26, v29, 1, vcc
	v_cmp_lt_u32_e32 vcc, 31, v48
	v_mov_b32_dpp v30, v28 row_bcast:31 row_mask:0xf bank_mask:0xf
	v_cndmask_b32_e32 v29, v27, v26, vcc
	s_and_b64 vcc, vcc, s[28:29]
	v_cndmask_b32_e32 v26, 0, v30, vcc
	v_add_u32_e32 v28, v26, v28
	v_cmp_eq_u32_e32 vcc, v53, v0
	s_and_saveexec_b64 s[28:29], vcc
	s_cbranch_execz .LBB93_91
; %bb.90:
	v_lshlrev_b32_e32 v26, 3, v1
	ds_write_b32 v26, v28
	ds_write_b8 v26, v29 offset:4
.LBB93_91:
	s_or_b64 exec, exec, s[28:29]
	v_cmp_gt_u32_e32 vcc, 4, v0
	s_waitcnt lgkmcnt(0)
	s_barrier
	s_and_saveexec_b64 s[28:29], vcc
	s_cbranch_execz .LBB93_95
; %bb.92:
	v_lshlrev_b32_e32 v30, 3, v0
	ds_read_b64 v[26:27], v30
	v_and_b32_e32 v31, 3, v48
	v_cmp_ne_u32_e32 vcc, 0, v31
	s_waitcnt lgkmcnt(0)
	v_mov_b32_dpp v32, v26 row_shr:1 row_mask:0xf bank_mask:0xf
	v_mov_b32_dpp v34, v27 row_shr:1 row_mask:0xf bank_mask:0xf
	v_mov_b32_e32 v33, v27
	s_and_saveexec_b64 s[30:31], vcc
	s_cbranch_execz .LBB93_94
; %bb.93:
	v_and_b32_e32 v33, 1, v27
	v_and_b32_e32 v34, 1, v34
	v_cmp_eq_u32_e32 vcc, 1, v33
	v_mov_b32_e32 v33, 0
	v_cndmask_b32_e64 v34, v34, 1, vcc
	v_cmp_eq_u16_sdwa vcc, v27, v33 src0_sel:BYTE_0 src1_sel:DWORD
	v_cndmask_b32_e32 v32, 0, v32, vcc
	v_add_u32_e32 v26, v32, v26
	v_and_b32_e32 v32, 0xffff, v34
	s_movk_i32 s36, 0xff00
	v_and_or_b32 v33, v27, s36, v32
	v_mov_b32_e32 v27, v34
.LBB93_94:
	s_or_b64 exec, exec, s[30:31]
	v_mov_b32_dpp v33, v33 row_shr:2 row_mask:0xf bank_mask:0xf
	v_and_b32_e32 v34, 1, v27
	v_and_b32_e32 v33, 1, v33
	v_cmp_eq_u32_e32 vcc, 1, v34
	v_mov_b32_e32 v34, 0
	v_cndmask_b32_e64 v33, v33, 1, vcc
	v_cmp_eq_u16_sdwa s[30:31], v27, v34 src0_sel:BYTE_0 src1_sel:DWORD
	v_cmp_lt_u32_e32 vcc, 1, v31
	v_mov_b32_dpp v32, v26 row_shr:2 row_mask:0xf bank_mask:0xf
	v_cndmask_b32_e32 v27, v27, v33, vcc
	s_and_b64 vcc, vcc, s[30:31]
	v_cndmask_b32_e32 v31, 0, v32, vcc
	v_add_u32_e32 v26, v31, v26
	ds_write_b32 v30, v26
	ds_write_b8 v30, v27 offset:4
.LBB93_95:
	s_or_b64 exec, exec, s[28:29]
	v_cmp_gt_u32_e32 vcc, 64, v0
	v_cmp_lt_u32_e64 s[28:29], 63, v0
	v_mov_b32_e32 v44, 0
	v_mov_b32_e32 v45, 0
	s_waitcnt lgkmcnt(0)
	s_barrier
	s_and_saveexec_b64 s[30:31], s[28:29]
	s_cbranch_execz .LBB93_97
; %bb.96:
	v_lshl_add_u32 v26, v1, 3, -8
	ds_read_b32 v44, v26
	ds_read_u8 v45, v26 offset:4
	v_mov_b32_e32 v27, 0
	v_and_b32_e32 v30, 1, v29
	v_cmp_eq_u16_sdwa s[28:29], v29, v27 src0_sel:BYTE_0 src1_sel:DWORD
	s_waitcnt lgkmcnt(1)
	v_cndmask_b32_e64 v26, 0, v44, s[28:29]
	v_cmp_eq_u32_e64 s[28:29], 1, v30
	v_add_u32_e32 v28, v26, v28
	s_waitcnt lgkmcnt(0)
	v_cndmask_b32_e64 v29, v45, 1, s[28:29]
.LBB93_97:
	s_or_b64 exec, exec, s[30:31]
	v_and_b32_e32 v26, 0xff, v29
	v_add_u32_e32 v27, -1, v48
	v_and_b32_e32 v29, 64, v48
	v_cmp_lt_i32_e64 s[28:29], v27, v29
	v_cndmask_b32_e64 v27, v27, v48, s[28:29]
	v_lshlrev_b32_e32 v27, 2, v27
	ds_bpermute_b32 v46, v27, v28
	ds_bpermute_b32 v47, v27, v26
	v_cmp_eq_u32_e64 s[28:29], 0, v48
	s_and_saveexec_b64 s[36:37], vcc
	s_cbranch_execz .LBB93_120
; %bb.98:
	v_mov_b32_e32 v29, 0
	ds_read_b64 v[26:27], v29 offset:24
	s_waitcnt lgkmcnt(0)
	v_readfirstlane_b32 s48, v27
	s_and_saveexec_b64 s[30:31], s[28:29]
	s_cbranch_execz .LBB93_100
; %bb.99:
	s_add_i32 s38, s47, 64
	s_mov_b32 s39, 0
	s_lshl_b64 s[40:41], s[38:39], 4
	s_add_u32 s40, s44, s40
	s_addc_u32 s41, s45, s41
	s_and_b32 s57, s48, 0xff000000
	s_mov_b32 s56, s39
	s_and_b32 s59, s48, 0xff0000
	s_mov_b32 s58, s39
	s_or_b64 s[56:57], s[58:59], s[56:57]
	s_and_b32 s59, s48, 0xff00
	s_or_b64 s[56:57], s[56:57], s[58:59]
	s_and_b32 s59, s48, 0xff
	s_or_b64 s[38:39], s[56:57], s[58:59]
	v_mov_b32_e32 v27, s39
	v_mov_b32_e32 v28, 1
	v_pk_mov_b32 v[30:31], s[40:41], s[40:41] op_sel:[0,1]
	;;#ASMSTART
	global_store_dwordx4 v[30:31], v[26:29] off	
s_waitcnt vmcnt(0)
	;;#ASMEND
.LBB93_100:
	s_or_b64 exec, exec, s[30:31]
	v_xad_u32 v34, v48, -1, s47
	v_add_u32_e32 v28, 64, v34
	v_lshlrev_b64 v[30:31], 4, v[28:29]
	v_mov_b32_e32 v27, s45
	v_add_co_u32_e32 v36, vcc, s44, v30
	v_addc_co_u32_e32 v37, vcc, v27, v31, vcc
	;;#ASMSTART
	global_load_dwordx4 v[30:33], v[36:37] off glc	
s_waitcnt vmcnt(0)
	;;#ASMEND
	v_and_b32_e32 v27, 0xff0000, v30
	v_or_b32_sdwa v27, v30, v27 dst_sel:DWORD dst_unused:UNUSED_PAD src0_sel:WORD_0 src1_sel:DWORD
	v_and_b32_e32 v28, 0xff000000, v30
	v_and_b32_e32 v30, 0xff, v31
	v_or3_b32 v31, 0, 0, v30
	v_or3_b32 v30, v27, v28, 0
	v_cmp_eq_u16_sdwa s[38:39], v32, v29 src0_sel:BYTE_0 src1_sel:DWORD
	s_and_saveexec_b64 s[30:31], s[38:39]
	s_cbranch_execz .LBB93_106
; %bb.101:
	s_mov_b32 s40, 1
	s_mov_b64 s[38:39], 0
	v_mov_b32_e32 v27, 0
.LBB93_102:                             ; =>This Loop Header: Depth=1
                                        ;     Child Loop BB93_103 Depth 2
	s_max_u32 s41, s40, 1
.LBB93_103:                             ;   Parent Loop BB93_102 Depth=1
                                        ; =>  This Inner Loop Header: Depth=2
	s_add_i32 s41, s41, -1
	s_cmp_eq_u32 s41, 0
	s_sleep 1
	s_cbranch_scc0 .LBB93_103
; %bb.104:                              ;   in Loop: Header=BB93_102 Depth=1
	s_cmp_lt_u32 s40, 32
	s_cselect_b64 s[56:57], -1, 0
	s_cmp_lg_u64 s[56:57], 0
	s_addc_u32 s40, s40, 0
	;;#ASMSTART
	global_load_dwordx4 v[30:33], v[36:37] off glc	
s_waitcnt vmcnt(0)
	;;#ASMEND
	v_cmp_ne_u16_sdwa s[56:57], v32, v27 src0_sel:BYTE_0 src1_sel:DWORD
	s_or_b64 s[38:39], s[56:57], s[38:39]
	s_andn2_b64 exec, exec, s[38:39]
	s_cbranch_execnz .LBB93_102
; %bb.105:
	s_or_b64 exec, exec, s[38:39]
	v_and_b32_e32 v31, 0xff, v31
.LBB93_106:
	s_or_b64 exec, exec, s[30:31]
	v_mov_b32_e32 v27, 2
	v_cmp_eq_u16_sdwa s[30:31], v32, v27 src0_sel:BYTE_0 src1_sel:DWORD
	v_lshlrev_b64 v[28:29], v48, -1
	v_and_b32_e32 v33, s31, v29
	v_or_b32_e32 v33, 0x80000000, v33
	v_and_b32_e32 v35, s30, v28
	v_ffbl_b32_e32 v33, v33
	v_and_b32_e32 v49, 63, v48
	v_add_u32_e32 v33, 32, v33
	v_ffbl_b32_e32 v35, v35
	v_cmp_ne_u32_e32 vcc, 63, v49
	v_min_u32_e32 v33, v35, v33
	v_addc_co_u32_e32 v35, vcc, 0, v48, vcc
	v_lshlrev_b32_e32 v50, 2, v35
	ds_bpermute_b32 v35, v50, v31
	ds_bpermute_b32 v36, v50, v30
	s_mov_b32 s38, 0
	v_and_b32_e32 v37, 1, v31
	s_mov_b32 s39, 1
	s_waitcnt lgkmcnt(1)
	v_and_b32_e32 v35, 1, v35
	v_cmp_eq_u32_e32 vcc, 1, v37
	v_cndmask_b32_e64 v35, v35, 1, vcc
	v_cmp_gt_u64_e32 vcc, s[38:39], v[30:31]
	v_cmp_lt_u32_e64 s[30:31], v49, v33
	s_and_b64 vcc, s[30:31], vcc
	v_and_b32_e32 v37, 0xffff, v35
	v_cndmask_b32_e64 v56, v31, v35, s[30:31]
	s_waitcnt lgkmcnt(0)
	v_cndmask_b32_e32 v35, 0, v36, vcc
	v_cmp_gt_u32_e32 vcc, 62, v49
	v_cndmask_b32_e64 v36, 0, 1, vcc
	v_lshlrev_b32_e32 v36, 1, v36
	v_cndmask_b32_e64 v31, v31, v37, s[30:31]
	v_add_lshl_u32 v51, v36, v48, 2
	ds_bpermute_b32 v36, v51, v31
	v_add_u32_e32 v30, v35, v30
	ds_bpermute_b32 v37, v51, v30
	v_and_b32_e32 v35, 1, v56
	v_cmp_eq_u32_e32 vcc, 1, v35
	s_waitcnt lgkmcnt(1)
	v_and_b32_e32 v36, 1, v36
	v_mov_b32_e32 v35, 0
	v_add_u32_e32 v55, 2, v49
	v_cndmask_b32_e64 v36, v36, 1, vcc
	v_cmp_eq_u16_sdwa vcc, v56, v35 src0_sel:BYTE_0 src1_sel:DWORD
	v_and_b32_e32 v57, 0xffff, v36
	s_waitcnt lgkmcnt(0)
	v_cndmask_b32_e32 v37, 0, v37, vcc
	v_cmp_gt_u32_e32 vcc, v55, v33
	v_cndmask_b32_e32 v36, v36, v56, vcc
	v_cndmask_b32_e64 v37, v37, 0, vcc
	v_cndmask_b32_e32 v31, v57, v31, vcc
	v_cmp_gt_u32_e32 vcc, 60, v49
	v_cndmask_b32_e64 v56, 0, 1, vcc
	v_lshlrev_b32_e32 v56, 2, v56
	v_add_lshl_u32 v56, v56, v48, 2
	ds_bpermute_b32 v58, v56, v31
	v_add_u32_e32 v30, v37, v30
	ds_bpermute_b32 v37, v56, v30
	v_and_b32_e32 v59, 1, v36
	v_cmp_eq_u32_e32 vcc, 1, v59
	s_waitcnt lgkmcnt(1)
	v_and_b32_e32 v58, 1, v58
	v_add_u32_e32 v57, 4, v49
	v_cndmask_b32_e64 v58, v58, 1, vcc
	v_cmp_eq_u16_sdwa vcc, v36, v35 src0_sel:BYTE_0 src1_sel:DWORD
	v_and_b32_e32 v59, 0xffff, v58
	s_waitcnt lgkmcnt(0)
	v_cndmask_b32_e32 v37, 0, v37, vcc
	v_cmp_gt_u32_e32 vcc, v57, v33
	v_cndmask_b32_e32 v36, v58, v36, vcc
	v_cndmask_b32_e64 v37, v37, 0, vcc
	v_cndmask_b32_e32 v31, v59, v31, vcc
	v_cmp_gt_u32_e32 vcc, 56, v49
	v_cndmask_b32_e64 v58, 0, 1, vcc
	v_lshlrev_b32_e32 v58, 3, v58
	v_add_lshl_u32 v58, v58, v48, 2
	ds_bpermute_b32 v60, v58, v31
	v_add_u32_e32 v30, v37, v30
	ds_bpermute_b32 v37, v58, v30
	v_and_b32_e32 v61, 1, v36
	v_cmp_eq_u32_e32 vcc, 1, v61
	s_waitcnt lgkmcnt(1)
	v_and_b32_e32 v60, 1, v60
	;; [unrolled: 21-line block ×4, first 2 shown]
	v_add_u32_e32 v64, 32, v49
	v_cndmask_b32_e64 v31, v31, 1, vcc
	v_cmp_eq_u16_sdwa vcc, v36, v35 src0_sel:BYTE_0 src1_sel:DWORD
	s_waitcnt lgkmcnt(0)
	v_cndmask_b32_e32 v37, 0, v37, vcc
	v_cmp_gt_u32_e32 vcc, v64, v33
	v_cndmask_b32_e64 v33, v37, 0, vcc
	v_cndmask_b32_e32 v31, v31, v36, vcc
	v_add_u32_e32 v30, v33, v30
	s_branch .LBB93_108
.LBB93_107:                             ;   in Loop: Header=BB93_108 Depth=1
	s_or_b64 exec, exec, s[30:31]
	v_cmp_eq_u16_sdwa s[30:31], v32, v27 src0_sel:BYTE_0 src1_sel:DWORD
	v_and_b32_e32 v33, s31, v29
	ds_bpermute_b32 v37, v50, v31
	v_or_b32_e32 v33, 0x80000000, v33
	v_and_b32_e32 v36, s30, v28
	v_ffbl_b32_e32 v33, v33
	v_add_u32_e32 v33, 32, v33
	v_ffbl_b32_e32 v36, v36
	v_min_u32_e32 v33, v36, v33
	ds_bpermute_b32 v36, v50, v30
	v_and_b32_e32 v65, 1, v31
	s_waitcnt lgkmcnt(1)
	v_and_b32_e32 v37, 1, v37
	v_cmp_eq_u32_e32 vcc, 1, v65
	v_cndmask_b32_e64 v37, v37, 1, vcc
	v_cmp_gt_u64_e32 vcc, s[38:39], v[30:31]
	v_and_b32_e32 v65, 0xffff, v37
	v_cmp_lt_u32_e64 s[30:31], v49, v33
	v_cndmask_b32_e64 v37, v31, v37, s[30:31]
	v_cndmask_b32_e64 v31, v31, v65, s[30:31]
	s_and_b64 vcc, s[30:31], vcc
	ds_bpermute_b32 v65, v51, v31
	s_waitcnt lgkmcnt(1)
	v_cndmask_b32_e32 v36, 0, v36, vcc
	v_add_u32_e32 v30, v36, v30
	ds_bpermute_b32 v36, v51, v30
	v_and_b32_e32 v66, 1, v37
	s_waitcnt lgkmcnt(1)
	v_and_b32_e32 v65, 1, v65
	v_cmp_eq_u32_e32 vcc, 1, v66
	v_cndmask_b32_e64 v65, v65, 1, vcc
	v_cmp_eq_u16_sdwa vcc, v37, v35 src0_sel:BYTE_0 src1_sel:DWORD
	v_and_b32_e32 v66, 0xffff, v65
	s_waitcnt lgkmcnt(0)
	v_cndmask_b32_e32 v36, 0, v36, vcc
	v_cmp_gt_u32_e32 vcc, v55, v33
	v_cndmask_b32_e32 v31, v66, v31, vcc
	v_cndmask_b32_e32 v37, v65, v37, vcc
	ds_bpermute_b32 v65, v56, v31
	v_cndmask_b32_e64 v36, v36, 0, vcc
	v_add_u32_e32 v30, v36, v30
	ds_bpermute_b32 v36, v56, v30
	v_and_b32_e32 v66, 1, v37
	s_waitcnt lgkmcnt(1)
	v_and_b32_e32 v65, 1, v65
	v_cmp_eq_u32_e32 vcc, 1, v66
	v_cndmask_b32_e64 v65, v65, 1, vcc
	v_cmp_eq_u16_sdwa vcc, v37, v35 src0_sel:BYTE_0 src1_sel:DWORD
	v_and_b32_e32 v66, 0xffff, v65
	s_waitcnt lgkmcnt(0)
	v_cndmask_b32_e32 v36, 0, v36, vcc
	v_cmp_gt_u32_e32 vcc, v57, v33
	v_cndmask_b32_e32 v31, v66, v31, vcc
	v_cndmask_b32_e32 v37, v65, v37, vcc
	ds_bpermute_b32 v65, v58, v31
	v_cndmask_b32_e64 v36, v36, 0, vcc
	;; [unrolled: 16-line block ×3, first 2 shown]
	v_add_u32_e32 v30, v36, v30
	ds_bpermute_b32 v36, v60, v30
	v_and_b32_e32 v66, 1, v37
	s_waitcnt lgkmcnt(1)
	v_and_b32_e32 v65, 1, v65
	v_cmp_eq_u32_e32 vcc, 1, v66
	v_cndmask_b32_e64 v65, v65, 1, vcc
	v_cmp_eq_u16_sdwa vcc, v37, v35 src0_sel:BYTE_0 src1_sel:DWORD
	v_and_b32_e32 v66, 0xffff, v65
	s_waitcnt lgkmcnt(0)
	v_cndmask_b32_e32 v36, 0, v36, vcc
	v_cmp_gt_u32_e32 vcc, v61, v33
	v_cndmask_b32_e64 v36, v36, 0, vcc
	v_cndmask_b32_e32 v31, v66, v31, vcc
	ds_bpermute_b32 v31, v63, v31
	v_add_u32_e32 v30, v36, v30
	ds_bpermute_b32 v36, v63, v30
	v_cndmask_b32_e32 v37, v65, v37, vcc
	v_and_b32_e32 v65, 1, v37
	v_cmp_eq_u32_e32 vcc, 1, v65
	s_waitcnt lgkmcnt(1)
	v_cndmask_b32_e64 v31, v31, 1, vcc
	v_cmp_eq_u16_sdwa vcc, v37, v35 src0_sel:BYTE_0 src1_sel:DWORD
	s_waitcnt lgkmcnt(0)
	v_cndmask_b32_e32 v36, 0, v36, vcc
	v_cmp_gt_u32_e32 vcc, v64, v33
	v_cndmask_b32_e64 v33, v36, 0, vcc
	v_cndmask_b32_e32 v31, v31, v37, vcc
	v_add_u32_e32 v30, v33, v30
	v_cmp_eq_u16_sdwa vcc, v48, v35 src0_sel:BYTE_0 src1_sel:DWORD
	v_and_b32_e32 v33, 1, v48
	v_cndmask_b32_e32 v30, 0, v30, vcc
	v_and_b32_e32 v31, 1, v31
	v_cmp_eq_u32_e32 vcc, 1, v33
	v_subrev_u32_e32 v34, 64, v34
	v_add_u32_e32 v30, v30, v62
	v_cndmask_b32_e64 v31, v31, 1, vcc
.LBB93_108:                             ; =>This Loop Header: Depth=1
                                        ;     Child Loop BB93_111 Depth 2
                                        ;       Child Loop BB93_112 Depth 3
	v_cmp_ne_u16_sdwa s[30:31], v32, v27 src0_sel:BYTE_0 src1_sel:DWORD
	v_mov_b32_e32 v48, v31
	v_cndmask_b32_e64 v31, 0, 1, s[30:31]
	;;#ASMSTART
	;;#ASMEND
	v_cmp_ne_u32_e32 vcc, 0, v31
	s_cmp_lg_u64 vcc, exec
	v_mov_b32_e32 v62, v30
	s_cbranch_scc1 .LBB93_115
; %bb.109:                              ;   in Loop: Header=BB93_108 Depth=1
	v_lshlrev_b64 v[30:31], 4, v[34:35]
	v_mov_b32_e32 v32, s45
	v_add_co_u32_e32 v36, vcc, s44, v30
	v_addc_co_u32_e32 v37, vcc, v32, v31, vcc
	;;#ASMSTART
	global_load_dwordx4 v[30:33], v[36:37] off glc	
s_waitcnt vmcnt(0)
	;;#ASMEND
	v_and_b32_e32 v33, 0xff0000, v30
	v_or_b32_sdwa v33, v30, v33 dst_sel:DWORD dst_unused:UNUSED_PAD src0_sel:WORD_0 src1_sel:DWORD
	v_and_b32_e32 v30, 0xff000000, v30
	v_and_b32_e32 v31, 0xff, v31
	v_or3_b32 v31, 0, 0, v31
	v_or3_b32 v30, v33, v30, 0
	v_cmp_eq_u16_sdwa s[40:41], v32, v35 src0_sel:BYTE_0 src1_sel:DWORD
	s_and_saveexec_b64 s[30:31], s[40:41]
	s_cbranch_execz .LBB93_107
; %bb.110:                              ;   in Loop: Header=BB93_108 Depth=1
	s_mov_b32 s49, 1
	s_mov_b64 s[40:41], 0
.LBB93_111:                             ;   Parent Loop BB93_108 Depth=1
                                        ; =>  This Loop Header: Depth=2
                                        ;       Child Loop BB93_112 Depth 3
	s_max_u32 s55, s49, 1
.LBB93_112:                             ;   Parent Loop BB93_108 Depth=1
                                        ;     Parent Loop BB93_111 Depth=2
                                        ; =>    This Inner Loop Header: Depth=3
	s_add_i32 s55, s55, -1
	s_cmp_eq_u32 s55, 0
	s_sleep 1
	s_cbranch_scc0 .LBB93_112
; %bb.113:                              ;   in Loop: Header=BB93_111 Depth=2
	s_cmp_lt_u32 s49, 32
	s_cselect_b64 s[56:57], -1, 0
	s_cmp_lg_u64 s[56:57], 0
	s_addc_u32 s49, s49, 0
	;;#ASMSTART
	global_load_dwordx4 v[30:33], v[36:37] off glc	
s_waitcnt vmcnt(0)
	;;#ASMEND
	v_cmp_ne_u16_sdwa s[56:57], v32, v35 src0_sel:BYTE_0 src1_sel:DWORD
	s_or_b64 s[40:41], s[56:57], s[40:41]
	s_andn2_b64 exec, exec, s[40:41]
	s_cbranch_execnz .LBB93_111
; %bb.114:                              ;   in Loop: Header=BB93_108 Depth=1
	s_or_b64 exec, exec, s[40:41]
	v_and_b32_e32 v31, 0xff, v31
	s_branch .LBB93_107
.LBB93_115:                             ;   in Loop: Header=BB93_108 Depth=1
                                        ; implicit-def: $vgpr31
                                        ; implicit-def: $vgpr30
                                        ; implicit-def: $vgpr32
	s_cbranch_execz .LBB93_108
; %bb.116:
	s_and_saveexec_b64 s[30:31], s[28:29]
	s_cbranch_execz .LBB93_118
; %bb.117:
	s_and_b32 s38, s48, 0xff
	s_cmp_eq_u32 s38, 0
	s_cselect_b64 vcc, -1, 0
	s_bitcmp1_b32 s48, 0
	s_mov_b32 s39, 0
	s_cselect_b64 s[40:41], -1, 0
	s_add_i32 s38, s47, 64
	s_lshl_b64 s[38:39], s[38:39], 4
	v_cndmask_b32_e32 v27, 0, v62, vcc
	s_add_u32 s38, s44, s38
	v_add_u32_e32 v26, v27, v26
	v_and_b32_e32 v27, 1, v48
	s_addc_u32 s39, s45, s39
	v_mov_b32_e32 v29, 0
	v_cndmask_b32_e64 v27, v27, 1, s[40:41]
	v_mov_b32_e32 v28, 2
	v_pk_mov_b32 v[30:31], s[38:39], s[38:39] op_sel:[0,1]
	;;#ASMSTART
	global_store_dwordx4 v[30:31], v[26:29] off	
s_waitcnt vmcnt(0)
	;;#ASMEND
.LBB93_118:
	s_or_b64 exec, exec, s[30:31]
	s_and_b64 exec, exec, s[0:1]
	s_cbranch_execz .LBB93_120
; %bb.119:
	v_mov_b32_e32 v26, 0
	ds_write_b32 v26, v62 offset:24
	ds_write_b8 v26, v48 offset:28
.LBB93_120:
	s_or_b64 exec, exec, s[36:37]
	v_mov_b32_e32 v28, 0
	s_waitcnt lgkmcnt(0)
	s_barrier
	ds_read_b32 v26, v28 offset:24
	v_cndmask_b32_e64 v27, v47, v45, s[28:29]
	v_cmp_eq_u16_sdwa vcc, v27, v28 src0_sel:BYTE_0 src1_sel:DWORD
	v_cndmask_b32_e64 v29, v46, v44, s[28:29]
	s_waitcnt lgkmcnt(0)
	v_cndmask_b32_e32 v27, 0, v26, vcc
	v_add_u32_e32 v27, v27, v29
	v_and_b32_e32 v29, 0xff, v41
	v_cndmask_b32_e64 v26, v27, v26, s[0:1]
	v_cmp_eq_u64_e32 vcc, 0, v[28:29]
	v_cndmask_b32_e32 v27, 0, v26, vcc
	v_add_u32_e32 v27, v27, v40
	v_cndmask_b32_e64 v28, 0, v27, s[4:5]
	v_add_u32_e32 v44, v28, v8
	v_cndmask_b32_e64 v28, 0, v44, s[6:7]
	;; [unrolled: 2-line block ×12, first 2 shown]
	v_add_u32_e32 v51, v28, v24
	s_branch .LBB93_147
.LBB93_121:
	s_or_b64 exec, exec, s[30:31]
                                        ; implicit-def: $vgpr14
	s_and_saveexec_b64 s[30:31], s[4:5]
	s_cbranch_execz .LBB93_37
.LBB93_122:
	v_add_co_u32_e32 v14, vcc, v1, v12
	v_addc_co_u32_e32 v15, vcc, 0, v48, vcc
	flat_load_dword v14, v[14:15] offset:1024
	s_or_b64 exec, exec, s[30:31]
                                        ; implicit-def: $vgpr15
	s_and_saveexec_b64 s[4:5], s[6:7]
	s_cbranch_execnz .LBB93_38
.LBB93_123:
	s_or_b64 exec, exec, s[4:5]
                                        ; implicit-def: $vgpr16
	s_and_saveexec_b64 s[4:5], s[8:9]
	s_cbranch_execz .LBB93_39
.LBB93_124:
	v_add_co_u32_e32 v16, vcc, v1, v12
	v_addc_co_u32_e32 v17, vcc, 0, v48, vcc
	flat_load_dword v16, v[16:17] offset:3072
	s_or_b64 exec, exec, s[4:5]
                                        ; implicit-def: $vgpr17
	s_and_saveexec_b64 s[4:5], s[10:11]
	s_cbranch_execnz .LBB93_40
.LBB93_125:
	s_or_b64 exec, exec, s[4:5]
                                        ; implicit-def: $vgpr2
	s_and_saveexec_b64 s[4:5], s[12:13]
	s_cbranch_execz .LBB93_41
.LBB93_126:
	v_lshlrev_b32_e32 v2, 2, v3
	v_add_co_u32_e32 v2, vcc, v1, v2
	v_addc_co_u32_e32 v3, vcc, 0, v48, vcc
	flat_load_dword v2, v[2:3]
	s_or_b64 exec, exec, s[4:5]
                                        ; implicit-def: $vgpr3
	s_and_saveexec_b64 s[4:5], s[14:15]
	s_cbranch_execnz .LBB93_42
.LBB93_127:
	s_or_b64 exec, exec, s[4:5]
                                        ; implicit-def: $vgpr4
	s_and_saveexec_b64 s[4:5], s[16:17]
	s_cbranch_execz .LBB93_43
.LBB93_128:
	v_lshlrev_b32_e32 v4, 2, v5
	v_add_co_u32_e32 v4, vcc, v1, v4
	v_addc_co_u32_e32 v5, vcc, 0, v48, vcc
	flat_load_dword v4, v[4:5]
	s_or_b64 exec, exec, s[4:5]
                                        ; implicit-def: $vgpr5
	s_and_saveexec_b64 s[4:5], s[18:19]
	s_cbranch_execnz .LBB93_44
.LBB93_129:
	s_or_b64 exec, exec, s[4:5]
                                        ; implicit-def: $vgpr6
	s_and_saveexec_b64 s[4:5], s[20:21]
	s_cbranch_execz .LBB93_45
.LBB93_130:
	v_lshlrev_b32_e32 v6, 2, v7
	v_add_co_u32_e32 v6, vcc, v1, v6
	v_addc_co_u32_e32 v7, vcc, 0, v48, vcc
	flat_load_dword v6, v[6:7]
	s_or_b64 exec, exec, s[4:5]
                                        ; implicit-def: $vgpr7
	s_and_saveexec_b64 s[4:5], s[22:23]
	s_cbranch_execnz .LBB93_46
.LBB93_131:
	s_or_b64 exec, exec, s[4:5]
                                        ; implicit-def: $vgpr8
	s_and_saveexec_b64 s[4:5], s[24:25]
	s_cbranch_execz .LBB93_47
.LBB93_132:
	v_lshlrev_b32_e32 v8, 2, v9
	v_add_co_u32_e32 v8, vcc, v1, v8
	v_addc_co_u32_e32 v9, vcc, 0, v48, vcc
	flat_load_dword v8, v[8:9]
	s_or_b64 exec, exec, s[4:5]
                                        ; implicit-def: $vgpr9
	s_and_saveexec_b64 s[4:5], s[26:27]
	s_cbranch_execz .LBB93_49
	s_branch .LBB93_48
.LBB93_133:
                                        ; implicit-def: $vgpr51
                                        ; implicit-def: $vgpr49
                                        ; implicit-def: $vgpr47
                                        ; implicit-def: $vgpr45
                                        ; implicit-def: $vgpr34_vgpr35_vgpr36_vgpr37
                                        ; implicit-def: $vgpr30_vgpr31_vgpr32_vgpr33
                                        ; implicit-def: $vgpr26_vgpr27_vgpr28_vgpr29
	s_cbranch_execz .LBB93_147
; %bb.134:
	s_cmp_lg_u64 s[52:53], 0
	s_cselect_b32 s5, s51, 0
	s_cselect_b32 s4, s50, 0
	s_mov_b32 s26, 0
	s_cmp_eq_u64 s[4:5], 0
	v_mov_b32_e32 v32, s54
	s_cbranch_scc1 .LBB93_136
; %bb.135:
	v_mov_b32_e32 v26, 0
	global_load_dword v32, v26, s[4:5]
.LBB93_136:
	s_mov_b32 s27, 1
	v_cmp_gt_u64_e32 vcc, s[26:27], v[8:9]
	v_cndmask_b32_e32 v27, 0, v40, vcc
	v_add_u32_e32 v27, v27, v8
	v_cmp_gt_u64_e64 s[4:5], s[26:27], v[6:7]
	v_cndmask_b32_e64 v27, 0, v27, s[4:5]
	v_add_u32_e32 v27, v27, v6
	v_cmp_gt_u64_e64 s[6:7], s[26:27], v[4:5]
	v_cndmask_b32_e64 v27, 0, v27, s[6:7]
	;; [unrolled: 3-line block ×11, first 2 shown]
	v_mov_b32_e32 v26, 0
	v_add_u32_e32 v27, v27, v24
	v_cmp_gt_u64_e64 s[26:27], s[26:27], v[42:43]
	v_or3_b32 v7, v23, v15, v7
	v_cndmask_b32_e64 v27, 0, v27, s[26:27]
	v_or3_b32 v9, v25, v17, v9
	v_and_b32_e32 v35, 1, v7
	v_mov_b32_e32 v34, v26
	v_add_u32_e32 v33, v27, v42
	v_and_b32_e32 v27, 1, v43
	v_or3_b32 v3, v19, v11, v3
	v_and_b32_e32 v31, 1, v9
	v_mov_b32_e32 v30, v26
	v_cmp_ne_u64_e64 s[28:29], 0, v[34:35]
	v_cmp_eq_u32_e64 s[26:27], 1, v27
	v_or3_b32 v5, v21, v13, v5
	v_and_b32_e32 v27, 1, v3
	v_cndmask_b32_e64 v3, 0, 1, s[28:29]
	v_cmp_ne_u64_e64 s[28:29], 0, v[30:31]
	v_and_b32_e32 v29, 1, v5
	v_mov_b32_e32 v28, v26
	v_cndmask_b32_e64 v5, 0, 1, s[28:29]
	v_lshlrev_b16_e32 v3, 2, v3
	v_lshlrev_b16_e32 v5, 3, v5
	v_cmp_ne_u64_e64 s[28:29], 0, v[28:29]
	v_or_b32_e32 v3, v5, v3
	v_cndmask_b32_e64 v5, 0, 1, s[28:29]
	v_cmp_ne_u64_e64 s[28:29], 0, v[26:27]
	v_lshlrev_b16_e32 v5, 1, v5
	v_cndmask_b32_e64 v7, 0, 1, s[28:29]
	v_or_b32_e32 v5, v7, v5
	v_and_b32_e32 v5, 3, v5
	v_or_b32_e32 v3, v5, v3
	v_and_b32_e32 v3, 15, v3
	v_cmp_ne_u16_e64 s[28:29], 0, v3
	s_or_b64 s[26:27], s[26:27], s[28:29]
	v_cndmask_b32_e64 v5, v41, 1, s[26:27]
	v_and_b32_e32 v7, 0xff, v5
	v_mov_b32_dpp v11, v33 row_shr:1 row_mask:0xf bank_mask:0xf
	v_cmp_eq_u16_e64 s[26:27], 0, v7
	v_mov_b32_dpp v13, v7 row_shr:1 row_mask:0xf bank_mask:0xf
	v_and_b32_e32 v15, 1, v5
	v_mbcnt_hi_u32_b32 v3, -1, v54
	v_cndmask_b32_e64 v11, 0, v11, s[26:27]
	v_and_b32_e32 v13, 1, v13
	v_cmp_eq_u32_e64 s[26:27], 1, v15
	v_and_b32_e32 v9, 15, v3
	v_cndmask_b32_e64 v13, v13, 1, s[26:27]
	v_and_b32_e32 v15, 0xffff, v13
	v_cmp_eq_u32_e64 s[26:27], 0, v9
	v_cndmask_b32_e64 v5, v13, v5, s[26:27]
	v_cndmask_b32_e64 v7, v15, v7, s[26:27]
	v_and_b32_e32 v17, 1, v5
	v_cndmask_b32_e64 v11, v11, 0, s[26:27]
	v_mov_b32_dpp v15, v7 row_shr:2 row_mask:0xf bank_mask:0xf
	v_and_b32_e32 v15, 1, v15
	v_cmp_eq_u32_e64 s[26:27], 1, v17
	v_cndmask_b32_e64 v15, v15, 1, s[26:27]
	v_and_b32_e32 v17, 0xffff, v15
	v_cmp_lt_u32_e64 s[26:27], 1, v9
	v_add_u32_e32 v11, v11, v33
	v_cmp_eq_u16_sdwa s[28:29], v5, v26 src0_sel:BYTE_0 src1_sel:DWORD
	v_cndmask_b32_e64 v5, v5, v15, s[26:27]
	v_cndmask_b32_e64 v7, v7, v17, s[26:27]
	v_mov_b32_dpp v13, v11 row_shr:2 row_mask:0xf bank_mask:0xf
	s_and_b64 s[26:27], s[26:27], s[28:29]
	v_mov_b32_dpp v15, v7 row_shr:4 row_mask:0xf bank_mask:0xf
	v_and_b32_e32 v17, 1, v5
	v_cndmask_b32_e64 v13, 0, v13, s[26:27]
	v_and_b32_e32 v15, 1, v15
	v_cmp_eq_u32_e64 s[26:27], 1, v17
	v_cndmask_b32_e64 v15, v15, 1, s[26:27]
	v_and_b32_e32 v17, 0xffff, v15
	v_cmp_lt_u32_e64 s[26:27], 3, v9
	v_add_u32_e32 v11, v13, v11
	v_cmp_eq_u16_sdwa s[28:29], v5, v26 src0_sel:BYTE_0 src1_sel:DWORD
	v_cndmask_b32_e64 v5, v5, v15, s[26:27]
	v_cndmask_b32_e64 v7, v7, v17, s[26:27]
	v_mov_b32_dpp v13, v11 row_shr:4 row_mask:0xf bank_mask:0xf
	s_and_b64 s[26:27], s[26:27], s[28:29]
	v_mov_b32_dpp v15, v7 row_shr:8 row_mask:0xf bank_mask:0xf
	v_and_b32_e32 v17, 1, v5
	v_cndmask_b32_e64 v13, 0, v13, s[26:27]
	v_and_b32_e32 v15, 1, v15
	v_cmp_eq_u32_e64 s[26:27], 1, v17
	v_cndmask_b32_e64 v15, v15, 1, s[26:27]
	v_add_u32_e32 v11, v13, v11
	v_cmp_eq_u16_sdwa s[28:29], v5, v26 src0_sel:BYTE_0 src1_sel:DWORD
	v_and_b32_e32 v17, 0xffff, v15
	v_cmp_lt_u32_e64 s[26:27], 7, v9
	v_mov_b32_dpp v13, v11 row_shr:8 row_mask:0xf bank_mask:0xf
	v_cndmask_b32_e64 v5, v5, v15, s[26:27]
	v_cndmask_b32_e64 v7, v7, v17, s[26:27]
	s_and_b64 s[26:27], s[26:27], s[28:29]
	v_cndmask_b32_e64 v9, 0, v13, s[26:27]
	v_add_u32_e32 v9, v9, v11
	v_mov_b32_dpp v13, v7 row_bcast:15 row_mask:0xf bank_mask:0xf
	v_cmp_eq_u16_sdwa s[26:27], v5, v26 src0_sel:BYTE_0 src1_sel:DWORD
	v_mov_b32_dpp v11, v9 row_bcast:15 row_mask:0xf bank_mask:0xf
	v_and_b32_e32 v19, 1, v5
	v_cndmask_b32_e64 v11, 0, v11, s[26:27]
	v_and_b32_e32 v13, 1, v13
	v_cmp_eq_u32_e64 s[26:27], 1, v19
	v_and_b32_e32 v17, 16, v3
	v_cndmask_b32_e64 v13, v13, 1, s[26:27]
	v_and_b32_e32 v19, 0xffff, v13
	v_cmp_eq_u32_e64 s[26:27], 0, v17
	v_cndmask_b32_e64 v5, v13, v5, s[26:27]
	v_cndmask_b32_e64 v7, v19, v7, s[26:27]
	v_bfe_i32 v15, v3, 4, 1
	v_and_b32_e32 v13, 1, v5
	v_mov_b32_dpp v7, v7 row_bcast:31 row_mask:0xf bank_mask:0xf
	v_and_b32_e32 v11, v15, v11
	v_and_b32_e32 v7, 1, v7
	v_cmp_eq_u32_e64 s[26:27], 1, v13
	v_add_u32_e32 v9, v11, v9
	v_cmp_eq_u16_sdwa s[28:29], v5, v26 src0_sel:BYTE_0 src1_sel:DWORD
	v_cndmask_b32_e64 v7, v7, 1, s[26:27]
	v_cmp_lt_u32_e64 s[26:27], 31, v3
	v_mov_b32_dpp v11, v9 row_bcast:31 row_mask:0xf bank_mask:0xf
	v_cndmask_b32_e64 v5, v5, v7, s[26:27]
	s_and_b64 s[26:27], s[26:27], s[28:29]
	v_cndmask_b32_e64 v7, 0, v11, s[26:27]
	v_add_u32_e32 v7, v7, v9
	v_cmp_eq_u32_e64 s[26:27], v53, v0
	s_and_saveexec_b64 s[28:29], s[26:27]
	s_cbranch_execz .LBB93_138
; %bb.137:
	v_lshlrev_b32_e32 v9, 3, v1
	ds_write_b32 v9, v7
	ds_write_b8 v9, v5 offset:4
.LBB93_138:
	s_or_b64 exec, exec, s[28:29]
	v_cmp_gt_u32_e64 s[26:27], 4, v0
	s_waitcnt lgkmcnt(0)
	s_barrier
	s_and_saveexec_b64 s[28:29], s[26:27]
	s_cbranch_execz .LBB93_142
; %bb.139:
	v_lshlrev_b32_e32 v9, 3, v0
	ds_read_b64 v[26:27], v9
	v_and_b32_e32 v11, 3, v3
	v_cmp_ne_u32_e64 s[26:27], 0, v11
	s_waitcnt lgkmcnt(0)
	v_mov_b32_dpp v13, v26 row_shr:1 row_mask:0xf bank_mask:0xf
	v_mov_b32_dpp v17, v27 row_shr:1 row_mask:0xf bank_mask:0xf
	v_mov_b32_e32 v15, v27
	s_and_saveexec_b64 s[30:31], s[26:27]
	s_cbranch_execz .LBB93_141
; %bb.140:
	v_and_b32_e32 v15, 1, v27
	v_and_b32_e32 v17, 1, v17
	v_cmp_eq_u32_e64 s[26:27], 1, v15
	v_mov_b32_e32 v15, 0
	v_cndmask_b32_e64 v17, v17, 1, s[26:27]
	v_cmp_eq_u16_sdwa s[26:27], v27, v15 src0_sel:BYTE_0 src1_sel:DWORD
	v_cndmask_b32_e64 v13, 0, v13, s[26:27]
	v_add_u32_e32 v26, v13, v26
	v_and_b32_e32 v13, 0xffff, v17
	s_movk_i32 s26, 0xff00
	v_and_or_b32 v15, v27, s26, v13
	v_mov_b32_e32 v27, v17
.LBB93_141:
	s_or_b64 exec, exec, s[30:31]
	v_mov_b32_dpp v15, v15 row_shr:2 row_mask:0xf bank_mask:0xf
	v_and_b32_e32 v17, 1, v27
	v_and_b32_e32 v15, 1, v15
	v_cmp_eq_u32_e64 s[26:27], 1, v17
	v_mov_b32_e32 v17, 0
	v_cndmask_b32_e64 v15, v15, 1, s[26:27]
	v_cmp_eq_u16_sdwa s[30:31], v27, v17 src0_sel:BYTE_0 src1_sel:DWORD
	v_cmp_lt_u32_e64 s[26:27], 1, v11
	v_mov_b32_dpp v13, v26 row_shr:2 row_mask:0xf bank_mask:0xf
	v_cndmask_b32_e64 v11, v27, v15, s[26:27]
	s_and_b64 s[26:27], s[26:27], s[30:31]
	v_cndmask_b32_e64 v13, 0, v13, s[26:27]
	v_add_u32_e32 v13, v13, v26
	ds_write_b32 v9, v13
	ds_write_b8 v9, v11 offset:4
.LBB93_142:
	s_or_b64 exec, exec, s[28:29]
	v_cmp_lt_u32_e64 s[26:27], 63, v0
	s_waitcnt vmcnt(0)
	v_mov_b32_e32 v9, v32
	s_waitcnt lgkmcnt(0)
	s_barrier
	s_and_saveexec_b64 s[28:29], s[26:27]
	s_cbranch_execz .LBB93_144
; %bb.143:
	v_lshl_add_u32 v1, v1, 3, -8
	ds_read_u8 v9, v1 offset:4
	ds_read_b32 v1, v1
	s_waitcnt lgkmcnt(1)
	v_cmp_eq_u16_e64 s[26:27], 0, v9
	v_cndmask_b32_e64 v9, 0, v32, s[26:27]
	s_waitcnt lgkmcnt(0)
	v_add_u32_e32 v9, v9, v1
.LBB93_144:
	s_or_b64 exec, exec, s[28:29]
	v_mov_b32_e32 v28, 0
	v_cmp_eq_u16_sdwa s[26:27], v5, v28 src0_sel:BYTE_0 src1_sel:DWORD
	v_cndmask_b32_e64 v1, 0, v9, s[26:27]
	v_add_u32_e32 v1, v1, v7
	v_add_u32_e32 v5, -1, v3
	v_and_b32_e32 v7, 64, v3
	v_cmp_lt_i32_e64 s[26:27], v5, v7
	v_cndmask_b32_e64 v5, v5, v3, s[26:27]
	v_lshlrev_b32_e32 v5, 2, v5
	ds_bpermute_b32 v1, v5, v1
	v_cmp_eq_u32_e64 s[26:27], 0, v3
	v_and_b32_e32 v29, 0xff, v41
	s_waitcnt lgkmcnt(0)
	v_cndmask_b32_e64 v26, v1, v9, s[26:27]
	v_cndmask_b32_e64 v1, v26, v32, s[0:1]
	v_cmp_eq_u64_e64 s[26:27], 0, v[28:29]
	v_cndmask_b32_e64 v1, 0, v1, s[26:27]
	v_add_u32_e32 v27, v1, v40
	v_cndmask_b32_e32 v1, 0, v27, vcc
	v_add_u32_e32 v44, v1, v8
	v_cndmask_b32_e64 v1, 0, v44, s[4:5]
	v_add_u32_e32 v45, v1, v6
	v_cndmask_b32_e64 v1, 0, v45, s[6:7]
	;; [unrolled: 2-line block ×11, first 2 shown]
	s_and_saveexec_b64 s[4:5], s[0:1]
	s_cbranch_execz .LBB93_146
; %bb.145:
	ds_read_u8 v3, v28 offset:28
	ds_read_b32 v2, v28 offset:24
	s_add_u32 s0, s44, 0x400
	s_addc_u32 s1, s45, 0
	v_mov_b32_e32 v5, v28
	s_waitcnt lgkmcnt(1)
	v_cmp_eq_u16_e32 vcc, 0, v3
	v_cndmask_b32_e32 v4, 0, v32, vcc
	s_waitcnt lgkmcnt(0)
	v_add_u32_e32 v2, v4, v2
	v_and_b32_e32 v3, 0xffff, v3
	v_mov_b32_e32 v4, 2
	v_pk_mov_b32 v[6:7], s[0:1], s[0:1] op_sel:[0,1]
	;;#ASMSTART
	global_store_dwordx4 v[6:7], v[2:5] off	
s_waitcnt vmcnt(0)
	;;#ASMEND
	v_mov_b32_e32 v26, v32
.LBB93_146:
	s_or_b64 exec, exec, s[4:5]
	v_add_u32_e32 v51, v1, v24
.LBB93_147:
	s_add_u32 s0, s42, s34
	s_addc_u32 s1, s43, s35
	v_mov_b32_e32 v1, s1
	v_add_co_u32_e32 v18, vcc, s0, v38
	v_addc_co_u32_e32 v19, vcc, v1, v39, vcc
	v_mul_u32_u24_e32 v1, 14, v0
	s_and_b64 vcc, exec, s[2:3]
	v_lshlrev_b32_e32 v2, 2, v1
	s_cbranch_vccz .LBB93_175
; %bb.148:
	s_movk_i32 s0, 0xffcc
	v_mad_i32_i24 v3, v0, s0, v2
	s_barrier
	ds_write2_b64 v2, v[26:27], v[44:45] offset1:1
	ds_write2_b64 v2, v[30:31], v[46:47] offset0:2 offset1:3
	ds_write2_b64 v2, v[34:35], v[48:49] offset0:4 offset1:5
	ds_write_b64 v2, v[50:51] offset:48
	s_waitcnt lgkmcnt(0)
	s_barrier
	ds_read2st64_b32 v[16:17], v3 offset0:4 offset1:8
	ds_read2st64_b32 v[14:15], v3 offset0:12 offset1:16
	;; [unrolled: 1-line block ×6, first 2 shown]
	ds_read_b32 v3, v3 offset:13312
	v_add_co_u32_e32 v6, vcc, v18, v52
	s_add_i32 s33, s33, s46
	v_addc_co_u32_e32 v7, vcc, 0, v19, vcc
	v_mov_b32_e32 v1, 0
	v_cmp_gt_u32_e32 vcc, s33, v0
	s_and_saveexec_b64 s[0:1], vcc
	s_cbranch_execz .LBB93_150
; %bb.149:
	v_mul_i32_i24_e32 v20, 0xffffffcc, v0
	v_add_u32_e32 v20, v2, v20
	ds_read_b32 v20, v20
	s_waitcnt lgkmcnt(0)
	flat_store_dword v[6:7], v20
.LBB93_150:
	s_or_b64 exec, exec, s[0:1]
	v_or_b32_e32 v20, 0x100, v0
	v_cmp_gt_u32_e32 vcc, s33, v20
	s_and_saveexec_b64 s[0:1], vcc
	s_cbranch_execz .LBB93_152
; %bb.151:
	s_waitcnt lgkmcnt(0)
	flat_store_dword v[6:7], v16 offset:1024
.LBB93_152:
	s_or_b64 exec, exec, s[0:1]
	s_waitcnt lgkmcnt(0)
	v_or_b32_e32 v16, 0x200, v0
	v_cmp_gt_u32_e32 vcc, s33, v16
	s_and_saveexec_b64 s[0:1], vcc
	s_cbranch_execz .LBB93_154
; %bb.153:
	flat_store_dword v[6:7], v17 offset:2048
.LBB93_154:
	s_or_b64 exec, exec, s[0:1]
	v_or_b32_e32 v16, 0x300, v0
	v_cmp_gt_u32_e32 vcc, s33, v16
	s_and_saveexec_b64 s[0:1], vcc
	s_cbranch_execz .LBB93_156
; %bb.155:
	flat_store_dword v[6:7], v14 offset:3072
.LBB93_156:
	s_or_b64 exec, exec, s[0:1]
	v_or_b32_e32 v14, 0x400, v0
	v_cmp_gt_u32_e32 vcc, s33, v14
	s_and_saveexec_b64 s[0:1], vcc
	s_cbranch_execz .LBB93_158
; %bb.157:
	v_add_co_u32_e32 v16, vcc, 0x1000, v6
	v_addc_co_u32_e32 v17, vcc, 0, v7, vcc
	flat_store_dword v[16:17], v15
.LBB93_158:
	s_or_b64 exec, exec, s[0:1]
	v_or_b32_e32 v14, 0x500, v0
	v_cmp_gt_u32_e32 vcc, s33, v14
	s_and_saveexec_b64 s[0:1], vcc
	s_cbranch_execz .LBB93_160
; %bb.159:
	v_add_co_u32_e32 v14, vcc, 0x1000, v6
	v_addc_co_u32_e32 v15, vcc, 0, v7, vcc
	flat_store_dword v[14:15], v12 offset:1024
.LBB93_160:
	s_or_b64 exec, exec, s[0:1]
	v_or_b32_e32 v12, 0x600, v0
	v_cmp_gt_u32_e32 vcc, s33, v12
	s_and_saveexec_b64 s[0:1], vcc
	s_cbranch_execz .LBB93_162
; %bb.161:
	v_add_co_u32_e32 v14, vcc, 0x1000, v6
	v_addc_co_u32_e32 v15, vcc, 0, v7, vcc
	flat_store_dword v[14:15], v13 offset:2048
.LBB93_162:
	;; [unrolled: 10-line block ×3, first 2 shown]
	s_or_b64 exec, exec, s[0:1]
	v_or_b32_e32 v10, 0x800, v0
	v_cmp_gt_u32_e32 vcc, s33, v10
	s_and_saveexec_b64 s[0:1], vcc
	s_cbranch_execz .LBB93_166
; %bb.165:
	v_add_co_u32_e32 v12, vcc, 0x2000, v6
	v_addc_co_u32_e32 v13, vcc, 0, v7, vcc
	flat_store_dword v[12:13], v11
.LBB93_166:
	s_or_b64 exec, exec, s[0:1]
	v_or_b32_e32 v10, 0x900, v0
	v_cmp_gt_u32_e32 vcc, s33, v10
	s_and_saveexec_b64 s[0:1], vcc
	s_cbranch_execz .LBB93_168
; %bb.167:
	v_add_co_u32_e32 v10, vcc, 0x2000, v6
	v_addc_co_u32_e32 v11, vcc, 0, v7, vcc
	flat_store_dword v[10:11], v8 offset:1024
.LBB93_168:
	s_or_b64 exec, exec, s[0:1]
	v_or_b32_e32 v8, 0xa00, v0
	v_cmp_gt_u32_e32 vcc, s33, v8
	s_and_saveexec_b64 s[0:1], vcc
	s_cbranch_execz .LBB93_170
; %bb.169:
	v_add_co_u32_e32 v10, vcc, 0x2000, v6
	v_addc_co_u32_e32 v11, vcc, 0, v7, vcc
	flat_store_dword v[10:11], v9 offset:2048
.LBB93_170:
	;; [unrolled: 10-line block ×3, first 2 shown]
	s_or_b64 exec, exec, s[0:1]
	v_or_b32_e32 v4, 0xc00, v0
	v_cmp_gt_u32_e32 vcc, s33, v4
	s_and_saveexec_b64 s[0:1], vcc
	s_cbranch_execz .LBB93_174
; %bb.173:
	v_add_co_u32_e32 v6, vcc, 0x3000, v6
	v_addc_co_u32_e32 v7, vcc, 0, v7, vcc
	flat_store_dword v[6:7], v5
.LBB93_174:
	s_or_b64 exec, exec, s[0:1]
	v_or_b32_e32 v4, 0xd00, v0
	v_cmp_gt_u32_e64 s[0:1], s33, v4
	s_branch .LBB93_177
.LBB93_175:
	s_mov_b64 s[0:1], 0
                                        ; implicit-def: $vgpr3
	s_cbranch_execz .LBB93_177
; %bb.176:
	s_movk_i32 s2, 0xffcc
	s_waitcnt lgkmcnt(0)
	s_barrier
	ds_write2_b64 v2, v[26:27], v[44:45] offset1:1
	ds_write2_b64 v2, v[30:31], v[46:47] offset0:2 offset1:3
	ds_write2_b64 v2, v[34:35], v[48:49] offset0:4 offset1:5
	ds_write_b64 v2, v[50:51] offset:48
	v_mad_i32_i24 v2, v0, s2, v2
	v_add_co_u32_e32 v16, vcc, v18, v52
	s_waitcnt lgkmcnt(0)
	s_barrier
	ds_read2st64_b32 v[4:5], v2 offset1:4
	ds_read2st64_b32 v[6:7], v2 offset0:8 offset1:12
	ds_read2st64_b32 v[8:9], v2 offset0:16 offset1:20
	;; [unrolled: 1-line block ×6, first 2 shown]
	v_addc_co_u32_e32 v17, vcc, 0, v19, vcc
	s_movk_i32 s2, 0x1000
	s_waitcnt lgkmcnt(0)
	flat_store_dword v[16:17], v4
	flat_store_dword v[16:17], v5 offset:1024
	flat_store_dword v[16:17], v6 offset:2048
	;; [unrolled: 1-line block ×3, first 2 shown]
	v_add_co_u32_e32 v4, vcc, s2, v16
	v_addc_co_u32_e32 v5, vcc, 0, v17, vcc
	flat_store_dword v[4:5], v8
	flat_store_dword v[4:5], v9 offset:1024
	flat_store_dword v[4:5], v10 offset:2048
	flat_store_dword v[4:5], v11 offset:3072
	v_add_co_u32_e32 v4, vcc, 0x2000, v16
	v_addc_co_u32_e32 v5, vcc, 0, v17, vcc
	flat_store_dword v[4:5], v12
	flat_store_dword v[4:5], v13 offset:1024
	flat_store_dword v[4:5], v14 offset:2048
	;; [unrolled: 1-line block ×3, first 2 shown]
	v_add_co_u32_e32 v4, vcc, 0x3000, v16
	v_mov_b32_e32 v1, 0
	v_addc_co_u32_e32 v5, vcc, 0, v17, vcc
	s_or_b64 s[0:1], s[0:1], exec
	flat_store_dword v[4:5], v2
.LBB93_177:
	s_and_saveexec_b64 s[2:3], s[0:1]
	s_cbranch_execz .LBB93_179
; %bb.178:
	v_lshlrev_b64 v[0:1], 2, v[0:1]
	v_add_co_u32_e32 v0, vcc, v18, v0
	v_addc_co_u32_e32 v1, vcc, v19, v1, vcc
	v_add_co_u32_e32 v0, vcc, 0x3000, v0
	v_addc_co_u32_e32 v1, vcc, 0, v1, vcc
	flat_store_dword v[0:1], v3 offset:1024
	s_endpgm
.LBB93_179:
	s_endpgm
	.section	.rodata,"a",@progbits
	.p2align	6, 0x0
	.amdhsa_kernel _ZN7rocprim17ROCPRIM_400000_NS6detail17trampoline_kernelINS0_14default_configENS1_27scan_by_key_config_selectorIiiEEZZNS1_16scan_by_key_implILNS1_25lookback_scan_determinismE0ELb1ES3_N6thrust23THRUST_200600_302600_NS6detail15normal_iteratorINS9_10device_ptrIiEEEESE_SE_iNS9_4plusIvEENS9_8equal_toIvEEiEE10hipError_tPvRmT2_T3_T4_T5_mT6_T7_P12ihipStream_tbENKUlT_T0_E_clISt17integral_constantIbLb1EESZ_EEDaSU_SV_EUlSU_E_NS1_11comp_targetILNS1_3genE4ELNS1_11target_archE910ELNS1_3gpuE8ELNS1_3repE0EEENS1_30default_config_static_selectorELNS0_4arch9wavefront6targetE1EEEvT1_
		.amdhsa_group_segment_fixed_size 16384
		.amdhsa_private_segment_fixed_size 0
		.amdhsa_kernarg_size 112
		.amdhsa_user_sgpr_count 6
		.amdhsa_user_sgpr_private_segment_buffer 1
		.amdhsa_user_sgpr_dispatch_ptr 0
		.amdhsa_user_sgpr_queue_ptr 0
		.amdhsa_user_sgpr_kernarg_segment_ptr 1
		.amdhsa_user_sgpr_dispatch_id 0
		.amdhsa_user_sgpr_flat_scratch_init 0
		.amdhsa_user_sgpr_kernarg_preload_length 0
		.amdhsa_user_sgpr_kernarg_preload_offset 0
		.amdhsa_user_sgpr_private_segment_size 0
		.amdhsa_uses_dynamic_stack 0
		.amdhsa_system_sgpr_private_segment_wavefront_offset 0
		.amdhsa_system_sgpr_workgroup_id_x 1
		.amdhsa_system_sgpr_workgroup_id_y 0
		.amdhsa_system_sgpr_workgroup_id_z 0
		.amdhsa_system_sgpr_workgroup_info 0
		.amdhsa_system_vgpr_workitem_id 0
		.amdhsa_next_free_vgpr 67
		.amdhsa_next_free_sgpr 60
		.amdhsa_accum_offset 68
		.amdhsa_reserve_vcc 1
		.amdhsa_reserve_flat_scratch 0
		.amdhsa_float_round_mode_32 0
		.amdhsa_float_round_mode_16_64 0
		.amdhsa_float_denorm_mode_32 3
		.amdhsa_float_denorm_mode_16_64 3
		.amdhsa_dx10_clamp 1
		.amdhsa_ieee_mode 1
		.amdhsa_fp16_overflow 0
		.amdhsa_tg_split 0
		.amdhsa_exception_fp_ieee_invalid_op 0
		.amdhsa_exception_fp_denorm_src 0
		.amdhsa_exception_fp_ieee_div_zero 0
		.amdhsa_exception_fp_ieee_overflow 0
		.amdhsa_exception_fp_ieee_underflow 0
		.amdhsa_exception_fp_ieee_inexact 0
		.amdhsa_exception_int_div_zero 0
	.end_amdhsa_kernel
	.section	.text._ZN7rocprim17ROCPRIM_400000_NS6detail17trampoline_kernelINS0_14default_configENS1_27scan_by_key_config_selectorIiiEEZZNS1_16scan_by_key_implILNS1_25lookback_scan_determinismE0ELb1ES3_N6thrust23THRUST_200600_302600_NS6detail15normal_iteratorINS9_10device_ptrIiEEEESE_SE_iNS9_4plusIvEENS9_8equal_toIvEEiEE10hipError_tPvRmT2_T3_T4_T5_mT6_T7_P12ihipStream_tbENKUlT_T0_E_clISt17integral_constantIbLb1EESZ_EEDaSU_SV_EUlSU_E_NS1_11comp_targetILNS1_3genE4ELNS1_11target_archE910ELNS1_3gpuE8ELNS1_3repE0EEENS1_30default_config_static_selectorELNS0_4arch9wavefront6targetE1EEEvT1_,"axG",@progbits,_ZN7rocprim17ROCPRIM_400000_NS6detail17trampoline_kernelINS0_14default_configENS1_27scan_by_key_config_selectorIiiEEZZNS1_16scan_by_key_implILNS1_25lookback_scan_determinismE0ELb1ES3_N6thrust23THRUST_200600_302600_NS6detail15normal_iteratorINS9_10device_ptrIiEEEESE_SE_iNS9_4plusIvEENS9_8equal_toIvEEiEE10hipError_tPvRmT2_T3_T4_T5_mT6_T7_P12ihipStream_tbENKUlT_T0_E_clISt17integral_constantIbLb1EESZ_EEDaSU_SV_EUlSU_E_NS1_11comp_targetILNS1_3genE4ELNS1_11target_archE910ELNS1_3gpuE8ELNS1_3repE0EEENS1_30default_config_static_selectorELNS0_4arch9wavefront6targetE1EEEvT1_,comdat
.Lfunc_end93:
	.size	_ZN7rocprim17ROCPRIM_400000_NS6detail17trampoline_kernelINS0_14default_configENS1_27scan_by_key_config_selectorIiiEEZZNS1_16scan_by_key_implILNS1_25lookback_scan_determinismE0ELb1ES3_N6thrust23THRUST_200600_302600_NS6detail15normal_iteratorINS9_10device_ptrIiEEEESE_SE_iNS9_4plusIvEENS9_8equal_toIvEEiEE10hipError_tPvRmT2_T3_T4_T5_mT6_T7_P12ihipStream_tbENKUlT_T0_E_clISt17integral_constantIbLb1EESZ_EEDaSU_SV_EUlSU_E_NS1_11comp_targetILNS1_3genE4ELNS1_11target_archE910ELNS1_3gpuE8ELNS1_3repE0EEENS1_30default_config_static_selectorELNS0_4arch9wavefront6targetE1EEEvT1_, .Lfunc_end93-_ZN7rocprim17ROCPRIM_400000_NS6detail17trampoline_kernelINS0_14default_configENS1_27scan_by_key_config_selectorIiiEEZZNS1_16scan_by_key_implILNS1_25lookback_scan_determinismE0ELb1ES3_N6thrust23THRUST_200600_302600_NS6detail15normal_iteratorINS9_10device_ptrIiEEEESE_SE_iNS9_4plusIvEENS9_8equal_toIvEEiEE10hipError_tPvRmT2_T3_T4_T5_mT6_T7_P12ihipStream_tbENKUlT_T0_E_clISt17integral_constantIbLb1EESZ_EEDaSU_SV_EUlSU_E_NS1_11comp_targetILNS1_3genE4ELNS1_11target_archE910ELNS1_3gpuE8ELNS1_3repE0EEENS1_30default_config_static_selectorELNS0_4arch9wavefront6targetE1EEEvT1_
                                        ; -- End function
	.section	.AMDGPU.csdata,"",@progbits
; Kernel info:
; codeLenInByte = 11288
; NumSgprs: 64
; NumVgprs: 67
; NumAgprs: 0
; TotalNumVgprs: 67
; ScratchSize: 0
; MemoryBound: 0
; FloatMode: 240
; IeeeMode: 1
; LDSByteSize: 16384 bytes/workgroup (compile time only)
; SGPRBlocks: 7
; VGPRBlocks: 8
; NumSGPRsForWavesPerEU: 64
; NumVGPRsForWavesPerEU: 67
; AccumOffset: 68
; Occupancy: 4
; WaveLimiterHint : 1
; COMPUTE_PGM_RSRC2:SCRATCH_EN: 0
; COMPUTE_PGM_RSRC2:USER_SGPR: 6
; COMPUTE_PGM_RSRC2:TRAP_HANDLER: 0
; COMPUTE_PGM_RSRC2:TGID_X_EN: 1
; COMPUTE_PGM_RSRC2:TGID_Y_EN: 0
; COMPUTE_PGM_RSRC2:TGID_Z_EN: 0
; COMPUTE_PGM_RSRC2:TIDIG_COMP_CNT: 0
; COMPUTE_PGM_RSRC3_GFX90A:ACCUM_OFFSET: 16
; COMPUTE_PGM_RSRC3_GFX90A:TG_SPLIT: 0
	.section	.text._ZN7rocprim17ROCPRIM_400000_NS6detail17trampoline_kernelINS0_14default_configENS1_27scan_by_key_config_selectorIiiEEZZNS1_16scan_by_key_implILNS1_25lookback_scan_determinismE0ELb1ES3_N6thrust23THRUST_200600_302600_NS6detail15normal_iteratorINS9_10device_ptrIiEEEESE_SE_iNS9_4plusIvEENS9_8equal_toIvEEiEE10hipError_tPvRmT2_T3_T4_T5_mT6_T7_P12ihipStream_tbENKUlT_T0_E_clISt17integral_constantIbLb1EESZ_EEDaSU_SV_EUlSU_E_NS1_11comp_targetILNS1_3genE3ELNS1_11target_archE908ELNS1_3gpuE7ELNS1_3repE0EEENS1_30default_config_static_selectorELNS0_4arch9wavefront6targetE1EEEvT1_,"axG",@progbits,_ZN7rocprim17ROCPRIM_400000_NS6detail17trampoline_kernelINS0_14default_configENS1_27scan_by_key_config_selectorIiiEEZZNS1_16scan_by_key_implILNS1_25lookback_scan_determinismE0ELb1ES3_N6thrust23THRUST_200600_302600_NS6detail15normal_iteratorINS9_10device_ptrIiEEEESE_SE_iNS9_4plusIvEENS9_8equal_toIvEEiEE10hipError_tPvRmT2_T3_T4_T5_mT6_T7_P12ihipStream_tbENKUlT_T0_E_clISt17integral_constantIbLb1EESZ_EEDaSU_SV_EUlSU_E_NS1_11comp_targetILNS1_3genE3ELNS1_11target_archE908ELNS1_3gpuE7ELNS1_3repE0EEENS1_30default_config_static_selectorELNS0_4arch9wavefront6targetE1EEEvT1_,comdat
	.protected	_ZN7rocprim17ROCPRIM_400000_NS6detail17trampoline_kernelINS0_14default_configENS1_27scan_by_key_config_selectorIiiEEZZNS1_16scan_by_key_implILNS1_25lookback_scan_determinismE0ELb1ES3_N6thrust23THRUST_200600_302600_NS6detail15normal_iteratorINS9_10device_ptrIiEEEESE_SE_iNS9_4plusIvEENS9_8equal_toIvEEiEE10hipError_tPvRmT2_T3_T4_T5_mT6_T7_P12ihipStream_tbENKUlT_T0_E_clISt17integral_constantIbLb1EESZ_EEDaSU_SV_EUlSU_E_NS1_11comp_targetILNS1_3genE3ELNS1_11target_archE908ELNS1_3gpuE7ELNS1_3repE0EEENS1_30default_config_static_selectorELNS0_4arch9wavefront6targetE1EEEvT1_ ; -- Begin function _ZN7rocprim17ROCPRIM_400000_NS6detail17trampoline_kernelINS0_14default_configENS1_27scan_by_key_config_selectorIiiEEZZNS1_16scan_by_key_implILNS1_25lookback_scan_determinismE0ELb1ES3_N6thrust23THRUST_200600_302600_NS6detail15normal_iteratorINS9_10device_ptrIiEEEESE_SE_iNS9_4plusIvEENS9_8equal_toIvEEiEE10hipError_tPvRmT2_T3_T4_T5_mT6_T7_P12ihipStream_tbENKUlT_T0_E_clISt17integral_constantIbLb1EESZ_EEDaSU_SV_EUlSU_E_NS1_11comp_targetILNS1_3genE3ELNS1_11target_archE908ELNS1_3gpuE7ELNS1_3repE0EEENS1_30default_config_static_selectorELNS0_4arch9wavefront6targetE1EEEvT1_
	.globl	_ZN7rocprim17ROCPRIM_400000_NS6detail17trampoline_kernelINS0_14default_configENS1_27scan_by_key_config_selectorIiiEEZZNS1_16scan_by_key_implILNS1_25lookback_scan_determinismE0ELb1ES3_N6thrust23THRUST_200600_302600_NS6detail15normal_iteratorINS9_10device_ptrIiEEEESE_SE_iNS9_4plusIvEENS9_8equal_toIvEEiEE10hipError_tPvRmT2_T3_T4_T5_mT6_T7_P12ihipStream_tbENKUlT_T0_E_clISt17integral_constantIbLb1EESZ_EEDaSU_SV_EUlSU_E_NS1_11comp_targetILNS1_3genE3ELNS1_11target_archE908ELNS1_3gpuE7ELNS1_3repE0EEENS1_30default_config_static_selectorELNS0_4arch9wavefront6targetE1EEEvT1_
	.p2align	8
	.type	_ZN7rocprim17ROCPRIM_400000_NS6detail17trampoline_kernelINS0_14default_configENS1_27scan_by_key_config_selectorIiiEEZZNS1_16scan_by_key_implILNS1_25lookback_scan_determinismE0ELb1ES3_N6thrust23THRUST_200600_302600_NS6detail15normal_iteratorINS9_10device_ptrIiEEEESE_SE_iNS9_4plusIvEENS9_8equal_toIvEEiEE10hipError_tPvRmT2_T3_T4_T5_mT6_T7_P12ihipStream_tbENKUlT_T0_E_clISt17integral_constantIbLb1EESZ_EEDaSU_SV_EUlSU_E_NS1_11comp_targetILNS1_3genE3ELNS1_11target_archE908ELNS1_3gpuE7ELNS1_3repE0EEENS1_30default_config_static_selectorELNS0_4arch9wavefront6targetE1EEEvT1_,@function
_ZN7rocprim17ROCPRIM_400000_NS6detail17trampoline_kernelINS0_14default_configENS1_27scan_by_key_config_selectorIiiEEZZNS1_16scan_by_key_implILNS1_25lookback_scan_determinismE0ELb1ES3_N6thrust23THRUST_200600_302600_NS6detail15normal_iteratorINS9_10device_ptrIiEEEESE_SE_iNS9_4plusIvEENS9_8equal_toIvEEiEE10hipError_tPvRmT2_T3_T4_T5_mT6_T7_P12ihipStream_tbENKUlT_T0_E_clISt17integral_constantIbLb1EESZ_EEDaSU_SV_EUlSU_E_NS1_11comp_targetILNS1_3genE3ELNS1_11target_archE908ELNS1_3gpuE7ELNS1_3repE0EEENS1_30default_config_static_selectorELNS0_4arch9wavefront6targetE1EEEvT1_: ; @_ZN7rocprim17ROCPRIM_400000_NS6detail17trampoline_kernelINS0_14default_configENS1_27scan_by_key_config_selectorIiiEEZZNS1_16scan_by_key_implILNS1_25lookback_scan_determinismE0ELb1ES3_N6thrust23THRUST_200600_302600_NS6detail15normal_iteratorINS9_10device_ptrIiEEEESE_SE_iNS9_4plusIvEENS9_8equal_toIvEEiEE10hipError_tPvRmT2_T3_T4_T5_mT6_T7_P12ihipStream_tbENKUlT_T0_E_clISt17integral_constantIbLb1EESZ_EEDaSU_SV_EUlSU_E_NS1_11comp_targetILNS1_3genE3ELNS1_11target_archE908ELNS1_3gpuE7ELNS1_3repE0EEENS1_30default_config_static_selectorELNS0_4arch9wavefront6targetE1EEEvT1_
; %bb.0:
	.section	.rodata,"a",@progbits
	.p2align	6, 0x0
	.amdhsa_kernel _ZN7rocprim17ROCPRIM_400000_NS6detail17trampoline_kernelINS0_14default_configENS1_27scan_by_key_config_selectorIiiEEZZNS1_16scan_by_key_implILNS1_25lookback_scan_determinismE0ELb1ES3_N6thrust23THRUST_200600_302600_NS6detail15normal_iteratorINS9_10device_ptrIiEEEESE_SE_iNS9_4plusIvEENS9_8equal_toIvEEiEE10hipError_tPvRmT2_T3_T4_T5_mT6_T7_P12ihipStream_tbENKUlT_T0_E_clISt17integral_constantIbLb1EESZ_EEDaSU_SV_EUlSU_E_NS1_11comp_targetILNS1_3genE3ELNS1_11target_archE908ELNS1_3gpuE7ELNS1_3repE0EEENS1_30default_config_static_selectorELNS0_4arch9wavefront6targetE1EEEvT1_
		.amdhsa_group_segment_fixed_size 0
		.amdhsa_private_segment_fixed_size 0
		.amdhsa_kernarg_size 112
		.amdhsa_user_sgpr_count 6
		.amdhsa_user_sgpr_private_segment_buffer 1
		.amdhsa_user_sgpr_dispatch_ptr 0
		.amdhsa_user_sgpr_queue_ptr 0
		.amdhsa_user_sgpr_kernarg_segment_ptr 1
		.amdhsa_user_sgpr_dispatch_id 0
		.amdhsa_user_sgpr_flat_scratch_init 0
		.amdhsa_user_sgpr_kernarg_preload_length 0
		.amdhsa_user_sgpr_kernarg_preload_offset 0
		.amdhsa_user_sgpr_private_segment_size 0
		.amdhsa_uses_dynamic_stack 0
		.amdhsa_system_sgpr_private_segment_wavefront_offset 0
		.amdhsa_system_sgpr_workgroup_id_x 1
		.amdhsa_system_sgpr_workgroup_id_y 0
		.amdhsa_system_sgpr_workgroup_id_z 0
		.amdhsa_system_sgpr_workgroup_info 0
		.amdhsa_system_vgpr_workitem_id 0
		.amdhsa_next_free_vgpr 1
		.amdhsa_next_free_sgpr 0
		.amdhsa_accum_offset 4
		.amdhsa_reserve_vcc 0
		.amdhsa_reserve_flat_scratch 0
		.amdhsa_float_round_mode_32 0
		.amdhsa_float_round_mode_16_64 0
		.amdhsa_float_denorm_mode_32 3
		.amdhsa_float_denorm_mode_16_64 3
		.amdhsa_dx10_clamp 1
		.amdhsa_ieee_mode 1
		.amdhsa_fp16_overflow 0
		.amdhsa_tg_split 0
		.amdhsa_exception_fp_ieee_invalid_op 0
		.amdhsa_exception_fp_denorm_src 0
		.amdhsa_exception_fp_ieee_div_zero 0
		.amdhsa_exception_fp_ieee_overflow 0
		.amdhsa_exception_fp_ieee_underflow 0
		.amdhsa_exception_fp_ieee_inexact 0
		.amdhsa_exception_int_div_zero 0
	.end_amdhsa_kernel
	.section	.text._ZN7rocprim17ROCPRIM_400000_NS6detail17trampoline_kernelINS0_14default_configENS1_27scan_by_key_config_selectorIiiEEZZNS1_16scan_by_key_implILNS1_25lookback_scan_determinismE0ELb1ES3_N6thrust23THRUST_200600_302600_NS6detail15normal_iteratorINS9_10device_ptrIiEEEESE_SE_iNS9_4plusIvEENS9_8equal_toIvEEiEE10hipError_tPvRmT2_T3_T4_T5_mT6_T7_P12ihipStream_tbENKUlT_T0_E_clISt17integral_constantIbLb1EESZ_EEDaSU_SV_EUlSU_E_NS1_11comp_targetILNS1_3genE3ELNS1_11target_archE908ELNS1_3gpuE7ELNS1_3repE0EEENS1_30default_config_static_selectorELNS0_4arch9wavefront6targetE1EEEvT1_,"axG",@progbits,_ZN7rocprim17ROCPRIM_400000_NS6detail17trampoline_kernelINS0_14default_configENS1_27scan_by_key_config_selectorIiiEEZZNS1_16scan_by_key_implILNS1_25lookback_scan_determinismE0ELb1ES3_N6thrust23THRUST_200600_302600_NS6detail15normal_iteratorINS9_10device_ptrIiEEEESE_SE_iNS9_4plusIvEENS9_8equal_toIvEEiEE10hipError_tPvRmT2_T3_T4_T5_mT6_T7_P12ihipStream_tbENKUlT_T0_E_clISt17integral_constantIbLb1EESZ_EEDaSU_SV_EUlSU_E_NS1_11comp_targetILNS1_3genE3ELNS1_11target_archE908ELNS1_3gpuE7ELNS1_3repE0EEENS1_30default_config_static_selectorELNS0_4arch9wavefront6targetE1EEEvT1_,comdat
.Lfunc_end94:
	.size	_ZN7rocprim17ROCPRIM_400000_NS6detail17trampoline_kernelINS0_14default_configENS1_27scan_by_key_config_selectorIiiEEZZNS1_16scan_by_key_implILNS1_25lookback_scan_determinismE0ELb1ES3_N6thrust23THRUST_200600_302600_NS6detail15normal_iteratorINS9_10device_ptrIiEEEESE_SE_iNS9_4plusIvEENS9_8equal_toIvEEiEE10hipError_tPvRmT2_T3_T4_T5_mT6_T7_P12ihipStream_tbENKUlT_T0_E_clISt17integral_constantIbLb1EESZ_EEDaSU_SV_EUlSU_E_NS1_11comp_targetILNS1_3genE3ELNS1_11target_archE908ELNS1_3gpuE7ELNS1_3repE0EEENS1_30default_config_static_selectorELNS0_4arch9wavefront6targetE1EEEvT1_, .Lfunc_end94-_ZN7rocprim17ROCPRIM_400000_NS6detail17trampoline_kernelINS0_14default_configENS1_27scan_by_key_config_selectorIiiEEZZNS1_16scan_by_key_implILNS1_25lookback_scan_determinismE0ELb1ES3_N6thrust23THRUST_200600_302600_NS6detail15normal_iteratorINS9_10device_ptrIiEEEESE_SE_iNS9_4plusIvEENS9_8equal_toIvEEiEE10hipError_tPvRmT2_T3_T4_T5_mT6_T7_P12ihipStream_tbENKUlT_T0_E_clISt17integral_constantIbLb1EESZ_EEDaSU_SV_EUlSU_E_NS1_11comp_targetILNS1_3genE3ELNS1_11target_archE908ELNS1_3gpuE7ELNS1_3repE0EEENS1_30default_config_static_selectorELNS0_4arch9wavefront6targetE1EEEvT1_
                                        ; -- End function
	.section	.AMDGPU.csdata,"",@progbits
; Kernel info:
; codeLenInByte = 0
; NumSgprs: 4
; NumVgprs: 0
; NumAgprs: 0
; TotalNumVgprs: 0
; ScratchSize: 0
; MemoryBound: 0
; FloatMode: 240
; IeeeMode: 1
; LDSByteSize: 0 bytes/workgroup (compile time only)
; SGPRBlocks: 0
; VGPRBlocks: 0
; NumSGPRsForWavesPerEU: 4
; NumVGPRsForWavesPerEU: 1
; AccumOffset: 4
; Occupancy: 8
; WaveLimiterHint : 0
; COMPUTE_PGM_RSRC2:SCRATCH_EN: 0
; COMPUTE_PGM_RSRC2:USER_SGPR: 6
; COMPUTE_PGM_RSRC2:TRAP_HANDLER: 0
; COMPUTE_PGM_RSRC2:TGID_X_EN: 1
; COMPUTE_PGM_RSRC2:TGID_Y_EN: 0
; COMPUTE_PGM_RSRC2:TGID_Z_EN: 0
; COMPUTE_PGM_RSRC2:TIDIG_COMP_CNT: 0
; COMPUTE_PGM_RSRC3_GFX90A:ACCUM_OFFSET: 0
; COMPUTE_PGM_RSRC3_GFX90A:TG_SPLIT: 0
	.section	.text._ZN7rocprim17ROCPRIM_400000_NS6detail17trampoline_kernelINS0_14default_configENS1_27scan_by_key_config_selectorIiiEEZZNS1_16scan_by_key_implILNS1_25lookback_scan_determinismE0ELb1ES3_N6thrust23THRUST_200600_302600_NS6detail15normal_iteratorINS9_10device_ptrIiEEEESE_SE_iNS9_4plusIvEENS9_8equal_toIvEEiEE10hipError_tPvRmT2_T3_T4_T5_mT6_T7_P12ihipStream_tbENKUlT_T0_E_clISt17integral_constantIbLb1EESZ_EEDaSU_SV_EUlSU_E_NS1_11comp_targetILNS1_3genE2ELNS1_11target_archE906ELNS1_3gpuE6ELNS1_3repE0EEENS1_30default_config_static_selectorELNS0_4arch9wavefront6targetE1EEEvT1_,"axG",@progbits,_ZN7rocprim17ROCPRIM_400000_NS6detail17trampoline_kernelINS0_14default_configENS1_27scan_by_key_config_selectorIiiEEZZNS1_16scan_by_key_implILNS1_25lookback_scan_determinismE0ELb1ES3_N6thrust23THRUST_200600_302600_NS6detail15normal_iteratorINS9_10device_ptrIiEEEESE_SE_iNS9_4plusIvEENS9_8equal_toIvEEiEE10hipError_tPvRmT2_T3_T4_T5_mT6_T7_P12ihipStream_tbENKUlT_T0_E_clISt17integral_constantIbLb1EESZ_EEDaSU_SV_EUlSU_E_NS1_11comp_targetILNS1_3genE2ELNS1_11target_archE906ELNS1_3gpuE6ELNS1_3repE0EEENS1_30default_config_static_selectorELNS0_4arch9wavefront6targetE1EEEvT1_,comdat
	.protected	_ZN7rocprim17ROCPRIM_400000_NS6detail17trampoline_kernelINS0_14default_configENS1_27scan_by_key_config_selectorIiiEEZZNS1_16scan_by_key_implILNS1_25lookback_scan_determinismE0ELb1ES3_N6thrust23THRUST_200600_302600_NS6detail15normal_iteratorINS9_10device_ptrIiEEEESE_SE_iNS9_4plusIvEENS9_8equal_toIvEEiEE10hipError_tPvRmT2_T3_T4_T5_mT6_T7_P12ihipStream_tbENKUlT_T0_E_clISt17integral_constantIbLb1EESZ_EEDaSU_SV_EUlSU_E_NS1_11comp_targetILNS1_3genE2ELNS1_11target_archE906ELNS1_3gpuE6ELNS1_3repE0EEENS1_30default_config_static_selectorELNS0_4arch9wavefront6targetE1EEEvT1_ ; -- Begin function _ZN7rocprim17ROCPRIM_400000_NS6detail17trampoline_kernelINS0_14default_configENS1_27scan_by_key_config_selectorIiiEEZZNS1_16scan_by_key_implILNS1_25lookback_scan_determinismE0ELb1ES3_N6thrust23THRUST_200600_302600_NS6detail15normal_iteratorINS9_10device_ptrIiEEEESE_SE_iNS9_4plusIvEENS9_8equal_toIvEEiEE10hipError_tPvRmT2_T3_T4_T5_mT6_T7_P12ihipStream_tbENKUlT_T0_E_clISt17integral_constantIbLb1EESZ_EEDaSU_SV_EUlSU_E_NS1_11comp_targetILNS1_3genE2ELNS1_11target_archE906ELNS1_3gpuE6ELNS1_3repE0EEENS1_30default_config_static_selectorELNS0_4arch9wavefront6targetE1EEEvT1_
	.globl	_ZN7rocprim17ROCPRIM_400000_NS6detail17trampoline_kernelINS0_14default_configENS1_27scan_by_key_config_selectorIiiEEZZNS1_16scan_by_key_implILNS1_25lookback_scan_determinismE0ELb1ES3_N6thrust23THRUST_200600_302600_NS6detail15normal_iteratorINS9_10device_ptrIiEEEESE_SE_iNS9_4plusIvEENS9_8equal_toIvEEiEE10hipError_tPvRmT2_T3_T4_T5_mT6_T7_P12ihipStream_tbENKUlT_T0_E_clISt17integral_constantIbLb1EESZ_EEDaSU_SV_EUlSU_E_NS1_11comp_targetILNS1_3genE2ELNS1_11target_archE906ELNS1_3gpuE6ELNS1_3repE0EEENS1_30default_config_static_selectorELNS0_4arch9wavefront6targetE1EEEvT1_
	.p2align	8
	.type	_ZN7rocprim17ROCPRIM_400000_NS6detail17trampoline_kernelINS0_14default_configENS1_27scan_by_key_config_selectorIiiEEZZNS1_16scan_by_key_implILNS1_25lookback_scan_determinismE0ELb1ES3_N6thrust23THRUST_200600_302600_NS6detail15normal_iteratorINS9_10device_ptrIiEEEESE_SE_iNS9_4plusIvEENS9_8equal_toIvEEiEE10hipError_tPvRmT2_T3_T4_T5_mT6_T7_P12ihipStream_tbENKUlT_T0_E_clISt17integral_constantIbLb1EESZ_EEDaSU_SV_EUlSU_E_NS1_11comp_targetILNS1_3genE2ELNS1_11target_archE906ELNS1_3gpuE6ELNS1_3repE0EEENS1_30default_config_static_selectorELNS0_4arch9wavefront6targetE1EEEvT1_,@function
_ZN7rocprim17ROCPRIM_400000_NS6detail17trampoline_kernelINS0_14default_configENS1_27scan_by_key_config_selectorIiiEEZZNS1_16scan_by_key_implILNS1_25lookback_scan_determinismE0ELb1ES3_N6thrust23THRUST_200600_302600_NS6detail15normal_iteratorINS9_10device_ptrIiEEEESE_SE_iNS9_4plusIvEENS9_8equal_toIvEEiEE10hipError_tPvRmT2_T3_T4_T5_mT6_T7_P12ihipStream_tbENKUlT_T0_E_clISt17integral_constantIbLb1EESZ_EEDaSU_SV_EUlSU_E_NS1_11comp_targetILNS1_3genE2ELNS1_11target_archE906ELNS1_3gpuE6ELNS1_3repE0EEENS1_30default_config_static_selectorELNS0_4arch9wavefront6targetE1EEEvT1_: ; @_ZN7rocprim17ROCPRIM_400000_NS6detail17trampoline_kernelINS0_14default_configENS1_27scan_by_key_config_selectorIiiEEZZNS1_16scan_by_key_implILNS1_25lookback_scan_determinismE0ELb1ES3_N6thrust23THRUST_200600_302600_NS6detail15normal_iteratorINS9_10device_ptrIiEEEESE_SE_iNS9_4plusIvEENS9_8equal_toIvEEiEE10hipError_tPvRmT2_T3_T4_T5_mT6_T7_P12ihipStream_tbENKUlT_T0_E_clISt17integral_constantIbLb1EESZ_EEDaSU_SV_EUlSU_E_NS1_11comp_targetILNS1_3genE2ELNS1_11target_archE906ELNS1_3gpuE6ELNS1_3repE0EEENS1_30default_config_static_selectorELNS0_4arch9wavefront6targetE1EEEvT1_
; %bb.0:
	.section	.rodata,"a",@progbits
	.p2align	6, 0x0
	.amdhsa_kernel _ZN7rocprim17ROCPRIM_400000_NS6detail17trampoline_kernelINS0_14default_configENS1_27scan_by_key_config_selectorIiiEEZZNS1_16scan_by_key_implILNS1_25lookback_scan_determinismE0ELb1ES3_N6thrust23THRUST_200600_302600_NS6detail15normal_iteratorINS9_10device_ptrIiEEEESE_SE_iNS9_4plusIvEENS9_8equal_toIvEEiEE10hipError_tPvRmT2_T3_T4_T5_mT6_T7_P12ihipStream_tbENKUlT_T0_E_clISt17integral_constantIbLb1EESZ_EEDaSU_SV_EUlSU_E_NS1_11comp_targetILNS1_3genE2ELNS1_11target_archE906ELNS1_3gpuE6ELNS1_3repE0EEENS1_30default_config_static_selectorELNS0_4arch9wavefront6targetE1EEEvT1_
		.amdhsa_group_segment_fixed_size 0
		.amdhsa_private_segment_fixed_size 0
		.amdhsa_kernarg_size 112
		.amdhsa_user_sgpr_count 6
		.amdhsa_user_sgpr_private_segment_buffer 1
		.amdhsa_user_sgpr_dispatch_ptr 0
		.amdhsa_user_sgpr_queue_ptr 0
		.amdhsa_user_sgpr_kernarg_segment_ptr 1
		.amdhsa_user_sgpr_dispatch_id 0
		.amdhsa_user_sgpr_flat_scratch_init 0
		.amdhsa_user_sgpr_kernarg_preload_length 0
		.amdhsa_user_sgpr_kernarg_preload_offset 0
		.amdhsa_user_sgpr_private_segment_size 0
		.amdhsa_uses_dynamic_stack 0
		.amdhsa_system_sgpr_private_segment_wavefront_offset 0
		.amdhsa_system_sgpr_workgroup_id_x 1
		.amdhsa_system_sgpr_workgroup_id_y 0
		.amdhsa_system_sgpr_workgroup_id_z 0
		.amdhsa_system_sgpr_workgroup_info 0
		.amdhsa_system_vgpr_workitem_id 0
		.amdhsa_next_free_vgpr 1
		.amdhsa_next_free_sgpr 0
		.amdhsa_accum_offset 4
		.amdhsa_reserve_vcc 0
		.amdhsa_reserve_flat_scratch 0
		.amdhsa_float_round_mode_32 0
		.amdhsa_float_round_mode_16_64 0
		.amdhsa_float_denorm_mode_32 3
		.amdhsa_float_denorm_mode_16_64 3
		.amdhsa_dx10_clamp 1
		.amdhsa_ieee_mode 1
		.amdhsa_fp16_overflow 0
		.amdhsa_tg_split 0
		.amdhsa_exception_fp_ieee_invalid_op 0
		.amdhsa_exception_fp_denorm_src 0
		.amdhsa_exception_fp_ieee_div_zero 0
		.amdhsa_exception_fp_ieee_overflow 0
		.amdhsa_exception_fp_ieee_underflow 0
		.amdhsa_exception_fp_ieee_inexact 0
		.amdhsa_exception_int_div_zero 0
	.end_amdhsa_kernel
	.section	.text._ZN7rocprim17ROCPRIM_400000_NS6detail17trampoline_kernelINS0_14default_configENS1_27scan_by_key_config_selectorIiiEEZZNS1_16scan_by_key_implILNS1_25lookback_scan_determinismE0ELb1ES3_N6thrust23THRUST_200600_302600_NS6detail15normal_iteratorINS9_10device_ptrIiEEEESE_SE_iNS9_4plusIvEENS9_8equal_toIvEEiEE10hipError_tPvRmT2_T3_T4_T5_mT6_T7_P12ihipStream_tbENKUlT_T0_E_clISt17integral_constantIbLb1EESZ_EEDaSU_SV_EUlSU_E_NS1_11comp_targetILNS1_3genE2ELNS1_11target_archE906ELNS1_3gpuE6ELNS1_3repE0EEENS1_30default_config_static_selectorELNS0_4arch9wavefront6targetE1EEEvT1_,"axG",@progbits,_ZN7rocprim17ROCPRIM_400000_NS6detail17trampoline_kernelINS0_14default_configENS1_27scan_by_key_config_selectorIiiEEZZNS1_16scan_by_key_implILNS1_25lookback_scan_determinismE0ELb1ES3_N6thrust23THRUST_200600_302600_NS6detail15normal_iteratorINS9_10device_ptrIiEEEESE_SE_iNS9_4plusIvEENS9_8equal_toIvEEiEE10hipError_tPvRmT2_T3_T4_T5_mT6_T7_P12ihipStream_tbENKUlT_T0_E_clISt17integral_constantIbLb1EESZ_EEDaSU_SV_EUlSU_E_NS1_11comp_targetILNS1_3genE2ELNS1_11target_archE906ELNS1_3gpuE6ELNS1_3repE0EEENS1_30default_config_static_selectorELNS0_4arch9wavefront6targetE1EEEvT1_,comdat
.Lfunc_end95:
	.size	_ZN7rocprim17ROCPRIM_400000_NS6detail17trampoline_kernelINS0_14default_configENS1_27scan_by_key_config_selectorIiiEEZZNS1_16scan_by_key_implILNS1_25lookback_scan_determinismE0ELb1ES3_N6thrust23THRUST_200600_302600_NS6detail15normal_iteratorINS9_10device_ptrIiEEEESE_SE_iNS9_4plusIvEENS9_8equal_toIvEEiEE10hipError_tPvRmT2_T3_T4_T5_mT6_T7_P12ihipStream_tbENKUlT_T0_E_clISt17integral_constantIbLb1EESZ_EEDaSU_SV_EUlSU_E_NS1_11comp_targetILNS1_3genE2ELNS1_11target_archE906ELNS1_3gpuE6ELNS1_3repE0EEENS1_30default_config_static_selectorELNS0_4arch9wavefront6targetE1EEEvT1_, .Lfunc_end95-_ZN7rocprim17ROCPRIM_400000_NS6detail17trampoline_kernelINS0_14default_configENS1_27scan_by_key_config_selectorIiiEEZZNS1_16scan_by_key_implILNS1_25lookback_scan_determinismE0ELb1ES3_N6thrust23THRUST_200600_302600_NS6detail15normal_iteratorINS9_10device_ptrIiEEEESE_SE_iNS9_4plusIvEENS9_8equal_toIvEEiEE10hipError_tPvRmT2_T3_T4_T5_mT6_T7_P12ihipStream_tbENKUlT_T0_E_clISt17integral_constantIbLb1EESZ_EEDaSU_SV_EUlSU_E_NS1_11comp_targetILNS1_3genE2ELNS1_11target_archE906ELNS1_3gpuE6ELNS1_3repE0EEENS1_30default_config_static_selectorELNS0_4arch9wavefront6targetE1EEEvT1_
                                        ; -- End function
	.section	.AMDGPU.csdata,"",@progbits
; Kernel info:
; codeLenInByte = 0
; NumSgprs: 4
; NumVgprs: 0
; NumAgprs: 0
; TotalNumVgprs: 0
; ScratchSize: 0
; MemoryBound: 0
; FloatMode: 240
; IeeeMode: 1
; LDSByteSize: 0 bytes/workgroup (compile time only)
; SGPRBlocks: 0
; VGPRBlocks: 0
; NumSGPRsForWavesPerEU: 4
; NumVGPRsForWavesPerEU: 1
; AccumOffset: 4
; Occupancy: 8
; WaveLimiterHint : 0
; COMPUTE_PGM_RSRC2:SCRATCH_EN: 0
; COMPUTE_PGM_RSRC2:USER_SGPR: 6
; COMPUTE_PGM_RSRC2:TRAP_HANDLER: 0
; COMPUTE_PGM_RSRC2:TGID_X_EN: 1
; COMPUTE_PGM_RSRC2:TGID_Y_EN: 0
; COMPUTE_PGM_RSRC2:TGID_Z_EN: 0
; COMPUTE_PGM_RSRC2:TIDIG_COMP_CNT: 0
; COMPUTE_PGM_RSRC3_GFX90A:ACCUM_OFFSET: 0
; COMPUTE_PGM_RSRC3_GFX90A:TG_SPLIT: 0
	.section	.text._ZN7rocprim17ROCPRIM_400000_NS6detail17trampoline_kernelINS0_14default_configENS1_27scan_by_key_config_selectorIiiEEZZNS1_16scan_by_key_implILNS1_25lookback_scan_determinismE0ELb1ES3_N6thrust23THRUST_200600_302600_NS6detail15normal_iteratorINS9_10device_ptrIiEEEESE_SE_iNS9_4plusIvEENS9_8equal_toIvEEiEE10hipError_tPvRmT2_T3_T4_T5_mT6_T7_P12ihipStream_tbENKUlT_T0_E_clISt17integral_constantIbLb1EESZ_EEDaSU_SV_EUlSU_E_NS1_11comp_targetILNS1_3genE10ELNS1_11target_archE1200ELNS1_3gpuE4ELNS1_3repE0EEENS1_30default_config_static_selectorELNS0_4arch9wavefront6targetE1EEEvT1_,"axG",@progbits,_ZN7rocprim17ROCPRIM_400000_NS6detail17trampoline_kernelINS0_14default_configENS1_27scan_by_key_config_selectorIiiEEZZNS1_16scan_by_key_implILNS1_25lookback_scan_determinismE0ELb1ES3_N6thrust23THRUST_200600_302600_NS6detail15normal_iteratorINS9_10device_ptrIiEEEESE_SE_iNS9_4plusIvEENS9_8equal_toIvEEiEE10hipError_tPvRmT2_T3_T4_T5_mT6_T7_P12ihipStream_tbENKUlT_T0_E_clISt17integral_constantIbLb1EESZ_EEDaSU_SV_EUlSU_E_NS1_11comp_targetILNS1_3genE10ELNS1_11target_archE1200ELNS1_3gpuE4ELNS1_3repE0EEENS1_30default_config_static_selectorELNS0_4arch9wavefront6targetE1EEEvT1_,comdat
	.protected	_ZN7rocprim17ROCPRIM_400000_NS6detail17trampoline_kernelINS0_14default_configENS1_27scan_by_key_config_selectorIiiEEZZNS1_16scan_by_key_implILNS1_25lookback_scan_determinismE0ELb1ES3_N6thrust23THRUST_200600_302600_NS6detail15normal_iteratorINS9_10device_ptrIiEEEESE_SE_iNS9_4plusIvEENS9_8equal_toIvEEiEE10hipError_tPvRmT2_T3_T4_T5_mT6_T7_P12ihipStream_tbENKUlT_T0_E_clISt17integral_constantIbLb1EESZ_EEDaSU_SV_EUlSU_E_NS1_11comp_targetILNS1_3genE10ELNS1_11target_archE1200ELNS1_3gpuE4ELNS1_3repE0EEENS1_30default_config_static_selectorELNS0_4arch9wavefront6targetE1EEEvT1_ ; -- Begin function _ZN7rocprim17ROCPRIM_400000_NS6detail17trampoline_kernelINS0_14default_configENS1_27scan_by_key_config_selectorIiiEEZZNS1_16scan_by_key_implILNS1_25lookback_scan_determinismE0ELb1ES3_N6thrust23THRUST_200600_302600_NS6detail15normal_iteratorINS9_10device_ptrIiEEEESE_SE_iNS9_4plusIvEENS9_8equal_toIvEEiEE10hipError_tPvRmT2_T3_T4_T5_mT6_T7_P12ihipStream_tbENKUlT_T0_E_clISt17integral_constantIbLb1EESZ_EEDaSU_SV_EUlSU_E_NS1_11comp_targetILNS1_3genE10ELNS1_11target_archE1200ELNS1_3gpuE4ELNS1_3repE0EEENS1_30default_config_static_selectorELNS0_4arch9wavefront6targetE1EEEvT1_
	.globl	_ZN7rocprim17ROCPRIM_400000_NS6detail17trampoline_kernelINS0_14default_configENS1_27scan_by_key_config_selectorIiiEEZZNS1_16scan_by_key_implILNS1_25lookback_scan_determinismE0ELb1ES3_N6thrust23THRUST_200600_302600_NS6detail15normal_iteratorINS9_10device_ptrIiEEEESE_SE_iNS9_4plusIvEENS9_8equal_toIvEEiEE10hipError_tPvRmT2_T3_T4_T5_mT6_T7_P12ihipStream_tbENKUlT_T0_E_clISt17integral_constantIbLb1EESZ_EEDaSU_SV_EUlSU_E_NS1_11comp_targetILNS1_3genE10ELNS1_11target_archE1200ELNS1_3gpuE4ELNS1_3repE0EEENS1_30default_config_static_selectorELNS0_4arch9wavefront6targetE1EEEvT1_
	.p2align	8
	.type	_ZN7rocprim17ROCPRIM_400000_NS6detail17trampoline_kernelINS0_14default_configENS1_27scan_by_key_config_selectorIiiEEZZNS1_16scan_by_key_implILNS1_25lookback_scan_determinismE0ELb1ES3_N6thrust23THRUST_200600_302600_NS6detail15normal_iteratorINS9_10device_ptrIiEEEESE_SE_iNS9_4plusIvEENS9_8equal_toIvEEiEE10hipError_tPvRmT2_T3_T4_T5_mT6_T7_P12ihipStream_tbENKUlT_T0_E_clISt17integral_constantIbLb1EESZ_EEDaSU_SV_EUlSU_E_NS1_11comp_targetILNS1_3genE10ELNS1_11target_archE1200ELNS1_3gpuE4ELNS1_3repE0EEENS1_30default_config_static_selectorELNS0_4arch9wavefront6targetE1EEEvT1_,@function
_ZN7rocprim17ROCPRIM_400000_NS6detail17trampoline_kernelINS0_14default_configENS1_27scan_by_key_config_selectorIiiEEZZNS1_16scan_by_key_implILNS1_25lookback_scan_determinismE0ELb1ES3_N6thrust23THRUST_200600_302600_NS6detail15normal_iteratorINS9_10device_ptrIiEEEESE_SE_iNS9_4plusIvEENS9_8equal_toIvEEiEE10hipError_tPvRmT2_T3_T4_T5_mT6_T7_P12ihipStream_tbENKUlT_T0_E_clISt17integral_constantIbLb1EESZ_EEDaSU_SV_EUlSU_E_NS1_11comp_targetILNS1_3genE10ELNS1_11target_archE1200ELNS1_3gpuE4ELNS1_3repE0EEENS1_30default_config_static_selectorELNS0_4arch9wavefront6targetE1EEEvT1_: ; @_ZN7rocprim17ROCPRIM_400000_NS6detail17trampoline_kernelINS0_14default_configENS1_27scan_by_key_config_selectorIiiEEZZNS1_16scan_by_key_implILNS1_25lookback_scan_determinismE0ELb1ES3_N6thrust23THRUST_200600_302600_NS6detail15normal_iteratorINS9_10device_ptrIiEEEESE_SE_iNS9_4plusIvEENS9_8equal_toIvEEiEE10hipError_tPvRmT2_T3_T4_T5_mT6_T7_P12ihipStream_tbENKUlT_T0_E_clISt17integral_constantIbLb1EESZ_EEDaSU_SV_EUlSU_E_NS1_11comp_targetILNS1_3genE10ELNS1_11target_archE1200ELNS1_3gpuE4ELNS1_3repE0EEENS1_30default_config_static_selectorELNS0_4arch9wavefront6targetE1EEEvT1_
; %bb.0:
	.section	.rodata,"a",@progbits
	.p2align	6, 0x0
	.amdhsa_kernel _ZN7rocprim17ROCPRIM_400000_NS6detail17trampoline_kernelINS0_14default_configENS1_27scan_by_key_config_selectorIiiEEZZNS1_16scan_by_key_implILNS1_25lookback_scan_determinismE0ELb1ES3_N6thrust23THRUST_200600_302600_NS6detail15normal_iteratorINS9_10device_ptrIiEEEESE_SE_iNS9_4plusIvEENS9_8equal_toIvEEiEE10hipError_tPvRmT2_T3_T4_T5_mT6_T7_P12ihipStream_tbENKUlT_T0_E_clISt17integral_constantIbLb1EESZ_EEDaSU_SV_EUlSU_E_NS1_11comp_targetILNS1_3genE10ELNS1_11target_archE1200ELNS1_3gpuE4ELNS1_3repE0EEENS1_30default_config_static_selectorELNS0_4arch9wavefront6targetE1EEEvT1_
		.amdhsa_group_segment_fixed_size 0
		.amdhsa_private_segment_fixed_size 0
		.amdhsa_kernarg_size 112
		.amdhsa_user_sgpr_count 6
		.amdhsa_user_sgpr_private_segment_buffer 1
		.amdhsa_user_sgpr_dispatch_ptr 0
		.amdhsa_user_sgpr_queue_ptr 0
		.amdhsa_user_sgpr_kernarg_segment_ptr 1
		.amdhsa_user_sgpr_dispatch_id 0
		.amdhsa_user_sgpr_flat_scratch_init 0
		.amdhsa_user_sgpr_kernarg_preload_length 0
		.amdhsa_user_sgpr_kernarg_preload_offset 0
		.amdhsa_user_sgpr_private_segment_size 0
		.amdhsa_uses_dynamic_stack 0
		.amdhsa_system_sgpr_private_segment_wavefront_offset 0
		.amdhsa_system_sgpr_workgroup_id_x 1
		.amdhsa_system_sgpr_workgroup_id_y 0
		.amdhsa_system_sgpr_workgroup_id_z 0
		.amdhsa_system_sgpr_workgroup_info 0
		.amdhsa_system_vgpr_workitem_id 0
		.amdhsa_next_free_vgpr 1
		.amdhsa_next_free_sgpr 0
		.amdhsa_accum_offset 4
		.amdhsa_reserve_vcc 0
		.amdhsa_reserve_flat_scratch 0
		.amdhsa_float_round_mode_32 0
		.amdhsa_float_round_mode_16_64 0
		.amdhsa_float_denorm_mode_32 3
		.amdhsa_float_denorm_mode_16_64 3
		.amdhsa_dx10_clamp 1
		.amdhsa_ieee_mode 1
		.amdhsa_fp16_overflow 0
		.amdhsa_tg_split 0
		.amdhsa_exception_fp_ieee_invalid_op 0
		.amdhsa_exception_fp_denorm_src 0
		.amdhsa_exception_fp_ieee_div_zero 0
		.amdhsa_exception_fp_ieee_overflow 0
		.amdhsa_exception_fp_ieee_underflow 0
		.amdhsa_exception_fp_ieee_inexact 0
		.amdhsa_exception_int_div_zero 0
	.end_amdhsa_kernel
	.section	.text._ZN7rocprim17ROCPRIM_400000_NS6detail17trampoline_kernelINS0_14default_configENS1_27scan_by_key_config_selectorIiiEEZZNS1_16scan_by_key_implILNS1_25lookback_scan_determinismE0ELb1ES3_N6thrust23THRUST_200600_302600_NS6detail15normal_iteratorINS9_10device_ptrIiEEEESE_SE_iNS9_4plusIvEENS9_8equal_toIvEEiEE10hipError_tPvRmT2_T3_T4_T5_mT6_T7_P12ihipStream_tbENKUlT_T0_E_clISt17integral_constantIbLb1EESZ_EEDaSU_SV_EUlSU_E_NS1_11comp_targetILNS1_3genE10ELNS1_11target_archE1200ELNS1_3gpuE4ELNS1_3repE0EEENS1_30default_config_static_selectorELNS0_4arch9wavefront6targetE1EEEvT1_,"axG",@progbits,_ZN7rocprim17ROCPRIM_400000_NS6detail17trampoline_kernelINS0_14default_configENS1_27scan_by_key_config_selectorIiiEEZZNS1_16scan_by_key_implILNS1_25lookback_scan_determinismE0ELb1ES3_N6thrust23THRUST_200600_302600_NS6detail15normal_iteratorINS9_10device_ptrIiEEEESE_SE_iNS9_4plusIvEENS9_8equal_toIvEEiEE10hipError_tPvRmT2_T3_T4_T5_mT6_T7_P12ihipStream_tbENKUlT_T0_E_clISt17integral_constantIbLb1EESZ_EEDaSU_SV_EUlSU_E_NS1_11comp_targetILNS1_3genE10ELNS1_11target_archE1200ELNS1_3gpuE4ELNS1_3repE0EEENS1_30default_config_static_selectorELNS0_4arch9wavefront6targetE1EEEvT1_,comdat
.Lfunc_end96:
	.size	_ZN7rocprim17ROCPRIM_400000_NS6detail17trampoline_kernelINS0_14default_configENS1_27scan_by_key_config_selectorIiiEEZZNS1_16scan_by_key_implILNS1_25lookback_scan_determinismE0ELb1ES3_N6thrust23THRUST_200600_302600_NS6detail15normal_iteratorINS9_10device_ptrIiEEEESE_SE_iNS9_4plusIvEENS9_8equal_toIvEEiEE10hipError_tPvRmT2_T3_T4_T5_mT6_T7_P12ihipStream_tbENKUlT_T0_E_clISt17integral_constantIbLb1EESZ_EEDaSU_SV_EUlSU_E_NS1_11comp_targetILNS1_3genE10ELNS1_11target_archE1200ELNS1_3gpuE4ELNS1_3repE0EEENS1_30default_config_static_selectorELNS0_4arch9wavefront6targetE1EEEvT1_, .Lfunc_end96-_ZN7rocprim17ROCPRIM_400000_NS6detail17trampoline_kernelINS0_14default_configENS1_27scan_by_key_config_selectorIiiEEZZNS1_16scan_by_key_implILNS1_25lookback_scan_determinismE0ELb1ES3_N6thrust23THRUST_200600_302600_NS6detail15normal_iteratorINS9_10device_ptrIiEEEESE_SE_iNS9_4plusIvEENS9_8equal_toIvEEiEE10hipError_tPvRmT2_T3_T4_T5_mT6_T7_P12ihipStream_tbENKUlT_T0_E_clISt17integral_constantIbLb1EESZ_EEDaSU_SV_EUlSU_E_NS1_11comp_targetILNS1_3genE10ELNS1_11target_archE1200ELNS1_3gpuE4ELNS1_3repE0EEENS1_30default_config_static_selectorELNS0_4arch9wavefront6targetE1EEEvT1_
                                        ; -- End function
	.section	.AMDGPU.csdata,"",@progbits
; Kernel info:
; codeLenInByte = 0
; NumSgprs: 4
; NumVgprs: 0
; NumAgprs: 0
; TotalNumVgprs: 0
; ScratchSize: 0
; MemoryBound: 0
; FloatMode: 240
; IeeeMode: 1
; LDSByteSize: 0 bytes/workgroup (compile time only)
; SGPRBlocks: 0
; VGPRBlocks: 0
; NumSGPRsForWavesPerEU: 4
; NumVGPRsForWavesPerEU: 1
; AccumOffset: 4
; Occupancy: 8
; WaveLimiterHint : 0
; COMPUTE_PGM_RSRC2:SCRATCH_EN: 0
; COMPUTE_PGM_RSRC2:USER_SGPR: 6
; COMPUTE_PGM_RSRC2:TRAP_HANDLER: 0
; COMPUTE_PGM_RSRC2:TGID_X_EN: 1
; COMPUTE_PGM_RSRC2:TGID_Y_EN: 0
; COMPUTE_PGM_RSRC2:TGID_Z_EN: 0
; COMPUTE_PGM_RSRC2:TIDIG_COMP_CNT: 0
; COMPUTE_PGM_RSRC3_GFX90A:ACCUM_OFFSET: 0
; COMPUTE_PGM_RSRC3_GFX90A:TG_SPLIT: 0
	.section	.text._ZN7rocprim17ROCPRIM_400000_NS6detail17trampoline_kernelINS0_14default_configENS1_27scan_by_key_config_selectorIiiEEZZNS1_16scan_by_key_implILNS1_25lookback_scan_determinismE0ELb1ES3_N6thrust23THRUST_200600_302600_NS6detail15normal_iteratorINS9_10device_ptrIiEEEESE_SE_iNS9_4plusIvEENS9_8equal_toIvEEiEE10hipError_tPvRmT2_T3_T4_T5_mT6_T7_P12ihipStream_tbENKUlT_T0_E_clISt17integral_constantIbLb1EESZ_EEDaSU_SV_EUlSU_E_NS1_11comp_targetILNS1_3genE9ELNS1_11target_archE1100ELNS1_3gpuE3ELNS1_3repE0EEENS1_30default_config_static_selectorELNS0_4arch9wavefront6targetE1EEEvT1_,"axG",@progbits,_ZN7rocprim17ROCPRIM_400000_NS6detail17trampoline_kernelINS0_14default_configENS1_27scan_by_key_config_selectorIiiEEZZNS1_16scan_by_key_implILNS1_25lookback_scan_determinismE0ELb1ES3_N6thrust23THRUST_200600_302600_NS6detail15normal_iteratorINS9_10device_ptrIiEEEESE_SE_iNS9_4plusIvEENS9_8equal_toIvEEiEE10hipError_tPvRmT2_T3_T4_T5_mT6_T7_P12ihipStream_tbENKUlT_T0_E_clISt17integral_constantIbLb1EESZ_EEDaSU_SV_EUlSU_E_NS1_11comp_targetILNS1_3genE9ELNS1_11target_archE1100ELNS1_3gpuE3ELNS1_3repE0EEENS1_30default_config_static_selectorELNS0_4arch9wavefront6targetE1EEEvT1_,comdat
	.protected	_ZN7rocprim17ROCPRIM_400000_NS6detail17trampoline_kernelINS0_14default_configENS1_27scan_by_key_config_selectorIiiEEZZNS1_16scan_by_key_implILNS1_25lookback_scan_determinismE0ELb1ES3_N6thrust23THRUST_200600_302600_NS6detail15normal_iteratorINS9_10device_ptrIiEEEESE_SE_iNS9_4plusIvEENS9_8equal_toIvEEiEE10hipError_tPvRmT2_T3_T4_T5_mT6_T7_P12ihipStream_tbENKUlT_T0_E_clISt17integral_constantIbLb1EESZ_EEDaSU_SV_EUlSU_E_NS1_11comp_targetILNS1_3genE9ELNS1_11target_archE1100ELNS1_3gpuE3ELNS1_3repE0EEENS1_30default_config_static_selectorELNS0_4arch9wavefront6targetE1EEEvT1_ ; -- Begin function _ZN7rocprim17ROCPRIM_400000_NS6detail17trampoline_kernelINS0_14default_configENS1_27scan_by_key_config_selectorIiiEEZZNS1_16scan_by_key_implILNS1_25lookback_scan_determinismE0ELb1ES3_N6thrust23THRUST_200600_302600_NS6detail15normal_iteratorINS9_10device_ptrIiEEEESE_SE_iNS9_4plusIvEENS9_8equal_toIvEEiEE10hipError_tPvRmT2_T3_T4_T5_mT6_T7_P12ihipStream_tbENKUlT_T0_E_clISt17integral_constantIbLb1EESZ_EEDaSU_SV_EUlSU_E_NS1_11comp_targetILNS1_3genE9ELNS1_11target_archE1100ELNS1_3gpuE3ELNS1_3repE0EEENS1_30default_config_static_selectorELNS0_4arch9wavefront6targetE1EEEvT1_
	.globl	_ZN7rocprim17ROCPRIM_400000_NS6detail17trampoline_kernelINS0_14default_configENS1_27scan_by_key_config_selectorIiiEEZZNS1_16scan_by_key_implILNS1_25lookback_scan_determinismE0ELb1ES3_N6thrust23THRUST_200600_302600_NS6detail15normal_iteratorINS9_10device_ptrIiEEEESE_SE_iNS9_4plusIvEENS9_8equal_toIvEEiEE10hipError_tPvRmT2_T3_T4_T5_mT6_T7_P12ihipStream_tbENKUlT_T0_E_clISt17integral_constantIbLb1EESZ_EEDaSU_SV_EUlSU_E_NS1_11comp_targetILNS1_3genE9ELNS1_11target_archE1100ELNS1_3gpuE3ELNS1_3repE0EEENS1_30default_config_static_selectorELNS0_4arch9wavefront6targetE1EEEvT1_
	.p2align	8
	.type	_ZN7rocprim17ROCPRIM_400000_NS6detail17trampoline_kernelINS0_14default_configENS1_27scan_by_key_config_selectorIiiEEZZNS1_16scan_by_key_implILNS1_25lookback_scan_determinismE0ELb1ES3_N6thrust23THRUST_200600_302600_NS6detail15normal_iteratorINS9_10device_ptrIiEEEESE_SE_iNS9_4plusIvEENS9_8equal_toIvEEiEE10hipError_tPvRmT2_T3_T4_T5_mT6_T7_P12ihipStream_tbENKUlT_T0_E_clISt17integral_constantIbLb1EESZ_EEDaSU_SV_EUlSU_E_NS1_11comp_targetILNS1_3genE9ELNS1_11target_archE1100ELNS1_3gpuE3ELNS1_3repE0EEENS1_30default_config_static_selectorELNS0_4arch9wavefront6targetE1EEEvT1_,@function
_ZN7rocprim17ROCPRIM_400000_NS6detail17trampoline_kernelINS0_14default_configENS1_27scan_by_key_config_selectorIiiEEZZNS1_16scan_by_key_implILNS1_25lookback_scan_determinismE0ELb1ES3_N6thrust23THRUST_200600_302600_NS6detail15normal_iteratorINS9_10device_ptrIiEEEESE_SE_iNS9_4plusIvEENS9_8equal_toIvEEiEE10hipError_tPvRmT2_T3_T4_T5_mT6_T7_P12ihipStream_tbENKUlT_T0_E_clISt17integral_constantIbLb1EESZ_EEDaSU_SV_EUlSU_E_NS1_11comp_targetILNS1_3genE9ELNS1_11target_archE1100ELNS1_3gpuE3ELNS1_3repE0EEENS1_30default_config_static_selectorELNS0_4arch9wavefront6targetE1EEEvT1_: ; @_ZN7rocprim17ROCPRIM_400000_NS6detail17trampoline_kernelINS0_14default_configENS1_27scan_by_key_config_selectorIiiEEZZNS1_16scan_by_key_implILNS1_25lookback_scan_determinismE0ELb1ES3_N6thrust23THRUST_200600_302600_NS6detail15normal_iteratorINS9_10device_ptrIiEEEESE_SE_iNS9_4plusIvEENS9_8equal_toIvEEiEE10hipError_tPvRmT2_T3_T4_T5_mT6_T7_P12ihipStream_tbENKUlT_T0_E_clISt17integral_constantIbLb1EESZ_EEDaSU_SV_EUlSU_E_NS1_11comp_targetILNS1_3genE9ELNS1_11target_archE1100ELNS1_3gpuE3ELNS1_3repE0EEENS1_30default_config_static_selectorELNS0_4arch9wavefront6targetE1EEEvT1_
; %bb.0:
	.section	.rodata,"a",@progbits
	.p2align	6, 0x0
	.amdhsa_kernel _ZN7rocprim17ROCPRIM_400000_NS6detail17trampoline_kernelINS0_14default_configENS1_27scan_by_key_config_selectorIiiEEZZNS1_16scan_by_key_implILNS1_25lookback_scan_determinismE0ELb1ES3_N6thrust23THRUST_200600_302600_NS6detail15normal_iteratorINS9_10device_ptrIiEEEESE_SE_iNS9_4plusIvEENS9_8equal_toIvEEiEE10hipError_tPvRmT2_T3_T4_T5_mT6_T7_P12ihipStream_tbENKUlT_T0_E_clISt17integral_constantIbLb1EESZ_EEDaSU_SV_EUlSU_E_NS1_11comp_targetILNS1_3genE9ELNS1_11target_archE1100ELNS1_3gpuE3ELNS1_3repE0EEENS1_30default_config_static_selectorELNS0_4arch9wavefront6targetE1EEEvT1_
		.amdhsa_group_segment_fixed_size 0
		.amdhsa_private_segment_fixed_size 0
		.amdhsa_kernarg_size 112
		.amdhsa_user_sgpr_count 6
		.amdhsa_user_sgpr_private_segment_buffer 1
		.amdhsa_user_sgpr_dispatch_ptr 0
		.amdhsa_user_sgpr_queue_ptr 0
		.amdhsa_user_sgpr_kernarg_segment_ptr 1
		.amdhsa_user_sgpr_dispatch_id 0
		.amdhsa_user_sgpr_flat_scratch_init 0
		.amdhsa_user_sgpr_kernarg_preload_length 0
		.amdhsa_user_sgpr_kernarg_preload_offset 0
		.amdhsa_user_sgpr_private_segment_size 0
		.amdhsa_uses_dynamic_stack 0
		.amdhsa_system_sgpr_private_segment_wavefront_offset 0
		.amdhsa_system_sgpr_workgroup_id_x 1
		.amdhsa_system_sgpr_workgroup_id_y 0
		.amdhsa_system_sgpr_workgroup_id_z 0
		.amdhsa_system_sgpr_workgroup_info 0
		.amdhsa_system_vgpr_workitem_id 0
		.amdhsa_next_free_vgpr 1
		.amdhsa_next_free_sgpr 0
		.amdhsa_accum_offset 4
		.amdhsa_reserve_vcc 0
		.amdhsa_reserve_flat_scratch 0
		.amdhsa_float_round_mode_32 0
		.amdhsa_float_round_mode_16_64 0
		.amdhsa_float_denorm_mode_32 3
		.amdhsa_float_denorm_mode_16_64 3
		.amdhsa_dx10_clamp 1
		.amdhsa_ieee_mode 1
		.amdhsa_fp16_overflow 0
		.amdhsa_tg_split 0
		.amdhsa_exception_fp_ieee_invalid_op 0
		.amdhsa_exception_fp_denorm_src 0
		.amdhsa_exception_fp_ieee_div_zero 0
		.amdhsa_exception_fp_ieee_overflow 0
		.amdhsa_exception_fp_ieee_underflow 0
		.amdhsa_exception_fp_ieee_inexact 0
		.amdhsa_exception_int_div_zero 0
	.end_amdhsa_kernel
	.section	.text._ZN7rocprim17ROCPRIM_400000_NS6detail17trampoline_kernelINS0_14default_configENS1_27scan_by_key_config_selectorIiiEEZZNS1_16scan_by_key_implILNS1_25lookback_scan_determinismE0ELb1ES3_N6thrust23THRUST_200600_302600_NS6detail15normal_iteratorINS9_10device_ptrIiEEEESE_SE_iNS9_4plusIvEENS9_8equal_toIvEEiEE10hipError_tPvRmT2_T3_T4_T5_mT6_T7_P12ihipStream_tbENKUlT_T0_E_clISt17integral_constantIbLb1EESZ_EEDaSU_SV_EUlSU_E_NS1_11comp_targetILNS1_3genE9ELNS1_11target_archE1100ELNS1_3gpuE3ELNS1_3repE0EEENS1_30default_config_static_selectorELNS0_4arch9wavefront6targetE1EEEvT1_,"axG",@progbits,_ZN7rocprim17ROCPRIM_400000_NS6detail17trampoline_kernelINS0_14default_configENS1_27scan_by_key_config_selectorIiiEEZZNS1_16scan_by_key_implILNS1_25lookback_scan_determinismE0ELb1ES3_N6thrust23THRUST_200600_302600_NS6detail15normal_iteratorINS9_10device_ptrIiEEEESE_SE_iNS9_4plusIvEENS9_8equal_toIvEEiEE10hipError_tPvRmT2_T3_T4_T5_mT6_T7_P12ihipStream_tbENKUlT_T0_E_clISt17integral_constantIbLb1EESZ_EEDaSU_SV_EUlSU_E_NS1_11comp_targetILNS1_3genE9ELNS1_11target_archE1100ELNS1_3gpuE3ELNS1_3repE0EEENS1_30default_config_static_selectorELNS0_4arch9wavefront6targetE1EEEvT1_,comdat
.Lfunc_end97:
	.size	_ZN7rocprim17ROCPRIM_400000_NS6detail17trampoline_kernelINS0_14default_configENS1_27scan_by_key_config_selectorIiiEEZZNS1_16scan_by_key_implILNS1_25lookback_scan_determinismE0ELb1ES3_N6thrust23THRUST_200600_302600_NS6detail15normal_iteratorINS9_10device_ptrIiEEEESE_SE_iNS9_4plusIvEENS9_8equal_toIvEEiEE10hipError_tPvRmT2_T3_T4_T5_mT6_T7_P12ihipStream_tbENKUlT_T0_E_clISt17integral_constantIbLb1EESZ_EEDaSU_SV_EUlSU_E_NS1_11comp_targetILNS1_3genE9ELNS1_11target_archE1100ELNS1_3gpuE3ELNS1_3repE0EEENS1_30default_config_static_selectorELNS0_4arch9wavefront6targetE1EEEvT1_, .Lfunc_end97-_ZN7rocprim17ROCPRIM_400000_NS6detail17trampoline_kernelINS0_14default_configENS1_27scan_by_key_config_selectorIiiEEZZNS1_16scan_by_key_implILNS1_25lookback_scan_determinismE0ELb1ES3_N6thrust23THRUST_200600_302600_NS6detail15normal_iteratorINS9_10device_ptrIiEEEESE_SE_iNS9_4plusIvEENS9_8equal_toIvEEiEE10hipError_tPvRmT2_T3_T4_T5_mT6_T7_P12ihipStream_tbENKUlT_T0_E_clISt17integral_constantIbLb1EESZ_EEDaSU_SV_EUlSU_E_NS1_11comp_targetILNS1_3genE9ELNS1_11target_archE1100ELNS1_3gpuE3ELNS1_3repE0EEENS1_30default_config_static_selectorELNS0_4arch9wavefront6targetE1EEEvT1_
                                        ; -- End function
	.section	.AMDGPU.csdata,"",@progbits
; Kernel info:
; codeLenInByte = 0
; NumSgprs: 4
; NumVgprs: 0
; NumAgprs: 0
; TotalNumVgprs: 0
; ScratchSize: 0
; MemoryBound: 0
; FloatMode: 240
; IeeeMode: 1
; LDSByteSize: 0 bytes/workgroup (compile time only)
; SGPRBlocks: 0
; VGPRBlocks: 0
; NumSGPRsForWavesPerEU: 4
; NumVGPRsForWavesPerEU: 1
; AccumOffset: 4
; Occupancy: 8
; WaveLimiterHint : 0
; COMPUTE_PGM_RSRC2:SCRATCH_EN: 0
; COMPUTE_PGM_RSRC2:USER_SGPR: 6
; COMPUTE_PGM_RSRC2:TRAP_HANDLER: 0
; COMPUTE_PGM_RSRC2:TGID_X_EN: 1
; COMPUTE_PGM_RSRC2:TGID_Y_EN: 0
; COMPUTE_PGM_RSRC2:TGID_Z_EN: 0
; COMPUTE_PGM_RSRC2:TIDIG_COMP_CNT: 0
; COMPUTE_PGM_RSRC3_GFX90A:ACCUM_OFFSET: 0
; COMPUTE_PGM_RSRC3_GFX90A:TG_SPLIT: 0
	.section	.text._ZN7rocprim17ROCPRIM_400000_NS6detail17trampoline_kernelINS0_14default_configENS1_27scan_by_key_config_selectorIiiEEZZNS1_16scan_by_key_implILNS1_25lookback_scan_determinismE0ELb1ES3_N6thrust23THRUST_200600_302600_NS6detail15normal_iteratorINS9_10device_ptrIiEEEESE_SE_iNS9_4plusIvEENS9_8equal_toIvEEiEE10hipError_tPvRmT2_T3_T4_T5_mT6_T7_P12ihipStream_tbENKUlT_T0_E_clISt17integral_constantIbLb1EESZ_EEDaSU_SV_EUlSU_E_NS1_11comp_targetILNS1_3genE8ELNS1_11target_archE1030ELNS1_3gpuE2ELNS1_3repE0EEENS1_30default_config_static_selectorELNS0_4arch9wavefront6targetE1EEEvT1_,"axG",@progbits,_ZN7rocprim17ROCPRIM_400000_NS6detail17trampoline_kernelINS0_14default_configENS1_27scan_by_key_config_selectorIiiEEZZNS1_16scan_by_key_implILNS1_25lookback_scan_determinismE0ELb1ES3_N6thrust23THRUST_200600_302600_NS6detail15normal_iteratorINS9_10device_ptrIiEEEESE_SE_iNS9_4plusIvEENS9_8equal_toIvEEiEE10hipError_tPvRmT2_T3_T4_T5_mT6_T7_P12ihipStream_tbENKUlT_T0_E_clISt17integral_constantIbLb1EESZ_EEDaSU_SV_EUlSU_E_NS1_11comp_targetILNS1_3genE8ELNS1_11target_archE1030ELNS1_3gpuE2ELNS1_3repE0EEENS1_30default_config_static_selectorELNS0_4arch9wavefront6targetE1EEEvT1_,comdat
	.protected	_ZN7rocprim17ROCPRIM_400000_NS6detail17trampoline_kernelINS0_14default_configENS1_27scan_by_key_config_selectorIiiEEZZNS1_16scan_by_key_implILNS1_25lookback_scan_determinismE0ELb1ES3_N6thrust23THRUST_200600_302600_NS6detail15normal_iteratorINS9_10device_ptrIiEEEESE_SE_iNS9_4plusIvEENS9_8equal_toIvEEiEE10hipError_tPvRmT2_T3_T4_T5_mT6_T7_P12ihipStream_tbENKUlT_T0_E_clISt17integral_constantIbLb1EESZ_EEDaSU_SV_EUlSU_E_NS1_11comp_targetILNS1_3genE8ELNS1_11target_archE1030ELNS1_3gpuE2ELNS1_3repE0EEENS1_30default_config_static_selectorELNS0_4arch9wavefront6targetE1EEEvT1_ ; -- Begin function _ZN7rocprim17ROCPRIM_400000_NS6detail17trampoline_kernelINS0_14default_configENS1_27scan_by_key_config_selectorIiiEEZZNS1_16scan_by_key_implILNS1_25lookback_scan_determinismE0ELb1ES3_N6thrust23THRUST_200600_302600_NS6detail15normal_iteratorINS9_10device_ptrIiEEEESE_SE_iNS9_4plusIvEENS9_8equal_toIvEEiEE10hipError_tPvRmT2_T3_T4_T5_mT6_T7_P12ihipStream_tbENKUlT_T0_E_clISt17integral_constantIbLb1EESZ_EEDaSU_SV_EUlSU_E_NS1_11comp_targetILNS1_3genE8ELNS1_11target_archE1030ELNS1_3gpuE2ELNS1_3repE0EEENS1_30default_config_static_selectorELNS0_4arch9wavefront6targetE1EEEvT1_
	.globl	_ZN7rocprim17ROCPRIM_400000_NS6detail17trampoline_kernelINS0_14default_configENS1_27scan_by_key_config_selectorIiiEEZZNS1_16scan_by_key_implILNS1_25lookback_scan_determinismE0ELb1ES3_N6thrust23THRUST_200600_302600_NS6detail15normal_iteratorINS9_10device_ptrIiEEEESE_SE_iNS9_4plusIvEENS9_8equal_toIvEEiEE10hipError_tPvRmT2_T3_T4_T5_mT6_T7_P12ihipStream_tbENKUlT_T0_E_clISt17integral_constantIbLb1EESZ_EEDaSU_SV_EUlSU_E_NS1_11comp_targetILNS1_3genE8ELNS1_11target_archE1030ELNS1_3gpuE2ELNS1_3repE0EEENS1_30default_config_static_selectorELNS0_4arch9wavefront6targetE1EEEvT1_
	.p2align	8
	.type	_ZN7rocprim17ROCPRIM_400000_NS6detail17trampoline_kernelINS0_14default_configENS1_27scan_by_key_config_selectorIiiEEZZNS1_16scan_by_key_implILNS1_25lookback_scan_determinismE0ELb1ES3_N6thrust23THRUST_200600_302600_NS6detail15normal_iteratorINS9_10device_ptrIiEEEESE_SE_iNS9_4plusIvEENS9_8equal_toIvEEiEE10hipError_tPvRmT2_T3_T4_T5_mT6_T7_P12ihipStream_tbENKUlT_T0_E_clISt17integral_constantIbLb1EESZ_EEDaSU_SV_EUlSU_E_NS1_11comp_targetILNS1_3genE8ELNS1_11target_archE1030ELNS1_3gpuE2ELNS1_3repE0EEENS1_30default_config_static_selectorELNS0_4arch9wavefront6targetE1EEEvT1_,@function
_ZN7rocprim17ROCPRIM_400000_NS6detail17trampoline_kernelINS0_14default_configENS1_27scan_by_key_config_selectorIiiEEZZNS1_16scan_by_key_implILNS1_25lookback_scan_determinismE0ELb1ES3_N6thrust23THRUST_200600_302600_NS6detail15normal_iteratorINS9_10device_ptrIiEEEESE_SE_iNS9_4plusIvEENS9_8equal_toIvEEiEE10hipError_tPvRmT2_T3_T4_T5_mT6_T7_P12ihipStream_tbENKUlT_T0_E_clISt17integral_constantIbLb1EESZ_EEDaSU_SV_EUlSU_E_NS1_11comp_targetILNS1_3genE8ELNS1_11target_archE1030ELNS1_3gpuE2ELNS1_3repE0EEENS1_30default_config_static_selectorELNS0_4arch9wavefront6targetE1EEEvT1_: ; @_ZN7rocprim17ROCPRIM_400000_NS6detail17trampoline_kernelINS0_14default_configENS1_27scan_by_key_config_selectorIiiEEZZNS1_16scan_by_key_implILNS1_25lookback_scan_determinismE0ELb1ES3_N6thrust23THRUST_200600_302600_NS6detail15normal_iteratorINS9_10device_ptrIiEEEESE_SE_iNS9_4plusIvEENS9_8equal_toIvEEiEE10hipError_tPvRmT2_T3_T4_T5_mT6_T7_P12ihipStream_tbENKUlT_T0_E_clISt17integral_constantIbLb1EESZ_EEDaSU_SV_EUlSU_E_NS1_11comp_targetILNS1_3genE8ELNS1_11target_archE1030ELNS1_3gpuE2ELNS1_3repE0EEENS1_30default_config_static_selectorELNS0_4arch9wavefront6targetE1EEEvT1_
; %bb.0:
	.section	.rodata,"a",@progbits
	.p2align	6, 0x0
	.amdhsa_kernel _ZN7rocprim17ROCPRIM_400000_NS6detail17trampoline_kernelINS0_14default_configENS1_27scan_by_key_config_selectorIiiEEZZNS1_16scan_by_key_implILNS1_25lookback_scan_determinismE0ELb1ES3_N6thrust23THRUST_200600_302600_NS6detail15normal_iteratorINS9_10device_ptrIiEEEESE_SE_iNS9_4plusIvEENS9_8equal_toIvEEiEE10hipError_tPvRmT2_T3_T4_T5_mT6_T7_P12ihipStream_tbENKUlT_T0_E_clISt17integral_constantIbLb1EESZ_EEDaSU_SV_EUlSU_E_NS1_11comp_targetILNS1_3genE8ELNS1_11target_archE1030ELNS1_3gpuE2ELNS1_3repE0EEENS1_30default_config_static_selectorELNS0_4arch9wavefront6targetE1EEEvT1_
		.amdhsa_group_segment_fixed_size 0
		.amdhsa_private_segment_fixed_size 0
		.amdhsa_kernarg_size 112
		.amdhsa_user_sgpr_count 6
		.amdhsa_user_sgpr_private_segment_buffer 1
		.amdhsa_user_sgpr_dispatch_ptr 0
		.amdhsa_user_sgpr_queue_ptr 0
		.amdhsa_user_sgpr_kernarg_segment_ptr 1
		.amdhsa_user_sgpr_dispatch_id 0
		.amdhsa_user_sgpr_flat_scratch_init 0
		.amdhsa_user_sgpr_kernarg_preload_length 0
		.amdhsa_user_sgpr_kernarg_preload_offset 0
		.amdhsa_user_sgpr_private_segment_size 0
		.amdhsa_uses_dynamic_stack 0
		.amdhsa_system_sgpr_private_segment_wavefront_offset 0
		.amdhsa_system_sgpr_workgroup_id_x 1
		.amdhsa_system_sgpr_workgroup_id_y 0
		.amdhsa_system_sgpr_workgroup_id_z 0
		.amdhsa_system_sgpr_workgroup_info 0
		.amdhsa_system_vgpr_workitem_id 0
		.amdhsa_next_free_vgpr 1
		.amdhsa_next_free_sgpr 0
		.amdhsa_accum_offset 4
		.amdhsa_reserve_vcc 0
		.amdhsa_reserve_flat_scratch 0
		.amdhsa_float_round_mode_32 0
		.amdhsa_float_round_mode_16_64 0
		.amdhsa_float_denorm_mode_32 3
		.amdhsa_float_denorm_mode_16_64 3
		.amdhsa_dx10_clamp 1
		.amdhsa_ieee_mode 1
		.amdhsa_fp16_overflow 0
		.amdhsa_tg_split 0
		.amdhsa_exception_fp_ieee_invalid_op 0
		.amdhsa_exception_fp_denorm_src 0
		.amdhsa_exception_fp_ieee_div_zero 0
		.amdhsa_exception_fp_ieee_overflow 0
		.amdhsa_exception_fp_ieee_underflow 0
		.amdhsa_exception_fp_ieee_inexact 0
		.amdhsa_exception_int_div_zero 0
	.end_amdhsa_kernel
	.section	.text._ZN7rocprim17ROCPRIM_400000_NS6detail17trampoline_kernelINS0_14default_configENS1_27scan_by_key_config_selectorIiiEEZZNS1_16scan_by_key_implILNS1_25lookback_scan_determinismE0ELb1ES3_N6thrust23THRUST_200600_302600_NS6detail15normal_iteratorINS9_10device_ptrIiEEEESE_SE_iNS9_4plusIvEENS9_8equal_toIvEEiEE10hipError_tPvRmT2_T3_T4_T5_mT6_T7_P12ihipStream_tbENKUlT_T0_E_clISt17integral_constantIbLb1EESZ_EEDaSU_SV_EUlSU_E_NS1_11comp_targetILNS1_3genE8ELNS1_11target_archE1030ELNS1_3gpuE2ELNS1_3repE0EEENS1_30default_config_static_selectorELNS0_4arch9wavefront6targetE1EEEvT1_,"axG",@progbits,_ZN7rocprim17ROCPRIM_400000_NS6detail17trampoline_kernelINS0_14default_configENS1_27scan_by_key_config_selectorIiiEEZZNS1_16scan_by_key_implILNS1_25lookback_scan_determinismE0ELb1ES3_N6thrust23THRUST_200600_302600_NS6detail15normal_iteratorINS9_10device_ptrIiEEEESE_SE_iNS9_4plusIvEENS9_8equal_toIvEEiEE10hipError_tPvRmT2_T3_T4_T5_mT6_T7_P12ihipStream_tbENKUlT_T0_E_clISt17integral_constantIbLb1EESZ_EEDaSU_SV_EUlSU_E_NS1_11comp_targetILNS1_3genE8ELNS1_11target_archE1030ELNS1_3gpuE2ELNS1_3repE0EEENS1_30default_config_static_selectorELNS0_4arch9wavefront6targetE1EEEvT1_,comdat
.Lfunc_end98:
	.size	_ZN7rocprim17ROCPRIM_400000_NS6detail17trampoline_kernelINS0_14default_configENS1_27scan_by_key_config_selectorIiiEEZZNS1_16scan_by_key_implILNS1_25lookback_scan_determinismE0ELb1ES3_N6thrust23THRUST_200600_302600_NS6detail15normal_iteratorINS9_10device_ptrIiEEEESE_SE_iNS9_4plusIvEENS9_8equal_toIvEEiEE10hipError_tPvRmT2_T3_T4_T5_mT6_T7_P12ihipStream_tbENKUlT_T0_E_clISt17integral_constantIbLb1EESZ_EEDaSU_SV_EUlSU_E_NS1_11comp_targetILNS1_3genE8ELNS1_11target_archE1030ELNS1_3gpuE2ELNS1_3repE0EEENS1_30default_config_static_selectorELNS0_4arch9wavefront6targetE1EEEvT1_, .Lfunc_end98-_ZN7rocprim17ROCPRIM_400000_NS6detail17trampoline_kernelINS0_14default_configENS1_27scan_by_key_config_selectorIiiEEZZNS1_16scan_by_key_implILNS1_25lookback_scan_determinismE0ELb1ES3_N6thrust23THRUST_200600_302600_NS6detail15normal_iteratorINS9_10device_ptrIiEEEESE_SE_iNS9_4plusIvEENS9_8equal_toIvEEiEE10hipError_tPvRmT2_T3_T4_T5_mT6_T7_P12ihipStream_tbENKUlT_T0_E_clISt17integral_constantIbLb1EESZ_EEDaSU_SV_EUlSU_E_NS1_11comp_targetILNS1_3genE8ELNS1_11target_archE1030ELNS1_3gpuE2ELNS1_3repE0EEENS1_30default_config_static_selectorELNS0_4arch9wavefront6targetE1EEEvT1_
                                        ; -- End function
	.section	.AMDGPU.csdata,"",@progbits
; Kernel info:
; codeLenInByte = 0
; NumSgprs: 4
; NumVgprs: 0
; NumAgprs: 0
; TotalNumVgprs: 0
; ScratchSize: 0
; MemoryBound: 0
; FloatMode: 240
; IeeeMode: 1
; LDSByteSize: 0 bytes/workgroup (compile time only)
; SGPRBlocks: 0
; VGPRBlocks: 0
; NumSGPRsForWavesPerEU: 4
; NumVGPRsForWavesPerEU: 1
; AccumOffset: 4
; Occupancy: 8
; WaveLimiterHint : 0
; COMPUTE_PGM_RSRC2:SCRATCH_EN: 0
; COMPUTE_PGM_RSRC2:USER_SGPR: 6
; COMPUTE_PGM_RSRC2:TRAP_HANDLER: 0
; COMPUTE_PGM_RSRC2:TGID_X_EN: 1
; COMPUTE_PGM_RSRC2:TGID_Y_EN: 0
; COMPUTE_PGM_RSRC2:TGID_Z_EN: 0
; COMPUTE_PGM_RSRC2:TIDIG_COMP_CNT: 0
; COMPUTE_PGM_RSRC3_GFX90A:ACCUM_OFFSET: 0
; COMPUTE_PGM_RSRC3_GFX90A:TG_SPLIT: 0
	.section	.text._ZN7rocprim17ROCPRIM_400000_NS6detail17trampoline_kernelINS0_14default_configENS1_27scan_by_key_config_selectorIiiEEZZNS1_16scan_by_key_implILNS1_25lookback_scan_determinismE0ELb1ES3_N6thrust23THRUST_200600_302600_NS6detail15normal_iteratorINS9_10device_ptrIiEEEESE_SE_iNS9_4plusIvEENS9_8equal_toIvEEiEE10hipError_tPvRmT2_T3_T4_T5_mT6_T7_P12ihipStream_tbENKUlT_T0_E_clISt17integral_constantIbLb1EESY_IbLb0EEEEDaSU_SV_EUlSU_E_NS1_11comp_targetILNS1_3genE0ELNS1_11target_archE4294967295ELNS1_3gpuE0ELNS1_3repE0EEENS1_30default_config_static_selectorELNS0_4arch9wavefront6targetE1EEEvT1_,"axG",@progbits,_ZN7rocprim17ROCPRIM_400000_NS6detail17trampoline_kernelINS0_14default_configENS1_27scan_by_key_config_selectorIiiEEZZNS1_16scan_by_key_implILNS1_25lookback_scan_determinismE0ELb1ES3_N6thrust23THRUST_200600_302600_NS6detail15normal_iteratorINS9_10device_ptrIiEEEESE_SE_iNS9_4plusIvEENS9_8equal_toIvEEiEE10hipError_tPvRmT2_T3_T4_T5_mT6_T7_P12ihipStream_tbENKUlT_T0_E_clISt17integral_constantIbLb1EESY_IbLb0EEEEDaSU_SV_EUlSU_E_NS1_11comp_targetILNS1_3genE0ELNS1_11target_archE4294967295ELNS1_3gpuE0ELNS1_3repE0EEENS1_30default_config_static_selectorELNS0_4arch9wavefront6targetE1EEEvT1_,comdat
	.protected	_ZN7rocprim17ROCPRIM_400000_NS6detail17trampoline_kernelINS0_14default_configENS1_27scan_by_key_config_selectorIiiEEZZNS1_16scan_by_key_implILNS1_25lookback_scan_determinismE0ELb1ES3_N6thrust23THRUST_200600_302600_NS6detail15normal_iteratorINS9_10device_ptrIiEEEESE_SE_iNS9_4plusIvEENS9_8equal_toIvEEiEE10hipError_tPvRmT2_T3_T4_T5_mT6_T7_P12ihipStream_tbENKUlT_T0_E_clISt17integral_constantIbLb1EESY_IbLb0EEEEDaSU_SV_EUlSU_E_NS1_11comp_targetILNS1_3genE0ELNS1_11target_archE4294967295ELNS1_3gpuE0ELNS1_3repE0EEENS1_30default_config_static_selectorELNS0_4arch9wavefront6targetE1EEEvT1_ ; -- Begin function _ZN7rocprim17ROCPRIM_400000_NS6detail17trampoline_kernelINS0_14default_configENS1_27scan_by_key_config_selectorIiiEEZZNS1_16scan_by_key_implILNS1_25lookback_scan_determinismE0ELb1ES3_N6thrust23THRUST_200600_302600_NS6detail15normal_iteratorINS9_10device_ptrIiEEEESE_SE_iNS9_4plusIvEENS9_8equal_toIvEEiEE10hipError_tPvRmT2_T3_T4_T5_mT6_T7_P12ihipStream_tbENKUlT_T0_E_clISt17integral_constantIbLb1EESY_IbLb0EEEEDaSU_SV_EUlSU_E_NS1_11comp_targetILNS1_3genE0ELNS1_11target_archE4294967295ELNS1_3gpuE0ELNS1_3repE0EEENS1_30default_config_static_selectorELNS0_4arch9wavefront6targetE1EEEvT1_
	.globl	_ZN7rocprim17ROCPRIM_400000_NS6detail17trampoline_kernelINS0_14default_configENS1_27scan_by_key_config_selectorIiiEEZZNS1_16scan_by_key_implILNS1_25lookback_scan_determinismE0ELb1ES3_N6thrust23THRUST_200600_302600_NS6detail15normal_iteratorINS9_10device_ptrIiEEEESE_SE_iNS9_4plusIvEENS9_8equal_toIvEEiEE10hipError_tPvRmT2_T3_T4_T5_mT6_T7_P12ihipStream_tbENKUlT_T0_E_clISt17integral_constantIbLb1EESY_IbLb0EEEEDaSU_SV_EUlSU_E_NS1_11comp_targetILNS1_3genE0ELNS1_11target_archE4294967295ELNS1_3gpuE0ELNS1_3repE0EEENS1_30default_config_static_selectorELNS0_4arch9wavefront6targetE1EEEvT1_
	.p2align	8
	.type	_ZN7rocprim17ROCPRIM_400000_NS6detail17trampoline_kernelINS0_14default_configENS1_27scan_by_key_config_selectorIiiEEZZNS1_16scan_by_key_implILNS1_25lookback_scan_determinismE0ELb1ES3_N6thrust23THRUST_200600_302600_NS6detail15normal_iteratorINS9_10device_ptrIiEEEESE_SE_iNS9_4plusIvEENS9_8equal_toIvEEiEE10hipError_tPvRmT2_T3_T4_T5_mT6_T7_P12ihipStream_tbENKUlT_T0_E_clISt17integral_constantIbLb1EESY_IbLb0EEEEDaSU_SV_EUlSU_E_NS1_11comp_targetILNS1_3genE0ELNS1_11target_archE4294967295ELNS1_3gpuE0ELNS1_3repE0EEENS1_30default_config_static_selectorELNS0_4arch9wavefront6targetE1EEEvT1_,@function
_ZN7rocprim17ROCPRIM_400000_NS6detail17trampoline_kernelINS0_14default_configENS1_27scan_by_key_config_selectorIiiEEZZNS1_16scan_by_key_implILNS1_25lookback_scan_determinismE0ELb1ES3_N6thrust23THRUST_200600_302600_NS6detail15normal_iteratorINS9_10device_ptrIiEEEESE_SE_iNS9_4plusIvEENS9_8equal_toIvEEiEE10hipError_tPvRmT2_T3_T4_T5_mT6_T7_P12ihipStream_tbENKUlT_T0_E_clISt17integral_constantIbLb1EESY_IbLb0EEEEDaSU_SV_EUlSU_E_NS1_11comp_targetILNS1_3genE0ELNS1_11target_archE4294967295ELNS1_3gpuE0ELNS1_3repE0EEENS1_30default_config_static_selectorELNS0_4arch9wavefront6targetE1EEEvT1_: ; @_ZN7rocprim17ROCPRIM_400000_NS6detail17trampoline_kernelINS0_14default_configENS1_27scan_by_key_config_selectorIiiEEZZNS1_16scan_by_key_implILNS1_25lookback_scan_determinismE0ELb1ES3_N6thrust23THRUST_200600_302600_NS6detail15normal_iteratorINS9_10device_ptrIiEEEESE_SE_iNS9_4plusIvEENS9_8equal_toIvEEiEE10hipError_tPvRmT2_T3_T4_T5_mT6_T7_P12ihipStream_tbENKUlT_T0_E_clISt17integral_constantIbLb1EESY_IbLb0EEEEDaSU_SV_EUlSU_E_NS1_11comp_targetILNS1_3genE0ELNS1_11target_archE4294967295ELNS1_3gpuE0ELNS1_3repE0EEENS1_30default_config_static_selectorELNS0_4arch9wavefront6targetE1EEEvT1_
; %bb.0:
	.section	.rodata,"a",@progbits
	.p2align	6, 0x0
	.amdhsa_kernel _ZN7rocprim17ROCPRIM_400000_NS6detail17trampoline_kernelINS0_14default_configENS1_27scan_by_key_config_selectorIiiEEZZNS1_16scan_by_key_implILNS1_25lookback_scan_determinismE0ELb1ES3_N6thrust23THRUST_200600_302600_NS6detail15normal_iteratorINS9_10device_ptrIiEEEESE_SE_iNS9_4plusIvEENS9_8equal_toIvEEiEE10hipError_tPvRmT2_T3_T4_T5_mT6_T7_P12ihipStream_tbENKUlT_T0_E_clISt17integral_constantIbLb1EESY_IbLb0EEEEDaSU_SV_EUlSU_E_NS1_11comp_targetILNS1_3genE0ELNS1_11target_archE4294967295ELNS1_3gpuE0ELNS1_3repE0EEENS1_30default_config_static_selectorELNS0_4arch9wavefront6targetE1EEEvT1_
		.amdhsa_group_segment_fixed_size 0
		.amdhsa_private_segment_fixed_size 0
		.amdhsa_kernarg_size 112
		.amdhsa_user_sgpr_count 6
		.amdhsa_user_sgpr_private_segment_buffer 1
		.amdhsa_user_sgpr_dispatch_ptr 0
		.amdhsa_user_sgpr_queue_ptr 0
		.amdhsa_user_sgpr_kernarg_segment_ptr 1
		.amdhsa_user_sgpr_dispatch_id 0
		.amdhsa_user_sgpr_flat_scratch_init 0
		.amdhsa_user_sgpr_kernarg_preload_length 0
		.amdhsa_user_sgpr_kernarg_preload_offset 0
		.amdhsa_user_sgpr_private_segment_size 0
		.amdhsa_uses_dynamic_stack 0
		.amdhsa_system_sgpr_private_segment_wavefront_offset 0
		.amdhsa_system_sgpr_workgroup_id_x 1
		.amdhsa_system_sgpr_workgroup_id_y 0
		.amdhsa_system_sgpr_workgroup_id_z 0
		.amdhsa_system_sgpr_workgroup_info 0
		.amdhsa_system_vgpr_workitem_id 0
		.amdhsa_next_free_vgpr 1
		.amdhsa_next_free_sgpr 0
		.amdhsa_accum_offset 4
		.amdhsa_reserve_vcc 0
		.amdhsa_reserve_flat_scratch 0
		.amdhsa_float_round_mode_32 0
		.amdhsa_float_round_mode_16_64 0
		.amdhsa_float_denorm_mode_32 3
		.amdhsa_float_denorm_mode_16_64 3
		.amdhsa_dx10_clamp 1
		.amdhsa_ieee_mode 1
		.amdhsa_fp16_overflow 0
		.amdhsa_tg_split 0
		.amdhsa_exception_fp_ieee_invalid_op 0
		.amdhsa_exception_fp_denorm_src 0
		.amdhsa_exception_fp_ieee_div_zero 0
		.amdhsa_exception_fp_ieee_overflow 0
		.amdhsa_exception_fp_ieee_underflow 0
		.amdhsa_exception_fp_ieee_inexact 0
		.amdhsa_exception_int_div_zero 0
	.end_amdhsa_kernel
	.section	.text._ZN7rocprim17ROCPRIM_400000_NS6detail17trampoline_kernelINS0_14default_configENS1_27scan_by_key_config_selectorIiiEEZZNS1_16scan_by_key_implILNS1_25lookback_scan_determinismE0ELb1ES3_N6thrust23THRUST_200600_302600_NS6detail15normal_iteratorINS9_10device_ptrIiEEEESE_SE_iNS9_4plusIvEENS9_8equal_toIvEEiEE10hipError_tPvRmT2_T3_T4_T5_mT6_T7_P12ihipStream_tbENKUlT_T0_E_clISt17integral_constantIbLb1EESY_IbLb0EEEEDaSU_SV_EUlSU_E_NS1_11comp_targetILNS1_3genE0ELNS1_11target_archE4294967295ELNS1_3gpuE0ELNS1_3repE0EEENS1_30default_config_static_selectorELNS0_4arch9wavefront6targetE1EEEvT1_,"axG",@progbits,_ZN7rocprim17ROCPRIM_400000_NS6detail17trampoline_kernelINS0_14default_configENS1_27scan_by_key_config_selectorIiiEEZZNS1_16scan_by_key_implILNS1_25lookback_scan_determinismE0ELb1ES3_N6thrust23THRUST_200600_302600_NS6detail15normal_iteratorINS9_10device_ptrIiEEEESE_SE_iNS9_4plusIvEENS9_8equal_toIvEEiEE10hipError_tPvRmT2_T3_T4_T5_mT6_T7_P12ihipStream_tbENKUlT_T0_E_clISt17integral_constantIbLb1EESY_IbLb0EEEEDaSU_SV_EUlSU_E_NS1_11comp_targetILNS1_3genE0ELNS1_11target_archE4294967295ELNS1_3gpuE0ELNS1_3repE0EEENS1_30default_config_static_selectorELNS0_4arch9wavefront6targetE1EEEvT1_,comdat
.Lfunc_end99:
	.size	_ZN7rocprim17ROCPRIM_400000_NS6detail17trampoline_kernelINS0_14default_configENS1_27scan_by_key_config_selectorIiiEEZZNS1_16scan_by_key_implILNS1_25lookback_scan_determinismE0ELb1ES3_N6thrust23THRUST_200600_302600_NS6detail15normal_iteratorINS9_10device_ptrIiEEEESE_SE_iNS9_4plusIvEENS9_8equal_toIvEEiEE10hipError_tPvRmT2_T3_T4_T5_mT6_T7_P12ihipStream_tbENKUlT_T0_E_clISt17integral_constantIbLb1EESY_IbLb0EEEEDaSU_SV_EUlSU_E_NS1_11comp_targetILNS1_3genE0ELNS1_11target_archE4294967295ELNS1_3gpuE0ELNS1_3repE0EEENS1_30default_config_static_selectorELNS0_4arch9wavefront6targetE1EEEvT1_, .Lfunc_end99-_ZN7rocprim17ROCPRIM_400000_NS6detail17trampoline_kernelINS0_14default_configENS1_27scan_by_key_config_selectorIiiEEZZNS1_16scan_by_key_implILNS1_25lookback_scan_determinismE0ELb1ES3_N6thrust23THRUST_200600_302600_NS6detail15normal_iteratorINS9_10device_ptrIiEEEESE_SE_iNS9_4plusIvEENS9_8equal_toIvEEiEE10hipError_tPvRmT2_T3_T4_T5_mT6_T7_P12ihipStream_tbENKUlT_T0_E_clISt17integral_constantIbLb1EESY_IbLb0EEEEDaSU_SV_EUlSU_E_NS1_11comp_targetILNS1_3genE0ELNS1_11target_archE4294967295ELNS1_3gpuE0ELNS1_3repE0EEENS1_30default_config_static_selectorELNS0_4arch9wavefront6targetE1EEEvT1_
                                        ; -- End function
	.section	.AMDGPU.csdata,"",@progbits
; Kernel info:
; codeLenInByte = 0
; NumSgprs: 4
; NumVgprs: 0
; NumAgprs: 0
; TotalNumVgprs: 0
; ScratchSize: 0
; MemoryBound: 0
; FloatMode: 240
; IeeeMode: 1
; LDSByteSize: 0 bytes/workgroup (compile time only)
; SGPRBlocks: 0
; VGPRBlocks: 0
; NumSGPRsForWavesPerEU: 4
; NumVGPRsForWavesPerEU: 1
; AccumOffset: 4
; Occupancy: 8
; WaveLimiterHint : 0
; COMPUTE_PGM_RSRC2:SCRATCH_EN: 0
; COMPUTE_PGM_RSRC2:USER_SGPR: 6
; COMPUTE_PGM_RSRC2:TRAP_HANDLER: 0
; COMPUTE_PGM_RSRC2:TGID_X_EN: 1
; COMPUTE_PGM_RSRC2:TGID_Y_EN: 0
; COMPUTE_PGM_RSRC2:TGID_Z_EN: 0
; COMPUTE_PGM_RSRC2:TIDIG_COMP_CNT: 0
; COMPUTE_PGM_RSRC3_GFX90A:ACCUM_OFFSET: 0
; COMPUTE_PGM_RSRC3_GFX90A:TG_SPLIT: 0
	.section	.text._ZN7rocprim17ROCPRIM_400000_NS6detail17trampoline_kernelINS0_14default_configENS1_27scan_by_key_config_selectorIiiEEZZNS1_16scan_by_key_implILNS1_25lookback_scan_determinismE0ELb1ES3_N6thrust23THRUST_200600_302600_NS6detail15normal_iteratorINS9_10device_ptrIiEEEESE_SE_iNS9_4plusIvEENS9_8equal_toIvEEiEE10hipError_tPvRmT2_T3_T4_T5_mT6_T7_P12ihipStream_tbENKUlT_T0_E_clISt17integral_constantIbLb1EESY_IbLb0EEEEDaSU_SV_EUlSU_E_NS1_11comp_targetILNS1_3genE10ELNS1_11target_archE1201ELNS1_3gpuE5ELNS1_3repE0EEENS1_30default_config_static_selectorELNS0_4arch9wavefront6targetE1EEEvT1_,"axG",@progbits,_ZN7rocprim17ROCPRIM_400000_NS6detail17trampoline_kernelINS0_14default_configENS1_27scan_by_key_config_selectorIiiEEZZNS1_16scan_by_key_implILNS1_25lookback_scan_determinismE0ELb1ES3_N6thrust23THRUST_200600_302600_NS6detail15normal_iteratorINS9_10device_ptrIiEEEESE_SE_iNS9_4plusIvEENS9_8equal_toIvEEiEE10hipError_tPvRmT2_T3_T4_T5_mT6_T7_P12ihipStream_tbENKUlT_T0_E_clISt17integral_constantIbLb1EESY_IbLb0EEEEDaSU_SV_EUlSU_E_NS1_11comp_targetILNS1_3genE10ELNS1_11target_archE1201ELNS1_3gpuE5ELNS1_3repE0EEENS1_30default_config_static_selectorELNS0_4arch9wavefront6targetE1EEEvT1_,comdat
	.protected	_ZN7rocprim17ROCPRIM_400000_NS6detail17trampoline_kernelINS0_14default_configENS1_27scan_by_key_config_selectorIiiEEZZNS1_16scan_by_key_implILNS1_25lookback_scan_determinismE0ELb1ES3_N6thrust23THRUST_200600_302600_NS6detail15normal_iteratorINS9_10device_ptrIiEEEESE_SE_iNS9_4plusIvEENS9_8equal_toIvEEiEE10hipError_tPvRmT2_T3_T4_T5_mT6_T7_P12ihipStream_tbENKUlT_T0_E_clISt17integral_constantIbLb1EESY_IbLb0EEEEDaSU_SV_EUlSU_E_NS1_11comp_targetILNS1_3genE10ELNS1_11target_archE1201ELNS1_3gpuE5ELNS1_3repE0EEENS1_30default_config_static_selectorELNS0_4arch9wavefront6targetE1EEEvT1_ ; -- Begin function _ZN7rocprim17ROCPRIM_400000_NS6detail17trampoline_kernelINS0_14default_configENS1_27scan_by_key_config_selectorIiiEEZZNS1_16scan_by_key_implILNS1_25lookback_scan_determinismE0ELb1ES3_N6thrust23THRUST_200600_302600_NS6detail15normal_iteratorINS9_10device_ptrIiEEEESE_SE_iNS9_4plusIvEENS9_8equal_toIvEEiEE10hipError_tPvRmT2_T3_T4_T5_mT6_T7_P12ihipStream_tbENKUlT_T0_E_clISt17integral_constantIbLb1EESY_IbLb0EEEEDaSU_SV_EUlSU_E_NS1_11comp_targetILNS1_3genE10ELNS1_11target_archE1201ELNS1_3gpuE5ELNS1_3repE0EEENS1_30default_config_static_selectorELNS0_4arch9wavefront6targetE1EEEvT1_
	.globl	_ZN7rocprim17ROCPRIM_400000_NS6detail17trampoline_kernelINS0_14default_configENS1_27scan_by_key_config_selectorIiiEEZZNS1_16scan_by_key_implILNS1_25lookback_scan_determinismE0ELb1ES3_N6thrust23THRUST_200600_302600_NS6detail15normal_iteratorINS9_10device_ptrIiEEEESE_SE_iNS9_4plusIvEENS9_8equal_toIvEEiEE10hipError_tPvRmT2_T3_T4_T5_mT6_T7_P12ihipStream_tbENKUlT_T0_E_clISt17integral_constantIbLb1EESY_IbLb0EEEEDaSU_SV_EUlSU_E_NS1_11comp_targetILNS1_3genE10ELNS1_11target_archE1201ELNS1_3gpuE5ELNS1_3repE0EEENS1_30default_config_static_selectorELNS0_4arch9wavefront6targetE1EEEvT1_
	.p2align	8
	.type	_ZN7rocprim17ROCPRIM_400000_NS6detail17trampoline_kernelINS0_14default_configENS1_27scan_by_key_config_selectorIiiEEZZNS1_16scan_by_key_implILNS1_25lookback_scan_determinismE0ELb1ES3_N6thrust23THRUST_200600_302600_NS6detail15normal_iteratorINS9_10device_ptrIiEEEESE_SE_iNS9_4plusIvEENS9_8equal_toIvEEiEE10hipError_tPvRmT2_T3_T4_T5_mT6_T7_P12ihipStream_tbENKUlT_T0_E_clISt17integral_constantIbLb1EESY_IbLb0EEEEDaSU_SV_EUlSU_E_NS1_11comp_targetILNS1_3genE10ELNS1_11target_archE1201ELNS1_3gpuE5ELNS1_3repE0EEENS1_30default_config_static_selectorELNS0_4arch9wavefront6targetE1EEEvT1_,@function
_ZN7rocprim17ROCPRIM_400000_NS6detail17trampoline_kernelINS0_14default_configENS1_27scan_by_key_config_selectorIiiEEZZNS1_16scan_by_key_implILNS1_25lookback_scan_determinismE0ELb1ES3_N6thrust23THRUST_200600_302600_NS6detail15normal_iteratorINS9_10device_ptrIiEEEESE_SE_iNS9_4plusIvEENS9_8equal_toIvEEiEE10hipError_tPvRmT2_T3_T4_T5_mT6_T7_P12ihipStream_tbENKUlT_T0_E_clISt17integral_constantIbLb1EESY_IbLb0EEEEDaSU_SV_EUlSU_E_NS1_11comp_targetILNS1_3genE10ELNS1_11target_archE1201ELNS1_3gpuE5ELNS1_3repE0EEENS1_30default_config_static_selectorELNS0_4arch9wavefront6targetE1EEEvT1_: ; @_ZN7rocprim17ROCPRIM_400000_NS6detail17trampoline_kernelINS0_14default_configENS1_27scan_by_key_config_selectorIiiEEZZNS1_16scan_by_key_implILNS1_25lookback_scan_determinismE0ELb1ES3_N6thrust23THRUST_200600_302600_NS6detail15normal_iteratorINS9_10device_ptrIiEEEESE_SE_iNS9_4plusIvEENS9_8equal_toIvEEiEE10hipError_tPvRmT2_T3_T4_T5_mT6_T7_P12ihipStream_tbENKUlT_T0_E_clISt17integral_constantIbLb1EESY_IbLb0EEEEDaSU_SV_EUlSU_E_NS1_11comp_targetILNS1_3genE10ELNS1_11target_archE1201ELNS1_3gpuE5ELNS1_3repE0EEENS1_30default_config_static_selectorELNS0_4arch9wavefront6targetE1EEEvT1_
; %bb.0:
	.section	.rodata,"a",@progbits
	.p2align	6, 0x0
	.amdhsa_kernel _ZN7rocprim17ROCPRIM_400000_NS6detail17trampoline_kernelINS0_14default_configENS1_27scan_by_key_config_selectorIiiEEZZNS1_16scan_by_key_implILNS1_25lookback_scan_determinismE0ELb1ES3_N6thrust23THRUST_200600_302600_NS6detail15normal_iteratorINS9_10device_ptrIiEEEESE_SE_iNS9_4plusIvEENS9_8equal_toIvEEiEE10hipError_tPvRmT2_T3_T4_T5_mT6_T7_P12ihipStream_tbENKUlT_T0_E_clISt17integral_constantIbLb1EESY_IbLb0EEEEDaSU_SV_EUlSU_E_NS1_11comp_targetILNS1_3genE10ELNS1_11target_archE1201ELNS1_3gpuE5ELNS1_3repE0EEENS1_30default_config_static_selectorELNS0_4arch9wavefront6targetE1EEEvT1_
		.amdhsa_group_segment_fixed_size 0
		.amdhsa_private_segment_fixed_size 0
		.amdhsa_kernarg_size 112
		.amdhsa_user_sgpr_count 6
		.amdhsa_user_sgpr_private_segment_buffer 1
		.amdhsa_user_sgpr_dispatch_ptr 0
		.amdhsa_user_sgpr_queue_ptr 0
		.amdhsa_user_sgpr_kernarg_segment_ptr 1
		.amdhsa_user_sgpr_dispatch_id 0
		.amdhsa_user_sgpr_flat_scratch_init 0
		.amdhsa_user_sgpr_kernarg_preload_length 0
		.amdhsa_user_sgpr_kernarg_preload_offset 0
		.amdhsa_user_sgpr_private_segment_size 0
		.amdhsa_uses_dynamic_stack 0
		.amdhsa_system_sgpr_private_segment_wavefront_offset 0
		.amdhsa_system_sgpr_workgroup_id_x 1
		.amdhsa_system_sgpr_workgroup_id_y 0
		.amdhsa_system_sgpr_workgroup_id_z 0
		.amdhsa_system_sgpr_workgroup_info 0
		.amdhsa_system_vgpr_workitem_id 0
		.amdhsa_next_free_vgpr 1
		.amdhsa_next_free_sgpr 0
		.amdhsa_accum_offset 4
		.amdhsa_reserve_vcc 0
		.amdhsa_reserve_flat_scratch 0
		.amdhsa_float_round_mode_32 0
		.amdhsa_float_round_mode_16_64 0
		.amdhsa_float_denorm_mode_32 3
		.amdhsa_float_denorm_mode_16_64 3
		.amdhsa_dx10_clamp 1
		.amdhsa_ieee_mode 1
		.amdhsa_fp16_overflow 0
		.amdhsa_tg_split 0
		.amdhsa_exception_fp_ieee_invalid_op 0
		.amdhsa_exception_fp_denorm_src 0
		.amdhsa_exception_fp_ieee_div_zero 0
		.amdhsa_exception_fp_ieee_overflow 0
		.amdhsa_exception_fp_ieee_underflow 0
		.amdhsa_exception_fp_ieee_inexact 0
		.amdhsa_exception_int_div_zero 0
	.end_amdhsa_kernel
	.section	.text._ZN7rocprim17ROCPRIM_400000_NS6detail17trampoline_kernelINS0_14default_configENS1_27scan_by_key_config_selectorIiiEEZZNS1_16scan_by_key_implILNS1_25lookback_scan_determinismE0ELb1ES3_N6thrust23THRUST_200600_302600_NS6detail15normal_iteratorINS9_10device_ptrIiEEEESE_SE_iNS9_4plusIvEENS9_8equal_toIvEEiEE10hipError_tPvRmT2_T3_T4_T5_mT6_T7_P12ihipStream_tbENKUlT_T0_E_clISt17integral_constantIbLb1EESY_IbLb0EEEEDaSU_SV_EUlSU_E_NS1_11comp_targetILNS1_3genE10ELNS1_11target_archE1201ELNS1_3gpuE5ELNS1_3repE0EEENS1_30default_config_static_selectorELNS0_4arch9wavefront6targetE1EEEvT1_,"axG",@progbits,_ZN7rocprim17ROCPRIM_400000_NS6detail17trampoline_kernelINS0_14default_configENS1_27scan_by_key_config_selectorIiiEEZZNS1_16scan_by_key_implILNS1_25lookback_scan_determinismE0ELb1ES3_N6thrust23THRUST_200600_302600_NS6detail15normal_iteratorINS9_10device_ptrIiEEEESE_SE_iNS9_4plusIvEENS9_8equal_toIvEEiEE10hipError_tPvRmT2_T3_T4_T5_mT6_T7_P12ihipStream_tbENKUlT_T0_E_clISt17integral_constantIbLb1EESY_IbLb0EEEEDaSU_SV_EUlSU_E_NS1_11comp_targetILNS1_3genE10ELNS1_11target_archE1201ELNS1_3gpuE5ELNS1_3repE0EEENS1_30default_config_static_selectorELNS0_4arch9wavefront6targetE1EEEvT1_,comdat
.Lfunc_end100:
	.size	_ZN7rocprim17ROCPRIM_400000_NS6detail17trampoline_kernelINS0_14default_configENS1_27scan_by_key_config_selectorIiiEEZZNS1_16scan_by_key_implILNS1_25lookback_scan_determinismE0ELb1ES3_N6thrust23THRUST_200600_302600_NS6detail15normal_iteratorINS9_10device_ptrIiEEEESE_SE_iNS9_4plusIvEENS9_8equal_toIvEEiEE10hipError_tPvRmT2_T3_T4_T5_mT6_T7_P12ihipStream_tbENKUlT_T0_E_clISt17integral_constantIbLb1EESY_IbLb0EEEEDaSU_SV_EUlSU_E_NS1_11comp_targetILNS1_3genE10ELNS1_11target_archE1201ELNS1_3gpuE5ELNS1_3repE0EEENS1_30default_config_static_selectorELNS0_4arch9wavefront6targetE1EEEvT1_, .Lfunc_end100-_ZN7rocprim17ROCPRIM_400000_NS6detail17trampoline_kernelINS0_14default_configENS1_27scan_by_key_config_selectorIiiEEZZNS1_16scan_by_key_implILNS1_25lookback_scan_determinismE0ELb1ES3_N6thrust23THRUST_200600_302600_NS6detail15normal_iteratorINS9_10device_ptrIiEEEESE_SE_iNS9_4plusIvEENS9_8equal_toIvEEiEE10hipError_tPvRmT2_T3_T4_T5_mT6_T7_P12ihipStream_tbENKUlT_T0_E_clISt17integral_constantIbLb1EESY_IbLb0EEEEDaSU_SV_EUlSU_E_NS1_11comp_targetILNS1_3genE10ELNS1_11target_archE1201ELNS1_3gpuE5ELNS1_3repE0EEENS1_30default_config_static_selectorELNS0_4arch9wavefront6targetE1EEEvT1_
                                        ; -- End function
	.section	.AMDGPU.csdata,"",@progbits
; Kernel info:
; codeLenInByte = 0
; NumSgprs: 4
; NumVgprs: 0
; NumAgprs: 0
; TotalNumVgprs: 0
; ScratchSize: 0
; MemoryBound: 0
; FloatMode: 240
; IeeeMode: 1
; LDSByteSize: 0 bytes/workgroup (compile time only)
; SGPRBlocks: 0
; VGPRBlocks: 0
; NumSGPRsForWavesPerEU: 4
; NumVGPRsForWavesPerEU: 1
; AccumOffset: 4
; Occupancy: 8
; WaveLimiterHint : 0
; COMPUTE_PGM_RSRC2:SCRATCH_EN: 0
; COMPUTE_PGM_RSRC2:USER_SGPR: 6
; COMPUTE_PGM_RSRC2:TRAP_HANDLER: 0
; COMPUTE_PGM_RSRC2:TGID_X_EN: 1
; COMPUTE_PGM_RSRC2:TGID_Y_EN: 0
; COMPUTE_PGM_RSRC2:TGID_Z_EN: 0
; COMPUTE_PGM_RSRC2:TIDIG_COMP_CNT: 0
; COMPUTE_PGM_RSRC3_GFX90A:ACCUM_OFFSET: 0
; COMPUTE_PGM_RSRC3_GFX90A:TG_SPLIT: 0
	.section	.text._ZN7rocprim17ROCPRIM_400000_NS6detail17trampoline_kernelINS0_14default_configENS1_27scan_by_key_config_selectorIiiEEZZNS1_16scan_by_key_implILNS1_25lookback_scan_determinismE0ELb1ES3_N6thrust23THRUST_200600_302600_NS6detail15normal_iteratorINS9_10device_ptrIiEEEESE_SE_iNS9_4plusIvEENS9_8equal_toIvEEiEE10hipError_tPvRmT2_T3_T4_T5_mT6_T7_P12ihipStream_tbENKUlT_T0_E_clISt17integral_constantIbLb1EESY_IbLb0EEEEDaSU_SV_EUlSU_E_NS1_11comp_targetILNS1_3genE5ELNS1_11target_archE942ELNS1_3gpuE9ELNS1_3repE0EEENS1_30default_config_static_selectorELNS0_4arch9wavefront6targetE1EEEvT1_,"axG",@progbits,_ZN7rocprim17ROCPRIM_400000_NS6detail17trampoline_kernelINS0_14default_configENS1_27scan_by_key_config_selectorIiiEEZZNS1_16scan_by_key_implILNS1_25lookback_scan_determinismE0ELb1ES3_N6thrust23THRUST_200600_302600_NS6detail15normal_iteratorINS9_10device_ptrIiEEEESE_SE_iNS9_4plusIvEENS9_8equal_toIvEEiEE10hipError_tPvRmT2_T3_T4_T5_mT6_T7_P12ihipStream_tbENKUlT_T0_E_clISt17integral_constantIbLb1EESY_IbLb0EEEEDaSU_SV_EUlSU_E_NS1_11comp_targetILNS1_3genE5ELNS1_11target_archE942ELNS1_3gpuE9ELNS1_3repE0EEENS1_30default_config_static_selectorELNS0_4arch9wavefront6targetE1EEEvT1_,comdat
	.protected	_ZN7rocprim17ROCPRIM_400000_NS6detail17trampoline_kernelINS0_14default_configENS1_27scan_by_key_config_selectorIiiEEZZNS1_16scan_by_key_implILNS1_25lookback_scan_determinismE0ELb1ES3_N6thrust23THRUST_200600_302600_NS6detail15normal_iteratorINS9_10device_ptrIiEEEESE_SE_iNS9_4plusIvEENS9_8equal_toIvEEiEE10hipError_tPvRmT2_T3_T4_T5_mT6_T7_P12ihipStream_tbENKUlT_T0_E_clISt17integral_constantIbLb1EESY_IbLb0EEEEDaSU_SV_EUlSU_E_NS1_11comp_targetILNS1_3genE5ELNS1_11target_archE942ELNS1_3gpuE9ELNS1_3repE0EEENS1_30default_config_static_selectorELNS0_4arch9wavefront6targetE1EEEvT1_ ; -- Begin function _ZN7rocprim17ROCPRIM_400000_NS6detail17trampoline_kernelINS0_14default_configENS1_27scan_by_key_config_selectorIiiEEZZNS1_16scan_by_key_implILNS1_25lookback_scan_determinismE0ELb1ES3_N6thrust23THRUST_200600_302600_NS6detail15normal_iteratorINS9_10device_ptrIiEEEESE_SE_iNS9_4plusIvEENS9_8equal_toIvEEiEE10hipError_tPvRmT2_T3_T4_T5_mT6_T7_P12ihipStream_tbENKUlT_T0_E_clISt17integral_constantIbLb1EESY_IbLb0EEEEDaSU_SV_EUlSU_E_NS1_11comp_targetILNS1_3genE5ELNS1_11target_archE942ELNS1_3gpuE9ELNS1_3repE0EEENS1_30default_config_static_selectorELNS0_4arch9wavefront6targetE1EEEvT1_
	.globl	_ZN7rocprim17ROCPRIM_400000_NS6detail17trampoline_kernelINS0_14default_configENS1_27scan_by_key_config_selectorIiiEEZZNS1_16scan_by_key_implILNS1_25lookback_scan_determinismE0ELb1ES3_N6thrust23THRUST_200600_302600_NS6detail15normal_iteratorINS9_10device_ptrIiEEEESE_SE_iNS9_4plusIvEENS9_8equal_toIvEEiEE10hipError_tPvRmT2_T3_T4_T5_mT6_T7_P12ihipStream_tbENKUlT_T0_E_clISt17integral_constantIbLb1EESY_IbLb0EEEEDaSU_SV_EUlSU_E_NS1_11comp_targetILNS1_3genE5ELNS1_11target_archE942ELNS1_3gpuE9ELNS1_3repE0EEENS1_30default_config_static_selectorELNS0_4arch9wavefront6targetE1EEEvT1_
	.p2align	8
	.type	_ZN7rocprim17ROCPRIM_400000_NS6detail17trampoline_kernelINS0_14default_configENS1_27scan_by_key_config_selectorIiiEEZZNS1_16scan_by_key_implILNS1_25lookback_scan_determinismE0ELb1ES3_N6thrust23THRUST_200600_302600_NS6detail15normal_iteratorINS9_10device_ptrIiEEEESE_SE_iNS9_4plusIvEENS9_8equal_toIvEEiEE10hipError_tPvRmT2_T3_T4_T5_mT6_T7_P12ihipStream_tbENKUlT_T0_E_clISt17integral_constantIbLb1EESY_IbLb0EEEEDaSU_SV_EUlSU_E_NS1_11comp_targetILNS1_3genE5ELNS1_11target_archE942ELNS1_3gpuE9ELNS1_3repE0EEENS1_30default_config_static_selectorELNS0_4arch9wavefront6targetE1EEEvT1_,@function
_ZN7rocprim17ROCPRIM_400000_NS6detail17trampoline_kernelINS0_14default_configENS1_27scan_by_key_config_selectorIiiEEZZNS1_16scan_by_key_implILNS1_25lookback_scan_determinismE0ELb1ES3_N6thrust23THRUST_200600_302600_NS6detail15normal_iteratorINS9_10device_ptrIiEEEESE_SE_iNS9_4plusIvEENS9_8equal_toIvEEiEE10hipError_tPvRmT2_T3_T4_T5_mT6_T7_P12ihipStream_tbENKUlT_T0_E_clISt17integral_constantIbLb1EESY_IbLb0EEEEDaSU_SV_EUlSU_E_NS1_11comp_targetILNS1_3genE5ELNS1_11target_archE942ELNS1_3gpuE9ELNS1_3repE0EEENS1_30default_config_static_selectorELNS0_4arch9wavefront6targetE1EEEvT1_: ; @_ZN7rocprim17ROCPRIM_400000_NS6detail17trampoline_kernelINS0_14default_configENS1_27scan_by_key_config_selectorIiiEEZZNS1_16scan_by_key_implILNS1_25lookback_scan_determinismE0ELb1ES3_N6thrust23THRUST_200600_302600_NS6detail15normal_iteratorINS9_10device_ptrIiEEEESE_SE_iNS9_4plusIvEENS9_8equal_toIvEEiEE10hipError_tPvRmT2_T3_T4_T5_mT6_T7_P12ihipStream_tbENKUlT_T0_E_clISt17integral_constantIbLb1EESY_IbLb0EEEEDaSU_SV_EUlSU_E_NS1_11comp_targetILNS1_3genE5ELNS1_11target_archE942ELNS1_3gpuE9ELNS1_3repE0EEENS1_30default_config_static_selectorELNS0_4arch9wavefront6targetE1EEEvT1_
; %bb.0:
	.section	.rodata,"a",@progbits
	.p2align	6, 0x0
	.amdhsa_kernel _ZN7rocprim17ROCPRIM_400000_NS6detail17trampoline_kernelINS0_14default_configENS1_27scan_by_key_config_selectorIiiEEZZNS1_16scan_by_key_implILNS1_25lookback_scan_determinismE0ELb1ES3_N6thrust23THRUST_200600_302600_NS6detail15normal_iteratorINS9_10device_ptrIiEEEESE_SE_iNS9_4plusIvEENS9_8equal_toIvEEiEE10hipError_tPvRmT2_T3_T4_T5_mT6_T7_P12ihipStream_tbENKUlT_T0_E_clISt17integral_constantIbLb1EESY_IbLb0EEEEDaSU_SV_EUlSU_E_NS1_11comp_targetILNS1_3genE5ELNS1_11target_archE942ELNS1_3gpuE9ELNS1_3repE0EEENS1_30default_config_static_selectorELNS0_4arch9wavefront6targetE1EEEvT1_
		.amdhsa_group_segment_fixed_size 0
		.amdhsa_private_segment_fixed_size 0
		.amdhsa_kernarg_size 112
		.amdhsa_user_sgpr_count 6
		.amdhsa_user_sgpr_private_segment_buffer 1
		.amdhsa_user_sgpr_dispatch_ptr 0
		.amdhsa_user_sgpr_queue_ptr 0
		.amdhsa_user_sgpr_kernarg_segment_ptr 1
		.amdhsa_user_sgpr_dispatch_id 0
		.amdhsa_user_sgpr_flat_scratch_init 0
		.amdhsa_user_sgpr_kernarg_preload_length 0
		.amdhsa_user_sgpr_kernarg_preload_offset 0
		.amdhsa_user_sgpr_private_segment_size 0
		.amdhsa_uses_dynamic_stack 0
		.amdhsa_system_sgpr_private_segment_wavefront_offset 0
		.amdhsa_system_sgpr_workgroup_id_x 1
		.amdhsa_system_sgpr_workgroup_id_y 0
		.amdhsa_system_sgpr_workgroup_id_z 0
		.amdhsa_system_sgpr_workgroup_info 0
		.amdhsa_system_vgpr_workitem_id 0
		.amdhsa_next_free_vgpr 1
		.amdhsa_next_free_sgpr 0
		.amdhsa_accum_offset 4
		.amdhsa_reserve_vcc 0
		.amdhsa_reserve_flat_scratch 0
		.amdhsa_float_round_mode_32 0
		.amdhsa_float_round_mode_16_64 0
		.amdhsa_float_denorm_mode_32 3
		.amdhsa_float_denorm_mode_16_64 3
		.amdhsa_dx10_clamp 1
		.amdhsa_ieee_mode 1
		.amdhsa_fp16_overflow 0
		.amdhsa_tg_split 0
		.amdhsa_exception_fp_ieee_invalid_op 0
		.amdhsa_exception_fp_denorm_src 0
		.amdhsa_exception_fp_ieee_div_zero 0
		.amdhsa_exception_fp_ieee_overflow 0
		.amdhsa_exception_fp_ieee_underflow 0
		.amdhsa_exception_fp_ieee_inexact 0
		.amdhsa_exception_int_div_zero 0
	.end_amdhsa_kernel
	.section	.text._ZN7rocprim17ROCPRIM_400000_NS6detail17trampoline_kernelINS0_14default_configENS1_27scan_by_key_config_selectorIiiEEZZNS1_16scan_by_key_implILNS1_25lookback_scan_determinismE0ELb1ES3_N6thrust23THRUST_200600_302600_NS6detail15normal_iteratorINS9_10device_ptrIiEEEESE_SE_iNS9_4plusIvEENS9_8equal_toIvEEiEE10hipError_tPvRmT2_T3_T4_T5_mT6_T7_P12ihipStream_tbENKUlT_T0_E_clISt17integral_constantIbLb1EESY_IbLb0EEEEDaSU_SV_EUlSU_E_NS1_11comp_targetILNS1_3genE5ELNS1_11target_archE942ELNS1_3gpuE9ELNS1_3repE0EEENS1_30default_config_static_selectorELNS0_4arch9wavefront6targetE1EEEvT1_,"axG",@progbits,_ZN7rocprim17ROCPRIM_400000_NS6detail17trampoline_kernelINS0_14default_configENS1_27scan_by_key_config_selectorIiiEEZZNS1_16scan_by_key_implILNS1_25lookback_scan_determinismE0ELb1ES3_N6thrust23THRUST_200600_302600_NS6detail15normal_iteratorINS9_10device_ptrIiEEEESE_SE_iNS9_4plusIvEENS9_8equal_toIvEEiEE10hipError_tPvRmT2_T3_T4_T5_mT6_T7_P12ihipStream_tbENKUlT_T0_E_clISt17integral_constantIbLb1EESY_IbLb0EEEEDaSU_SV_EUlSU_E_NS1_11comp_targetILNS1_3genE5ELNS1_11target_archE942ELNS1_3gpuE9ELNS1_3repE0EEENS1_30default_config_static_selectorELNS0_4arch9wavefront6targetE1EEEvT1_,comdat
.Lfunc_end101:
	.size	_ZN7rocprim17ROCPRIM_400000_NS6detail17trampoline_kernelINS0_14default_configENS1_27scan_by_key_config_selectorIiiEEZZNS1_16scan_by_key_implILNS1_25lookback_scan_determinismE0ELb1ES3_N6thrust23THRUST_200600_302600_NS6detail15normal_iteratorINS9_10device_ptrIiEEEESE_SE_iNS9_4plusIvEENS9_8equal_toIvEEiEE10hipError_tPvRmT2_T3_T4_T5_mT6_T7_P12ihipStream_tbENKUlT_T0_E_clISt17integral_constantIbLb1EESY_IbLb0EEEEDaSU_SV_EUlSU_E_NS1_11comp_targetILNS1_3genE5ELNS1_11target_archE942ELNS1_3gpuE9ELNS1_3repE0EEENS1_30default_config_static_selectorELNS0_4arch9wavefront6targetE1EEEvT1_, .Lfunc_end101-_ZN7rocprim17ROCPRIM_400000_NS6detail17trampoline_kernelINS0_14default_configENS1_27scan_by_key_config_selectorIiiEEZZNS1_16scan_by_key_implILNS1_25lookback_scan_determinismE0ELb1ES3_N6thrust23THRUST_200600_302600_NS6detail15normal_iteratorINS9_10device_ptrIiEEEESE_SE_iNS9_4plusIvEENS9_8equal_toIvEEiEE10hipError_tPvRmT2_T3_T4_T5_mT6_T7_P12ihipStream_tbENKUlT_T0_E_clISt17integral_constantIbLb1EESY_IbLb0EEEEDaSU_SV_EUlSU_E_NS1_11comp_targetILNS1_3genE5ELNS1_11target_archE942ELNS1_3gpuE9ELNS1_3repE0EEENS1_30default_config_static_selectorELNS0_4arch9wavefront6targetE1EEEvT1_
                                        ; -- End function
	.section	.AMDGPU.csdata,"",@progbits
; Kernel info:
; codeLenInByte = 0
; NumSgprs: 4
; NumVgprs: 0
; NumAgprs: 0
; TotalNumVgprs: 0
; ScratchSize: 0
; MemoryBound: 0
; FloatMode: 240
; IeeeMode: 1
; LDSByteSize: 0 bytes/workgroup (compile time only)
; SGPRBlocks: 0
; VGPRBlocks: 0
; NumSGPRsForWavesPerEU: 4
; NumVGPRsForWavesPerEU: 1
; AccumOffset: 4
; Occupancy: 8
; WaveLimiterHint : 0
; COMPUTE_PGM_RSRC2:SCRATCH_EN: 0
; COMPUTE_PGM_RSRC2:USER_SGPR: 6
; COMPUTE_PGM_RSRC2:TRAP_HANDLER: 0
; COMPUTE_PGM_RSRC2:TGID_X_EN: 1
; COMPUTE_PGM_RSRC2:TGID_Y_EN: 0
; COMPUTE_PGM_RSRC2:TGID_Z_EN: 0
; COMPUTE_PGM_RSRC2:TIDIG_COMP_CNT: 0
; COMPUTE_PGM_RSRC3_GFX90A:ACCUM_OFFSET: 0
; COMPUTE_PGM_RSRC3_GFX90A:TG_SPLIT: 0
	.section	.text._ZN7rocprim17ROCPRIM_400000_NS6detail17trampoline_kernelINS0_14default_configENS1_27scan_by_key_config_selectorIiiEEZZNS1_16scan_by_key_implILNS1_25lookback_scan_determinismE0ELb1ES3_N6thrust23THRUST_200600_302600_NS6detail15normal_iteratorINS9_10device_ptrIiEEEESE_SE_iNS9_4plusIvEENS9_8equal_toIvEEiEE10hipError_tPvRmT2_T3_T4_T5_mT6_T7_P12ihipStream_tbENKUlT_T0_E_clISt17integral_constantIbLb1EESY_IbLb0EEEEDaSU_SV_EUlSU_E_NS1_11comp_targetILNS1_3genE4ELNS1_11target_archE910ELNS1_3gpuE8ELNS1_3repE0EEENS1_30default_config_static_selectorELNS0_4arch9wavefront6targetE1EEEvT1_,"axG",@progbits,_ZN7rocprim17ROCPRIM_400000_NS6detail17trampoline_kernelINS0_14default_configENS1_27scan_by_key_config_selectorIiiEEZZNS1_16scan_by_key_implILNS1_25lookback_scan_determinismE0ELb1ES3_N6thrust23THRUST_200600_302600_NS6detail15normal_iteratorINS9_10device_ptrIiEEEESE_SE_iNS9_4plusIvEENS9_8equal_toIvEEiEE10hipError_tPvRmT2_T3_T4_T5_mT6_T7_P12ihipStream_tbENKUlT_T0_E_clISt17integral_constantIbLb1EESY_IbLb0EEEEDaSU_SV_EUlSU_E_NS1_11comp_targetILNS1_3genE4ELNS1_11target_archE910ELNS1_3gpuE8ELNS1_3repE0EEENS1_30default_config_static_selectorELNS0_4arch9wavefront6targetE1EEEvT1_,comdat
	.protected	_ZN7rocprim17ROCPRIM_400000_NS6detail17trampoline_kernelINS0_14default_configENS1_27scan_by_key_config_selectorIiiEEZZNS1_16scan_by_key_implILNS1_25lookback_scan_determinismE0ELb1ES3_N6thrust23THRUST_200600_302600_NS6detail15normal_iteratorINS9_10device_ptrIiEEEESE_SE_iNS9_4plusIvEENS9_8equal_toIvEEiEE10hipError_tPvRmT2_T3_T4_T5_mT6_T7_P12ihipStream_tbENKUlT_T0_E_clISt17integral_constantIbLb1EESY_IbLb0EEEEDaSU_SV_EUlSU_E_NS1_11comp_targetILNS1_3genE4ELNS1_11target_archE910ELNS1_3gpuE8ELNS1_3repE0EEENS1_30default_config_static_selectorELNS0_4arch9wavefront6targetE1EEEvT1_ ; -- Begin function _ZN7rocprim17ROCPRIM_400000_NS6detail17trampoline_kernelINS0_14default_configENS1_27scan_by_key_config_selectorIiiEEZZNS1_16scan_by_key_implILNS1_25lookback_scan_determinismE0ELb1ES3_N6thrust23THRUST_200600_302600_NS6detail15normal_iteratorINS9_10device_ptrIiEEEESE_SE_iNS9_4plusIvEENS9_8equal_toIvEEiEE10hipError_tPvRmT2_T3_T4_T5_mT6_T7_P12ihipStream_tbENKUlT_T0_E_clISt17integral_constantIbLb1EESY_IbLb0EEEEDaSU_SV_EUlSU_E_NS1_11comp_targetILNS1_3genE4ELNS1_11target_archE910ELNS1_3gpuE8ELNS1_3repE0EEENS1_30default_config_static_selectorELNS0_4arch9wavefront6targetE1EEEvT1_
	.globl	_ZN7rocprim17ROCPRIM_400000_NS6detail17trampoline_kernelINS0_14default_configENS1_27scan_by_key_config_selectorIiiEEZZNS1_16scan_by_key_implILNS1_25lookback_scan_determinismE0ELb1ES3_N6thrust23THRUST_200600_302600_NS6detail15normal_iteratorINS9_10device_ptrIiEEEESE_SE_iNS9_4plusIvEENS9_8equal_toIvEEiEE10hipError_tPvRmT2_T3_T4_T5_mT6_T7_P12ihipStream_tbENKUlT_T0_E_clISt17integral_constantIbLb1EESY_IbLb0EEEEDaSU_SV_EUlSU_E_NS1_11comp_targetILNS1_3genE4ELNS1_11target_archE910ELNS1_3gpuE8ELNS1_3repE0EEENS1_30default_config_static_selectorELNS0_4arch9wavefront6targetE1EEEvT1_
	.p2align	8
	.type	_ZN7rocprim17ROCPRIM_400000_NS6detail17trampoline_kernelINS0_14default_configENS1_27scan_by_key_config_selectorIiiEEZZNS1_16scan_by_key_implILNS1_25lookback_scan_determinismE0ELb1ES3_N6thrust23THRUST_200600_302600_NS6detail15normal_iteratorINS9_10device_ptrIiEEEESE_SE_iNS9_4plusIvEENS9_8equal_toIvEEiEE10hipError_tPvRmT2_T3_T4_T5_mT6_T7_P12ihipStream_tbENKUlT_T0_E_clISt17integral_constantIbLb1EESY_IbLb0EEEEDaSU_SV_EUlSU_E_NS1_11comp_targetILNS1_3genE4ELNS1_11target_archE910ELNS1_3gpuE8ELNS1_3repE0EEENS1_30default_config_static_selectorELNS0_4arch9wavefront6targetE1EEEvT1_,@function
_ZN7rocprim17ROCPRIM_400000_NS6detail17trampoline_kernelINS0_14default_configENS1_27scan_by_key_config_selectorIiiEEZZNS1_16scan_by_key_implILNS1_25lookback_scan_determinismE0ELb1ES3_N6thrust23THRUST_200600_302600_NS6detail15normal_iteratorINS9_10device_ptrIiEEEESE_SE_iNS9_4plusIvEENS9_8equal_toIvEEiEE10hipError_tPvRmT2_T3_T4_T5_mT6_T7_P12ihipStream_tbENKUlT_T0_E_clISt17integral_constantIbLb1EESY_IbLb0EEEEDaSU_SV_EUlSU_E_NS1_11comp_targetILNS1_3genE4ELNS1_11target_archE910ELNS1_3gpuE8ELNS1_3repE0EEENS1_30default_config_static_selectorELNS0_4arch9wavefront6targetE1EEEvT1_: ; @_ZN7rocprim17ROCPRIM_400000_NS6detail17trampoline_kernelINS0_14default_configENS1_27scan_by_key_config_selectorIiiEEZZNS1_16scan_by_key_implILNS1_25lookback_scan_determinismE0ELb1ES3_N6thrust23THRUST_200600_302600_NS6detail15normal_iteratorINS9_10device_ptrIiEEEESE_SE_iNS9_4plusIvEENS9_8equal_toIvEEiEE10hipError_tPvRmT2_T3_T4_T5_mT6_T7_P12ihipStream_tbENKUlT_T0_E_clISt17integral_constantIbLb1EESY_IbLb0EEEEDaSU_SV_EUlSU_E_NS1_11comp_targetILNS1_3genE4ELNS1_11target_archE910ELNS1_3gpuE8ELNS1_3repE0EEENS1_30default_config_static_selectorELNS0_4arch9wavefront6targetE1EEEvT1_
; %bb.0:
	s_load_dwordx8 s[36:43], s[4:5], 0x0
	s_load_dword s56, s[4:5], 0x20
	s_load_dwordx4 s[44:47], s[4:5], 0x28
	s_load_dwordx2 s[52:53], s[4:5], 0x38
	s_load_dword s0, s[4:5], 0x40
	s_load_dwordx4 s[48:51], s[4:5], 0x48
	s_waitcnt lgkmcnt(0)
	s_lshl_b64 s[34:35], s[38:39], 2
	s_add_u32 s2, s36, s34
	s_addc_u32 s3, s37, s35
	s_add_u32 s4, s40, s34
	s_mul_i32 s1, s53, s0
	s_mul_hi_u32 s7, s52, s0
	s_addc_u32 s5, s41, s35
	s_add_i32 s8, s7, s1
	s_mul_i32 s9, s52, s0
	s_mul_i32 s0, s6, 0xe00
	s_mov_b32 s1, 0
	s_lshl_b64 s[36:37], s[0:1], 2
	s_add_u32 s38, s2, s36
	s_addc_u32 s39, s3, s37
	s_add_u32 s7, s4, s36
	s_addc_u32 s47, s5, s37
	;; [unrolled: 2-line block ×3, first 2 shown]
	s_add_u32 s4, s48, -1
	s_addc_u32 s5, s49, -1
	v_pk_mov_b32 v[2:3], s[4:5], s[4:5] op_sel:[0,1]
	v_cmp_ge_u64_e64 s[0:1], s[0:1], v[2:3]
	s_mov_b64 s[2:3], -1
	s_and_b64 vcc, exec, s[0:1]
	s_mul_i32 s33, s4, 0xfffff200
	s_barrier
	s_cbranch_vccz .LBB102_76
; %bb.1:
	v_pk_mov_b32 v[2:3], s[38:39], s[38:39] op_sel:[0,1]
	flat_load_dword v1, v[2:3]
	s_add_i32 s54, s33, s46
	v_cmp_gt_u32_e32 vcc, s54, v0
	s_waitcnt vmcnt(0) lgkmcnt(0)
	v_mov_b32_e32 v13, v1
	s_and_saveexec_b64 s[4:5], vcc
	s_cbranch_execz .LBB102_3
; %bb.2:
	v_lshlrev_b32_e32 v2, 2, v0
	v_mov_b32_e32 v3, s39
	v_add_co_u32_e64 v2, s[2:3], s38, v2
	v_addc_co_u32_e64 v3, s[2:3], 0, v3, s[2:3]
	flat_load_dword v13, v[2:3]
.LBB102_3:
	s_or_b64 exec, exec, s[4:5]
	v_or_b32_e32 v2, 0x100, v0
	v_cmp_gt_u32_e64 s[2:3], s54, v2
	v_mov_b32_e32 v14, v1
	s_and_saveexec_b64 s[8:9], s[2:3]
	s_cbranch_execz .LBB102_5
; %bb.4:
	v_lshlrev_b32_e32 v2, 2, v0
	v_mov_b32_e32 v3, s39
	v_add_co_u32_e64 v2, s[4:5], s38, v2
	v_addc_co_u32_e64 v3, s[4:5], 0, v3, s[4:5]
	flat_load_dword v14, v[2:3] offset:1024
.LBB102_5:
	s_or_b64 exec, exec, s[8:9]
	v_or_b32_e32 v2, 0x200, v0
	v_cmp_gt_u32_e64 s[4:5], s54, v2
	v_mov_b32_e32 v15, v1
	s_and_saveexec_b64 s[10:11], s[4:5]
	s_cbranch_execz .LBB102_7
; %bb.6:
	v_lshlrev_b32_e32 v2, 2, v0
	v_mov_b32_e32 v3, s39
	v_add_co_u32_e64 v2, s[8:9], s38, v2
	v_addc_co_u32_e64 v3, s[8:9], 0, v3, s[8:9]
	flat_load_dword v15, v[2:3] offset:2048
.LBB102_7:
	;; [unrolled: 13-line block ×3, first 2 shown]
	s_or_b64 exec, exec, s[10:11]
	v_or_b32_e32 v2, 0x400, v0
	v_cmp_gt_u32_e64 s[8:9], s54, v2
	v_mov_b32_e32 v17, v1
	s_and_saveexec_b64 s[12:13], s[8:9]
	s_cbranch_execz .LBB102_11
; %bb.10:
	v_lshlrev_b32_e32 v3, 2, v2
	v_mov_b32_e32 v5, s39
	v_add_co_u32_e64 v4, s[10:11], s38, v3
	v_addc_co_u32_e64 v5, s[10:11], 0, v5, s[10:11]
	flat_load_dword v17, v[4:5]
.LBB102_11:
	s_or_b64 exec, exec, s[12:13]
	v_or_b32_e32 v3, 0x500, v0
	v_cmp_gt_u32_e64 s[10:11], s54, v3
	v_mov_b32_e32 v18, v1
	s_and_saveexec_b64 s[14:15], s[10:11]
	s_cbranch_execz .LBB102_13
; %bb.12:
	v_lshlrev_b32_e32 v4, 2, v3
	v_mov_b32_e32 v5, s39
	v_add_co_u32_e64 v4, s[12:13], s38, v4
	v_addc_co_u32_e64 v5, s[12:13], 0, v5, s[12:13]
	flat_load_dword v18, v[4:5]
.LBB102_13:
	;; [unrolled: 13-line block ×9, first 2 shown]
	s_or_b64 exec, exec, s[30:31]
	v_or_b32_e32 v11, 0xd00, v0
	v_cmp_gt_u32_e64 s[26:27], s54, v11
	s_and_saveexec_b64 s[40:41], s[26:27]
	s_cbranch_execz .LBB102_29
; %bb.28:
	v_lshlrev_b32_e32 v1, 2, v11
	v_mov_b32_e32 v12, s39
	v_add_co_u32_e64 v26, s[30:31], s38, v1
	v_addc_co_u32_e64 v27, s[30:31], 0, v12, s[30:31]
	flat_load_dword v1, v[26:27]
.LBB102_29:
	s_or_b64 exec, exec, s[40:41]
	v_lshlrev_b32_e32 v12, 2, v0
	s_waitcnt vmcnt(0) lgkmcnt(0)
	ds_write2st64_b32 v12, v13, v14 offset1:4
	ds_write2st64_b32 v12, v15, v16 offset0:8 offset1:12
	ds_write2st64_b32 v12, v17, v18 offset0:16 offset1:20
	;; [unrolled: 1-line block ×6, first 2 shown]
	v_pk_mov_b32 v[14:15], s[38:39], s[38:39] op_sel:[0,1]
	s_waitcnt lgkmcnt(0)
	s_barrier
	flat_load_dword v1, v[14:15]
	v_mad_u32_u24 v44, v0, 52, v12
	s_movk_i32 s30, 0xffcc
	ds_read2_b64 v[34:37], v44 offset1:1
	ds_read2_b64 v[30:33], v44 offset0:2 offset1:3
	ds_read2_b64 v[26:29], v44 offset0:4 offset1:5
	ds_read_b64 v[40:41], v44 offset:48
	v_mad_i32_i24 v13, v0, s30, v44
	s_movk_i32 s30, 0xff
	v_cmp_ne_u32_e64 s[30:31], s30, v0
	s_waitcnt lgkmcnt(0)
	ds_write_b32 v13, v34 offset:15360
	s_waitcnt lgkmcnt(0)
	s_barrier
	s_and_saveexec_b64 s[40:41], s[30:31]
	s_cbranch_execz .LBB102_31
; %bb.30:
	s_waitcnt vmcnt(0)
	ds_read_b32 v1, v12 offset:15364
.LBB102_31:
	s_or_b64 exec, exec, s[40:41]
	s_waitcnt lgkmcnt(0)
	s_barrier
	s_waitcnt lgkmcnt(0)
                                        ; implicit-def: $vgpr13
	s_and_saveexec_b64 s[30:31], vcc
	s_cbranch_execz .LBB102_117
; %bb.32:
	v_mov_b32_e32 v13, s47
	v_add_co_u32_e32 v14, vcc, s7, v12
	v_addc_co_u32_e32 v15, vcc, 0, v13, vcc
	flat_load_dword v13, v[14:15]
	s_or_b64 exec, exec, s[30:31]
                                        ; implicit-def: $vgpr14
	s_and_saveexec_b64 s[30:31], s[2:3]
	s_cbranch_execnz .LBB102_118
.LBB102_33:
	s_or_b64 exec, exec, s[30:31]
                                        ; implicit-def: $vgpr15
	s_and_saveexec_b64 s[2:3], s[4:5]
	s_cbranch_execz .LBB102_119
.LBB102_34:
	v_mov_b32_e32 v15, s47
	v_add_co_u32_e32 v16, vcc, s7, v12
	v_addc_co_u32_e32 v17, vcc, 0, v15, vcc
	flat_load_dword v15, v[16:17] offset:2048
	s_or_b64 exec, exec, s[2:3]
                                        ; implicit-def: $vgpr16
	s_and_saveexec_b64 s[2:3], s[28:29]
	s_cbranch_execnz .LBB102_120
.LBB102_35:
	s_or_b64 exec, exec, s[2:3]
                                        ; implicit-def: $vgpr17
	s_and_saveexec_b64 s[2:3], s[8:9]
	s_cbranch_execz .LBB102_121
.LBB102_36:
	v_lshlrev_b32_e32 v2, 2, v2
	v_mov_b32_e32 v17, s47
	v_add_co_u32_e32 v18, vcc, s7, v2
	v_addc_co_u32_e32 v19, vcc, 0, v17, vcc
	flat_load_dword v17, v[18:19]
	s_or_b64 exec, exec, s[2:3]
                                        ; implicit-def: $vgpr2
	s_and_saveexec_b64 s[2:3], s[10:11]
	s_cbranch_execnz .LBB102_122
.LBB102_37:
	s_or_b64 exec, exec, s[2:3]
                                        ; implicit-def: $vgpr3
	s_and_saveexec_b64 s[2:3], s[12:13]
	s_cbranch_execz .LBB102_123
.LBB102_38:
	v_lshlrev_b32_e32 v3, 2, v4
	v_mov_b32_e32 v4, s47
	v_add_co_u32_e32 v18, vcc, s7, v3
	v_addc_co_u32_e32 v19, vcc, 0, v4, vcc
	flat_load_dword v3, v[18:19]
	s_or_b64 exec, exec, s[2:3]
                                        ; implicit-def: $vgpr4
	s_and_saveexec_b64 s[2:3], s[14:15]
	s_cbranch_execnz .LBB102_124
.LBB102_39:
	s_or_b64 exec, exec, s[2:3]
                                        ; implicit-def: $vgpr5
	s_and_saveexec_b64 s[2:3], s[16:17]
	s_cbranch_execz .LBB102_125
.LBB102_40:
	v_lshlrev_b32_e32 v5, 2, v6
	v_mov_b32_e32 v6, s47
	v_add_co_u32_e32 v18, vcc, s7, v5
	v_addc_co_u32_e32 v19, vcc, 0, v6, vcc
	flat_load_dword v5, v[18:19]
	s_or_b64 exec, exec, s[2:3]
                                        ; implicit-def: $vgpr6
	s_and_saveexec_b64 s[2:3], s[18:19]
	s_cbranch_execnz .LBB102_126
.LBB102_41:
	s_or_b64 exec, exec, s[2:3]
                                        ; implicit-def: $vgpr7
	s_and_saveexec_b64 s[2:3], s[20:21]
	s_cbranch_execz .LBB102_127
.LBB102_42:
	v_lshlrev_b32_e32 v7, 2, v8
	v_mov_b32_e32 v8, s47
	v_add_co_u32_e32 v18, vcc, s7, v7
	v_addc_co_u32_e32 v19, vcc, 0, v8, vcc
	flat_load_dword v7, v[18:19]
	s_or_b64 exec, exec, s[2:3]
                                        ; implicit-def: $vgpr8
	s_and_saveexec_b64 s[2:3], s[22:23]
	s_cbranch_execnz .LBB102_128
.LBB102_43:
	s_or_b64 exec, exec, s[2:3]
                                        ; implicit-def: $vgpr9
	s_and_saveexec_b64 s[2:3], s[24:25]
	s_cbranch_execz .LBB102_45
.LBB102_44:
	v_lshlrev_b32_e32 v9, 2, v10
	v_mov_b32_e32 v10, s47
	v_add_co_u32_e32 v18, vcc, s7, v9
	v_addc_co_u32_e32 v19, vcc, 0, v10, vcc
	flat_load_dword v9, v[18:19]
.LBB102_45:
	s_or_b64 exec, exec, s[2:3]
	v_mul_u32_u24_e32 v45, 14, v0
                                        ; implicit-def: $vgpr10
	s_and_saveexec_b64 s[2:3], s[26:27]
	s_cbranch_execz .LBB102_47
; %bb.46:
	v_lshlrev_b32_e32 v10, 2, v11
	v_mov_b32_e32 v11, s47
	v_add_co_u32_e32 v10, vcc, s7, v10
	v_addc_co_u32_e32 v11, vcc, 0, v11, vcc
	flat_load_dword v10, v[10:11]
.LBB102_47:
	s_or_b64 exec, exec, s[2:3]
	s_mov_b32 s8, 0
	s_mov_b32 s9, s8
	s_waitcnt vmcnt(0) lgkmcnt(0)
	ds_write2st64_b32 v12, v13, v14 offset1:4
	ds_write2st64_b32 v12, v15, v16 offset0:8 offset1:12
	ds_write2st64_b32 v12, v17, v2 offset0:16 offset1:20
	;; [unrolled: 1-line block ×6, first 2 shown]
	s_mov_b32 s10, s8
	s_mov_b32 s11, s8
	;; [unrolled: 1-line block ×6, first 2 shown]
	v_pk_mov_b32 v[2:3], s[8:9], s[8:9] op_sel:[0,1]
	v_pk_mov_b32 v[8:9], s[14:15], s[14:15] op_sel:[0,1]
	;; [unrolled: 1-line block ×6, first 2 shown]
	v_cmp_gt_u32_e32 vcc, s54, v45
	s_mov_b64 s[2:3], 0
	v_pk_mov_b32 v[38:39], 0, 0
	s_mov_b64 s[18:19], 0
	v_pk_mov_b32 v[14:15], v[6:7], v[6:7] op_sel:[0,1]
	v_pk_mov_b32 v[12:13], v[4:5], v[4:5] op_sel:[0,1]
	;; [unrolled: 1-line block ×6, first 2 shown]
	s_waitcnt lgkmcnt(0)
	s_barrier
	s_waitcnt lgkmcnt(0)
                                        ; implicit-def: $sgpr16_sgpr17
                                        ; implicit-def: $vgpr42
	s_and_saveexec_b64 s[4:5], vcc
	s_cbranch_execz .LBB102_75
; %bb.48:
	ds_read_b32 v2, v44
	v_mov_b32_e32 v4, s56
	v_cmp_eq_u32_e32 vcc, v34, v35
	v_or_b32_e32 v3, 1, v45
                                        ; implicit-def: $vgpr42
	s_waitcnt lgkmcnt(0)
	v_cndmask_b32_e32 v38, v4, v2, vcc
	v_cmp_ne_u32_e32 vcc, v34, v35
	v_cndmask_b32_e64 v39, 0, 1, vcc
	v_cmp_gt_u32_e32 vcc, s54, v3
	v_pk_mov_b32 v[2:3], s[8:9], s[8:9] op_sel:[0,1]
	v_pk_mov_b32 v[8:9], s[14:15], s[14:15] op_sel:[0,1]
	;; [unrolled: 1-line block ×12, first 2 shown]
                                        ; implicit-def: $sgpr8_sgpr9
	s_and_saveexec_b64 s[16:17], vcc
	s_cbranch_execz .LBB102_74
; %bb.49:
	ds_read2_b32 v[42:43], v44 offset0:1 offset1:2
	s_mov_b32 s8, 0
	v_mov_b32_e32 v3, s56
	v_cmp_eq_u32_e32 vcc, v35, v36
	s_mov_b32 s14, s8
	s_mov_b32 s15, s8
	v_add_u32_e32 v2, 2, v45
	s_waitcnt lgkmcnt(0)
	v_cndmask_b32_e32 v8, v3, v42, vcc
	v_cmp_ne_u32_e32 vcc, v35, v36
	s_mov_b32 s9, s8
	s_mov_b32 s10, s8
	;; [unrolled: 1-line block ×5, first 2 shown]
	v_pk_mov_b32 v[16:17], s[14:15], s[14:15] op_sel:[0,1]
	v_cndmask_b32_e64 v9, 0, 1, vcc
	v_cmp_gt_u32_e32 vcc, s54, v2
	v_mov_b32_e32 v2, 0
	v_pk_mov_b32 v[14:15], s[12:13], s[12:13] op_sel:[0,1]
	v_pk_mov_b32 v[12:13], s[10:11], s[10:11] op_sel:[0,1]
	;; [unrolled: 1-line block ×4, first 2 shown]
	v_mov_b32_e32 v3, v2
	v_mov_b32_e32 v4, v2
	;; [unrolled: 1-line block ×5, first 2 shown]
	s_mov_b64 s[20:21], 0
	v_pk_mov_b32 v[22:23], v[14:15], v[14:15] op_sel:[0,1]
	v_pk_mov_b32 v[20:21], v[12:13], v[12:13] op_sel:[0,1]
	;; [unrolled: 1-line block ×3, first 2 shown]
                                        ; implicit-def: $sgpr24_sgpr25
                                        ; implicit-def: $vgpr42
	s_and_saveexec_b64 s[18:19], vcc
	s_cbranch_execz .LBB102_73
; %bb.50:
	v_mov_b32_e32 v4, s56
	v_cmp_eq_u32_e32 vcc, v36, v37
	v_pk_mov_b32 v[16:17], s[14:15], s[14:15] op_sel:[0,1]
	v_add_u32_e32 v3, 3, v45
	v_cndmask_b32_e32 v6, v4, v43, vcc
	v_cmp_ne_u32_e32 vcc, v36, v37
	v_pk_mov_b32 v[14:15], s[12:13], s[12:13] op_sel:[0,1]
	v_pk_mov_b32 v[12:13], s[10:11], s[10:11] op_sel:[0,1]
	;; [unrolled: 1-line block ×4, first 2 shown]
	v_cndmask_b32_e64 v7, 0, 1, vcc
	v_cmp_gt_u32_e32 vcc, s54, v3
	v_mov_b32_e32 v3, v2
	v_mov_b32_e32 v4, v2
	;; [unrolled: 1-line block ×3, first 2 shown]
	s_mov_b64 s[22:23], 0
	v_pk_mov_b32 v[22:23], v[14:15], v[14:15] op_sel:[0,1]
	v_pk_mov_b32 v[20:21], v[12:13], v[12:13] op_sel:[0,1]
	;; [unrolled: 1-line block ×3, first 2 shown]
                                        ; implicit-def: $sgpr8_sgpr9
                                        ; implicit-def: $vgpr42
	s_and_saveexec_b64 s[20:21], vcc
	s_cbranch_execz .LBB102_72
; %bb.51:
	ds_read2_b32 v[34:35], v44 offset0:3 offset1:4
	s_mov_b32 s8, 0
	s_mov_b32 s14, s8
	;; [unrolled: 1-line block ×3, first 2 shown]
	v_mov_b32_e32 v3, s56
	v_cmp_eq_u32_e32 vcc, v37, v30
	s_mov_b32 s9, s8
	s_mov_b32 s10, s8
	s_mov_b32 s11, s8
	s_mov_b32 s12, s8
	s_mov_b32 s13, s8
	v_pk_mov_b32 v[16:17], s[14:15], s[14:15] op_sel:[0,1]
	v_add_u32_e32 v2, 4, v45
	s_waitcnt lgkmcnt(0)
	v_cndmask_b32_e32 v4, v3, v34, vcc
	v_cmp_ne_u32_e32 vcc, v37, v30
	v_pk_mov_b32 v[14:15], s[12:13], s[12:13] op_sel:[0,1]
	v_pk_mov_b32 v[12:13], s[10:11], s[10:11] op_sel:[0,1]
	;; [unrolled: 1-line block ×4, first 2 shown]
	v_cndmask_b32_e64 v5, 0, 1, vcc
	v_cmp_gt_u32_e32 vcc, s54, v2
	v_mov_b32_e32 v2, s8
	v_mov_b32_e32 v3, s8
	s_mov_b64 s[24:25], 0
	v_pk_mov_b32 v[22:23], v[14:15], v[14:15] op_sel:[0,1]
	v_pk_mov_b32 v[20:21], v[12:13], v[12:13] op_sel:[0,1]
	;; [unrolled: 1-line block ×3, first 2 shown]
                                        ; implicit-def: $sgpr26_sgpr27
                                        ; implicit-def: $vgpr42
	s_and_saveexec_b64 s[22:23], vcc
	s_cbranch_execz .LBB102_71
; %bb.52:
	v_mov_b32_e32 v2, s56
	v_cmp_eq_u32_e32 vcc, v30, v31
	v_add_u32_e32 v10, 5, v45
	v_cndmask_b32_e32 v2, v2, v35, vcc
	v_cmp_ne_u32_e32 vcc, v30, v31
	v_cndmask_b32_e64 v3, 0, 1, vcc
	v_cmp_gt_u32_e32 vcc, s54, v10
	v_pk_mov_b32 v[16:17], s[14:15], s[14:15] op_sel:[0,1]
	v_pk_mov_b32 v[14:15], s[12:13], s[12:13] op_sel:[0,1]
	v_pk_mov_b32 v[12:13], s[10:11], s[10:11] op_sel:[0,1]
	v_pk_mov_b32 v[10:11], s[8:9], s[8:9] op_sel:[0,1]
	v_pk_mov_b32 v[24:25], v[16:17], v[16:17] op_sel:[0,1]
	s_mov_b64 s[28:29], 0
	v_pk_mov_b32 v[22:23], v[14:15], v[14:15] op_sel:[0,1]
	v_pk_mov_b32 v[20:21], v[12:13], v[12:13] op_sel:[0,1]
	;; [unrolled: 1-line block ×3, first 2 shown]
                                        ; implicit-def: $sgpr8_sgpr9
                                        ; implicit-def: $vgpr42
	s_and_saveexec_b64 s[24:25], vcc
	s_cbranch_execz .LBB102_70
; %bb.53:
	ds_read2_b32 v[34:35], v44 offset0:5 offset1:6
	v_mov_b32_e32 v11, s56
	v_cmp_eq_u32_e32 vcc, v31, v32
	s_mov_b32 s8, 0
	v_add_u32_e32 v10, 6, v45
	s_waitcnt lgkmcnt(0)
	v_cndmask_b32_e32 v16, v11, v34, vcc
	v_cmp_ne_u32_e32 vcc, v31, v32
	s_mov_b32 s14, s8
	s_mov_b32 s15, s8
	v_cndmask_b32_e64 v17, 0, 1, vcc
	v_cmp_gt_u32_e32 vcc, s54, v10
	v_mov_b32_e32 v10, 0
	s_mov_b32 s9, s8
	s_mov_b32 s10, s8
	;; [unrolled: 1-line block ×5, first 2 shown]
	v_pk_mov_b32 v[24:25], s[14:15], s[14:15] op_sel:[0,1]
	v_mov_b32_e32 v11, v10
	v_mov_b32_e32 v12, v10
	;; [unrolled: 1-line block ×5, first 2 shown]
	v_pk_mov_b32 v[22:23], s[12:13], s[12:13] op_sel:[0,1]
	v_pk_mov_b32 v[20:21], s[10:11], s[10:11] op_sel:[0,1]
	;; [unrolled: 1-line block ×3, first 2 shown]
                                        ; implicit-def: $sgpr40_sgpr41
                                        ; implicit-def: $vgpr42
	s_and_saveexec_b64 s[26:27], vcc
	s_cbranch_execz .LBB102_69
; %bb.54:
	v_mov_b32_e32 v12, s56
	v_cmp_eq_u32_e32 vcc, v32, v33
	v_add_u32_e32 v11, 7, v45
	v_cndmask_b32_e32 v14, v12, v35, vcc
	v_cmp_ne_u32_e32 vcc, v32, v33
	v_pk_mov_b32 v[24:25], s[14:15], s[14:15] op_sel:[0,1]
	v_cndmask_b32_e64 v15, 0, 1, vcc
	v_cmp_gt_u32_e32 vcc, s54, v11
	v_mov_b32_e32 v11, v10
	v_mov_b32_e32 v12, v10
	;; [unrolled: 1-line block ×3, first 2 shown]
	s_mov_b64 s[30:31], 0
	v_pk_mov_b32 v[22:23], s[12:13], s[12:13] op_sel:[0,1]
	v_pk_mov_b32 v[20:21], s[10:11], s[10:11] op_sel:[0,1]
	;; [unrolled: 1-line block ×3, first 2 shown]
                                        ; implicit-def: $sgpr8_sgpr9
                                        ; implicit-def: $vgpr42
	s_and_saveexec_b64 s[28:29], vcc
	s_cbranch_execz .LBB102_68
; %bb.55:
	ds_read2_b32 v[30:31], v44 offset0:7 offset1:8
	s_mov_b32 s8, 0
	v_mov_b32_e32 v11, s56
	v_cmp_eq_u32_e32 vcc, v33, v26
	s_mov_b32 s14, s8
	s_mov_b32 s15, s8
	v_add_u32_e32 v10, 8, v45
	s_waitcnt lgkmcnt(0)
	v_cndmask_b32_e32 v12, v11, v30, vcc
	v_cmp_ne_u32_e32 vcc, v33, v26
	s_mov_b32 s9, s8
	s_mov_b32 s10, s8
	;; [unrolled: 1-line block ×5, first 2 shown]
	v_pk_mov_b32 v[24:25], s[14:15], s[14:15] op_sel:[0,1]
	v_cndmask_b32_e64 v13, 0, 1, vcc
	v_cmp_gt_u32_e32 vcc, s54, v10
	v_mov_b32_e32 v10, s8
	v_mov_b32_e32 v11, s8
	s_mov_b64 s[40:41], 0
	v_pk_mov_b32 v[22:23], s[12:13], s[12:13] op_sel:[0,1]
	v_pk_mov_b32 v[20:21], s[10:11], s[10:11] op_sel:[0,1]
	;; [unrolled: 1-line block ×3, first 2 shown]
                                        ; implicit-def: $sgpr48_sgpr49
                                        ; implicit-def: $vgpr42
	s_and_saveexec_b64 s[30:31], vcc
	s_cbranch_execz .LBB102_67
; %bb.56:
	v_mov_b32_e32 v10, s56
	v_cmp_eq_u32_e32 vcc, v26, v27
	v_add_u32_e32 v18, 9, v45
	v_cndmask_b32_e32 v10, v10, v31, vcc
	v_cmp_ne_u32_e32 vcc, v26, v27
	v_cndmask_b32_e64 v11, 0, 1, vcc
	v_cmp_gt_u32_e32 vcc, s54, v18
	v_pk_mov_b32 v[24:25], s[14:15], s[14:15] op_sel:[0,1]
	v_pk_mov_b32 v[22:23], s[12:13], s[12:13] op_sel:[0,1]
	v_pk_mov_b32 v[20:21], s[10:11], s[10:11] op_sel:[0,1]
	v_pk_mov_b32 v[18:19], s[8:9], s[8:9] op_sel:[0,1]
                                        ; implicit-def: $sgpr10_sgpr11
                                        ; implicit-def: $vgpr42
	s_and_saveexec_b64 s[8:9], vcc
	s_cbranch_execz .LBB102_66
; %bb.57:
	ds_read2_b32 v[30:31], v44 offset0:9 offset1:10
	v_mov_b32_e32 v18, s56
	v_cmp_eq_u32_e32 vcc, v27, v28
	v_add_u32_e32 v20, 10, v45
	v_mov_b32_e32 v22, 0
	s_waitcnt lgkmcnt(0)
	v_cndmask_b32_e32 v18, v18, v30, vcc
	v_cmp_ne_u32_e32 vcc, v27, v28
	v_cndmask_b32_e64 v19, 0, 1, vcc
	v_cmp_gt_u32_e32 vcc, s54, v20
	v_mov_b32_e32 v20, v22
	v_mov_b32_e32 v21, v22
	;; [unrolled: 1-line block ×5, first 2 shown]
	s_mov_b64 s[12:13], 0
                                        ; implicit-def: $sgpr40_sgpr41
                                        ; implicit-def: $vgpr42
	s_and_saveexec_b64 s[10:11], vcc
	s_cbranch_execz .LBB102_65
; %bb.58:
	v_mov_b32_e32 v20, s56
	v_cmp_eq_u32_e32 vcc, v28, v29
	v_add_u32_e32 v23, 11, v45
	v_cndmask_b32_e32 v20, v20, v31, vcc
	v_cmp_ne_u32_e32 vcc, v28, v29
	v_cndmask_b32_e64 v21, 0, 1, vcc
	v_cmp_gt_u32_e32 vcc, s54, v23
	s_mov_b32 s40, 0
	v_mov_b32_e32 v23, v22
	v_mov_b32_e32 v24, v22
	v_mov_b32_e32 v25, v22
	s_mov_b64 s[14:15], 0
                                        ; implicit-def: $sgpr48_sgpr49
                                        ; implicit-def: $vgpr42
	s_and_saveexec_b64 s[12:13], vcc
	s_cbranch_execz .LBB102_64
; %bb.59:
	ds_read2_b32 v[26:27], v44 offset0:11 offset1:12
	v_mov_b32_e32 v22, s56
	v_cmp_eq_u32_e32 vcc, v29, v40
	v_add_u32_e32 v24, 12, v45
	v_mov_b32_e32 v25, s40
	s_waitcnt lgkmcnt(0)
	v_cndmask_b32_e32 v22, v22, v26, vcc
	v_cmp_ne_u32_e32 vcc, v29, v40
	v_cndmask_b32_e64 v23, 0, 1, vcc
	v_cmp_gt_u32_e32 vcc, s54, v24
	v_mov_b32_e32 v24, s40
	s_mov_b64 s[40:41], 0
                                        ; implicit-def: $sgpr48_sgpr49
                                        ; implicit-def: $vgpr42
	s_and_saveexec_b64 s[14:15], vcc
	s_cbranch_execz .LBB102_63
; %bb.60:
	v_mov_b32_e32 v24, s56
	v_cmp_eq_u32_e32 vcc, v40, v41
	v_add_u32_e32 v26, 13, v45
	v_cndmask_b32_e32 v24, v24, v27, vcc
	v_cmp_ne_u32_e32 vcc, v40, v41
	v_cndmask_b32_e64 v25, 0, 1, vcc
	v_cmp_gt_u32_e32 vcc, s54, v26
                                        ; implicit-def: $sgpr48_sgpr49
                                        ; implicit-def: $vgpr42
	s_and_saveexec_b64 s[54:55], vcc
	s_xor_b64 s[54:55], exec, s[54:55]
	s_cbranch_execz .LBB102_62
; %bb.61:
	ds_read_b32 v26, v44 offset:52
	v_mov_b32_e32 v27, s56
	v_cmp_ne_u32_e32 vcc, v41, v1
	s_mov_b64 s[40:41], exec
	s_and_b64 s[48:49], vcc, exec
	s_waitcnt lgkmcnt(0)
	v_cndmask_b32_e32 v42, v26, v27, vcc
.LBB102_62:
	s_or_b64 exec, exec, s[54:55]
	s_and_b64 s[48:49], s[48:49], exec
	s_and_b64 s[40:41], s[40:41], exec
.LBB102_63:
	s_or_b64 exec, exec, s[14:15]
	s_and_b64 s[48:49], s[48:49], exec
	s_and_b64 s[14:15], s[40:41], exec
.LBB102_64:
	s_or_b64 exec, exec, s[12:13]
	s_and_b64 s[40:41], s[48:49], exec
	s_and_b64 s[12:13], s[14:15], exec
.LBB102_65:
	s_or_b64 exec, exec, s[10:11]
	s_and_b64 s[10:11], s[40:41], exec
	s_and_b64 s[40:41], s[12:13], exec
.LBB102_66:
	s_or_b64 exec, exec, s[8:9]
	s_and_b64 s[48:49], s[10:11], exec
	s_and_b64 s[40:41], s[40:41], exec
.LBB102_67:
	s_or_b64 exec, exec, s[30:31]
	s_and_b64 s[8:9], s[48:49], exec
	s_and_b64 s[30:31], s[40:41], exec
.LBB102_68:
	s_or_b64 exec, exec, s[28:29]
	s_and_b64 s[40:41], s[8:9], exec
	s_and_b64 s[28:29], s[30:31], exec
.LBB102_69:
	s_or_b64 exec, exec, s[26:27]
	s_and_b64 s[8:9], s[40:41], exec
	s_and_b64 s[28:29], s[28:29], exec
.LBB102_70:
	s_or_b64 exec, exec, s[24:25]
	s_and_b64 s[26:27], s[8:9], exec
	s_and_b64 s[24:25], s[28:29], exec
.LBB102_71:
	s_or_b64 exec, exec, s[22:23]
	s_and_b64 s[8:9], s[26:27], exec
	s_and_b64 s[22:23], s[24:25], exec
.LBB102_72:
	s_or_b64 exec, exec, s[20:21]
	s_and_b64 s[24:25], s[8:9], exec
	s_and_b64 s[20:21], s[22:23], exec
.LBB102_73:
	s_or_b64 exec, exec, s[18:19]
	s_and_b64 s[8:9], s[24:25], exec
	s_and_b64 s[18:19], s[20:21], exec
.LBB102_74:
	s_or_b64 exec, exec, s[16:17]
	s_and_b64 s[16:17], s[8:9], exec
	s_and_b64 s[18:19], s[18:19], exec
.LBB102_75:
	s_or_b64 exec, exec, s[4:5]
	s_and_b64 vcc, exec, s[2:3]
	v_lshlrev_b32_e32 v50, 2, v0
	s_cbranch_vccnz .LBB102_77
	s_branch .LBB102_82
.LBB102_76:
	s_mov_b64 s[18:19], 0
                                        ; implicit-def: $sgpr16_sgpr17
                                        ; implicit-def: $vgpr2_vgpr3_vgpr4_vgpr5_vgpr6_vgpr7_vgpr8_vgpr9
                                        ; implicit-def: $vgpr10_vgpr11_vgpr12_vgpr13_vgpr14_vgpr15_vgpr16_vgpr17
                                        ; implicit-def: $vgpr18_vgpr19_vgpr20_vgpr21_vgpr22_vgpr23_vgpr24_vgpr25
                                        ; implicit-def: $vgpr42
                                        ; implicit-def: $vgpr38_vgpr39
	s_and_b64 vcc, exec, s[2:3]
	v_lshlrev_b32_e32 v50, 2, v0
	s_cbranch_vccz .LBB102_82
.LBB102_77:
	v_mov_b32_e32 v1, s39
	v_add_co_u32_e32 v2, vcc, s38, v50
	v_addc_co_u32_e32 v3, vcc, 0, v1, vcc
	v_add_co_u32_e32 v4, vcc, 0x1000, v2
	v_addc_co_u32_e32 v5, vcc, 0, v3, vcc
	flat_load_dword v1, v[2:3]
	flat_load_dword v6, v[2:3] offset:1024
	flat_load_dword v7, v[2:3] offset:2048
	;; [unrolled: 1-line block ×3, first 2 shown]
	flat_load_dword v9, v[4:5]
	flat_load_dword v10, v[4:5] offset:1024
	flat_load_dword v11, v[4:5] offset:2048
	;; [unrolled: 1-line block ×3, first 2 shown]
	v_add_co_u32_e32 v4, vcc, 0x2000, v2
	v_addc_co_u32_e32 v5, vcc, 0, v3, vcc
	v_add_co_u32_e32 v2, vcc, 0x3000, v2
	v_addc_co_u32_e32 v3, vcc, 0, v3, vcc
	flat_load_dword v13, v[4:5]
	flat_load_dword v14, v[4:5] offset:1024
	flat_load_dword v15, v[4:5] offset:2048
	;; [unrolled: 1-line block ×3, first 2 shown]
	flat_load_dword v17, v[2:3]
	flat_load_dword v18, v[2:3] offset:1024
	v_mov_b32_e32 v2, s38
	v_mov_b32_e32 v3, s39
	v_add_co_u32_e32 v2, vcc, 0x3000, v2
	v_addc_co_u32_e32 v3, vcc, 0, v3, vcc
	s_movk_i32 s4, 0xffcc
	s_movk_i32 s9, 0x1000
	s_mov_b32 s2, 0
	s_movk_i32 s8, 0x2000
	s_movk_i32 s3, 0x3000
	s_waitcnt vmcnt(0) lgkmcnt(0)
	ds_write2st64_b32 v50, v1, v6 offset1:4
	ds_write2st64_b32 v50, v7, v8 offset0:8 offset1:12
	ds_write2st64_b32 v50, v9, v10 offset0:16 offset1:20
	;; [unrolled: 1-line block ×6, first 2 shown]
	s_waitcnt lgkmcnt(0)
	s_barrier
	flat_load_dword v1, v[2:3] offset:2048
	v_mad_u32_u24 v6, v0, 52, v50
	v_mad_i32_i24 v2, v0, s4, v6
	s_movk_i32 s4, 0xff
	v_cmp_ne_u32_e32 vcc, s4, v0
	ds_read2_b32 v[26:27], v6 offset1:13
	ds_read2_b32 v[18:19], v6 offset0:7 offset1:8
	ds_read2_b32 v[20:21], v6 offset0:5 offset1:6
	;; [unrolled: 1-line block ×6, first 2 shown]
	s_waitcnt lgkmcnt(0)
	ds_write_b32 v2, v26 offset:15360
	s_waitcnt lgkmcnt(0)
	s_barrier
	s_and_saveexec_b64 s[4:5], vcc
	s_cbranch_execz .LBB102_79
; %bb.78:
	s_waitcnt vmcnt(0)
	ds_read_b32 v1, v50 offset:15364
.LBB102_79:
	s_or_b64 exec, exec, s[4:5]
	v_mov_b32_e32 v3, s47
	v_add_co_u32_e32 v2, vcc, s7, v50
	v_addc_co_u32_e32 v3, vcc, 0, v3, vcc
	v_add_co_u32_e32 v4, vcc, s9, v2
	v_addc_co_u32_e32 v5, vcc, 0, v3, vcc
	s_waitcnt lgkmcnt(0)
	s_barrier
	flat_load_dword v7, v[2:3]
	flat_load_dword v8, v[2:3] offset:1024
	flat_load_dword v9, v[2:3] offset:2048
	;; [unrolled: 1-line block ×3, first 2 shown]
	flat_load_dword v15, v[4:5]
	flat_load_dword v16, v[4:5] offset:1024
	flat_load_dword v17, v[4:5] offset:2048
	;; [unrolled: 1-line block ×3, first 2 shown]
	v_add_co_u32_e32 v4, vcc, s8, v2
	v_addc_co_u32_e32 v5, vcc, 0, v3, vcc
	v_add_co_u32_e32 v2, vcc, s3, v2
	v_addc_co_u32_e32 v3, vcc, 0, v3, vcc
	flat_load_dword v23, v[4:5]
	flat_load_dword v24, v[4:5] offset:1024
	flat_load_dword v25, v[4:5] offset:2048
	;; [unrolled: 1-line block ×3, first 2 shown]
	flat_load_dword v33, v[2:3]
	flat_load_dword v34, v[2:3] offset:1024
	s_mov_b32 s3, 1
	v_cmp_eq_u32_e32 vcc, v26, v12
	v_pk_mov_b32 v[38:39], s[2:3], s[2:3] op_sel:[0,1]
	s_waitcnt vmcnt(0) lgkmcnt(0)
	ds_write2st64_b32 v50, v7, v8 offset1:4
	ds_write2st64_b32 v50, v9, v14 offset0:8 offset1:12
	ds_write2st64_b32 v50, v15, v16 offset0:16 offset1:20
	;; [unrolled: 1-line block ×6, first 2 shown]
	s_waitcnt lgkmcnt(0)
	s_barrier
	ds_read2_b32 v[24:25], v6 offset0:7 offset1:8
	ds_read2_b32 v[14:15], v6 offset0:5 offset1:6
	;; [unrolled: 1-line block ×4, first 2 shown]
	ds_read_b32 v34, v6 offset:52
	ds_read2_b32 v[22:23], v6 offset0:11 offset1:12
	ds_read2_b32 v[32:33], v6 offset0:9 offset1:10
	v_mov_b32_e32 v7, s56
	s_and_saveexec_b64 s[2:3], vcc
	s_cbranch_execz .LBB102_81
; %bb.80:
	ds_read_b32 v7, v6
	v_pk_mov_b32 v[38:39], 0, 0
.LBB102_81:
	s_or_b64 exec, exec, s[2:3]
	v_mov_b32_e32 v26, s56
	v_cmp_eq_u32_e32 vcc, v12, v13
	s_waitcnt lgkmcnt(3)
	v_cndmask_b32_e32 v8, v26, v4, vcc
	v_cmp_eq_u32_e32 vcc, v13, v10
	v_cndmask_b32_e32 v6, v26, v5, vcc
	v_cmp_eq_u32_e32 vcc, v10, v11
	v_cndmask_b32_e32 v4, v26, v2, vcc
	v_cmp_eq_u32_e32 vcc, v11, v20
	v_cndmask_b32_e32 v2, v26, v3, vcc
	v_cmp_ne_u32_e32 vcc, v12, v13
	v_cndmask_b32_e64 v9, 0, 1, vcc
	v_cmp_ne_u32_e32 vcc, v13, v10
	s_waitcnt lgkmcnt(0)
	v_or_b32_e32 v38, v38, v7
	v_cndmask_b32_e64 v7, 0, 1, vcc
	v_cmp_ne_u32_e32 vcc, v10, v11
	v_cndmask_b32_e64 v5, 0, 1, vcc
	v_cmp_ne_u32_e32 vcc, v11, v20
	v_cndmask_b32_e64 v3, 0, 1, vcc
	v_cmp_eq_u32_e32 vcc, v20, v21
	v_cndmask_b32_e32 v16, v26, v14, vcc
	v_cmp_eq_u32_e32 vcc, v21, v18
	v_cndmask_b32_e32 v14, v26, v15, vcc
	;; [unrolled: 2-line block ×4, first 2 shown]
	v_cmp_ne_u32_e32 vcc, v20, v21
	v_cndmask_b32_e64 v17, 0, 1, vcc
	v_cmp_ne_u32_e32 vcc, v21, v18
	v_cndmask_b32_e64 v15, 0, 1, vcc
	v_cmp_ne_u32_e32 vcc, v18, v19
	v_cndmask_b32_e64 v13, 0, 1, vcc
	v_cmp_ne_u32_e32 vcc, v19, v28
	v_cndmask_b32_e64 v11, 0, 1, vcc
	v_cmp_eq_u32_e32 vcc, v31, v27
	v_cndmask_b32_e32 v24, v26, v23, vcc
	v_cmp_eq_u32_e32 vcc, v30, v31
	v_cndmask_b32_e32 v22, v26, v22, vcc
	v_cmp_eq_u32_e32 vcc, v29, v30
	v_cndmask_b32_e32 v20, v26, v33, vcc
	v_cmp_eq_u32_e32 vcc, v28, v29
	v_cndmask_b32_e32 v18, v26, v32, vcc
	v_cmp_ne_u32_e32 vcc, v31, v27
	v_cndmask_b32_e64 v25, 0, 1, vcc
	v_cmp_ne_u32_e32 vcc, v30, v31
	v_cndmask_b32_e64 v23, 0, 1, vcc
	;; [unrolled: 2-line block ×3, first 2 shown]
	v_cmp_ne_u32_e32 vcc, v28, v29
	v_cmp_ne_u32_e64 s[16:17], v27, v1
	v_cndmask_b32_e64 v19, 0, 1, vcc
	v_cndmask_b32_e64 v42, v34, v26, s[16:17]
	s_mov_b64 s[18:19], -1
                                        ; implicit-def: $sgpr2_sgpr3
.LBB102_82:
	v_pk_mov_b32 v[40:41], s[2:3], s[2:3] op_sel:[0,1]
	s_and_saveexec_b64 s[2:3], s[18:19]
; %bb.83:
	v_cndmask_b32_e64 v43, 0, 1, s[16:17]
	v_pk_mov_b32 v[40:41], v[42:43], v[42:43] op_sel:[0,1]
; %bb.84:
	s_or_b64 exec, exec, s[2:3]
	s_mov_b32 s26, 0
	s_cmp_lg_u32 s6, 0
	v_mbcnt_lo_u32_b32 v52, -1, 0
	v_lshrrev_b32_e32 v1, 6, v0
	v_or_b32_e32 v51, 63, v0
	s_barrier
	s_cbranch_scc0 .LBB102_129
; %bb.85:
	s_mov_b32 s27, 1
	v_cmp_gt_u64_e64 s[2:3], s[26:27], v[8:9]
	v_cndmask_b32_e64 v27, 0, v38, s[2:3]
	v_add_u32_e32 v27, v27, v8
	v_cmp_gt_u64_e64 s[4:5], s[26:27], v[6:7]
	v_cndmask_b32_e64 v27, 0, v27, s[4:5]
	v_add_u32_e32 v27, v27, v6
	;; [unrolled: 3-line block ×12, first 2 shown]
	v_cmp_gt_u64_e32 vcc, s[26:27], v[40:41]
	v_cndmask_b32_e32 v27, 0, v27, vcc
	v_add_u32_e32 v28, v27, v40
	v_or3_b32 v27, v41, v25, v23
	v_or3_b32 v27, v27, v21, v19
	;; [unrolled: 1-line block ×6, first 2 shown]
	v_mov_b32_e32 v26, 0
	v_and_b32_e32 v27, 1, v27
	v_cmp_eq_u64_e32 vcc, 0, v[26:27]
	v_cndmask_b32_e32 v27, 1, v39, vcc
	v_and_b32_e32 v29, 0xff, v27
	v_mov_b32_dpp v31, v28 row_shr:1 row_mask:0xf bank_mask:0xf
	v_cmp_eq_u16_e32 vcc, 0, v29
	v_mov_b32_dpp v32, v29 row_shr:1 row_mask:0xf bank_mask:0xf
	v_and_b32_e32 v33, 1, v27
	v_mbcnt_hi_u32_b32 v46, -1, v52
	v_cndmask_b32_e32 v31, 0, v31, vcc
	v_and_b32_e32 v32, 1, v32
	v_cmp_eq_u32_e32 vcc, 1, v33
	v_and_b32_e32 v30, 15, v46
	v_cndmask_b32_e64 v32, v32, 1, vcc
	v_and_b32_e32 v33, 0xffff, v32
	v_cmp_eq_u32_e32 vcc, 0, v30
	v_cndmask_b32_e32 v27, v32, v27, vcc
	v_cndmask_b32_e32 v29, v33, v29, vcc
	v_and_b32_e32 v33, 1, v27
	v_cndmask_b32_e64 v31, v31, 0, vcc
	v_mov_b32_dpp v32, v29 row_shr:2 row_mask:0xf bank_mask:0xf
	v_and_b32_e32 v32, 1, v32
	v_cmp_eq_u32_e32 vcc, 1, v33
	v_cndmask_b32_e64 v32, v32, 1, vcc
	v_and_b32_e32 v33, 0xffff, v32
	v_cmp_lt_u32_e32 vcc, 1, v30
	v_add_u32_e32 v28, v31, v28
	v_cmp_eq_u16_sdwa s[26:27], v27, v26 src0_sel:BYTE_0 src1_sel:DWORD
	v_cndmask_b32_e32 v27, v27, v32, vcc
	v_cndmask_b32_e32 v29, v29, v33, vcc
	v_mov_b32_dpp v31, v28 row_shr:2 row_mask:0xf bank_mask:0xf
	s_and_b64 vcc, vcc, s[26:27]
	v_mov_b32_dpp v32, v29 row_shr:4 row_mask:0xf bank_mask:0xf
	v_and_b32_e32 v33, 1, v27
	v_cndmask_b32_e32 v31, 0, v31, vcc
	v_and_b32_e32 v32, 1, v32
	v_cmp_eq_u32_e32 vcc, 1, v33
	v_cndmask_b32_e64 v32, v32, 1, vcc
	v_and_b32_e32 v33, 0xffff, v32
	v_cmp_lt_u32_e32 vcc, 3, v30
	v_add_u32_e32 v28, v31, v28
	v_cmp_eq_u16_sdwa s[26:27], v27, v26 src0_sel:BYTE_0 src1_sel:DWORD
	v_cndmask_b32_e32 v27, v27, v32, vcc
	v_cndmask_b32_e32 v29, v29, v33, vcc
	v_mov_b32_dpp v31, v28 row_shr:4 row_mask:0xf bank_mask:0xf
	s_and_b64 vcc, vcc, s[26:27]
	v_mov_b32_dpp v32, v29 row_shr:8 row_mask:0xf bank_mask:0xf
	v_and_b32_e32 v33, 1, v27
	v_cndmask_b32_e32 v31, 0, v31, vcc
	v_and_b32_e32 v32, 1, v32
	v_cmp_eq_u32_e32 vcc, 1, v33
	v_cndmask_b32_e64 v32, v32, 1, vcc
	v_add_u32_e32 v28, v31, v28
	v_cmp_eq_u16_sdwa s[26:27], v27, v26 src0_sel:BYTE_0 src1_sel:DWORD
	v_and_b32_e32 v33, 0xffff, v32
	v_cmp_lt_u32_e32 vcc, 7, v30
	v_mov_b32_dpp v31, v28 row_shr:8 row_mask:0xf bank_mask:0xf
	v_cndmask_b32_e32 v27, v27, v32, vcc
	v_cndmask_b32_e32 v29, v29, v33, vcc
	s_and_b64 vcc, vcc, s[26:27]
	v_cndmask_b32_e32 v30, 0, v31, vcc
	v_add_u32_e32 v28, v30, v28
	v_mov_b32_dpp v31, v29 row_bcast:15 row_mask:0xf bank_mask:0xf
	v_cmp_eq_u16_sdwa vcc, v27, v26 src0_sel:BYTE_0 src1_sel:DWORD
	v_mov_b32_dpp v30, v28 row_bcast:15 row_mask:0xf bank_mask:0xf
	v_and_b32_e32 v34, 1, v27
	v_cndmask_b32_e32 v30, 0, v30, vcc
	v_and_b32_e32 v31, 1, v31
	v_cmp_eq_u32_e32 vcc, 1, v34
	v_and_b32_e32 v33, 16, v46
	v_cndmask_b32_e64 v31, v31, 1, vcc
	v_and_b32_e32 v34, 0xffff, v31
	v_cmp_eq_u32_e32 vcc, 0, v33
	v_cndmask_b32_e32 v27, v31, v27, vcc
	v_cndmask_b32_e32 v29, v34, v29, vcc
	v_bfe_i32 v32, v46, 4, 1
	v_cmp_eq_u16_sdwa s[26:27], v27, v26 src0_sel:BYTE_0 src1_sel:DWORD
	v_mov_b32_dpp v29, v29 row_bcast:31 row_mask:0xf bank_mask:0xf
	v_and_b32_e32 v26, 1, v27
	v_and_b32_e32 v30, v32, v30
	;; [unrolled: 1-line block ×3, first 2 shown]
	v_cmp_eq_u32_e32 vcc, 1, v26
	v_add_u32_e32 v28, v30, v28
	v_cndmask_b32_e64 v26, v29, 1, vcc
	v_cmp_lt_u32_e32 vcc, 31, v46
	v_mov_b32_dpp v30, v28 row_bcast:31 row_mask:0xf bank_mask:0xf
	v_cndmask_b32_e32 v29, v27, v26, vcc
	s_and_b64 vcc, vcc, s[26:27]
	v_cndmask_b32_e32 v26, 0, v30, vcc
	v_add_u32_e32 v28, v26, v28
	v_cmp_eq_u32_e32 vcc, v51, v0
	s_and_saveexec_b64 s[26:27], vcc
	s_cbranch_execz .LBB102_87
; %bb.86:
	v_lshlrev_b32_e32 v26, 3, v1
	ds_write_b32 v26, v28
	ds_write_b8 v26, v29 offset:4
.LBB102_87:
	s_or_b64 exec, exec, s[26:27]
	v_cmp_gt_u32_e32 vcc, 4, v0
	s_waitcnt lgkmcnt(0)
	s_barrier
	s_and_saveexec_b64 s[26:27], vcc
	s_cbranch_execz .LBB102_91
; %bb.88:
	v_lshlrev_b32_e32 v30, 3, v0
	ds_read_b64 v[26:27], v30
	v_and_b32_e32 v31, 3, v46
	v_cmp_ne_u32_e32 vcc, 0, v31
	s_waitcnt lgkmcnt(0)
	v_mov_b32_dpp v32, v26 row_shr:1 row_mask:0xf bank_mask:0xf
	v_mov_b32_dpp v34, v27 row_shr:1 row_mask:0xf bank_mask:0xf
	v_mov_b32_e32 v33, v27
	s_and_saveexec_b64 s[30:31], vcc
	s_cbranch_execz .LBB102_90
; %bb.89:
	v_and_b32_e32 v33, 1, v27
	v_and_b32_e32 v34, 1, v34
	v_cmp_eq_u32_e32 vcc, 1, v33
	v_mov_b32_e32 v33, 0
	v_cndmask_b32_e64 v34, v34, 1, vcc
	v_cmp_eq_u16_sdwa vcc, v27, v33 src0_sel:BYTE_0 src1_sel:DWORD
	v_cndmask_b32_e32 v32, 0, v32, vcc
	v_add_u32_e32 v26, v32, v26
	v_and_b32_e32 v32, 0xffff, v34
	s_movk_i32 s7, 0xff00
	v_and_or_b32 v33, v27, s7, v32
	v_mov_b32_e32 v27, v34
.LBB102_90:
	s_or_b64 exec, exec, s[30:31]
	v_mov_b32_dpp v33, v33 row_shr:2 row_mask:0xf bank_mask:0xf
	v_and_b32_e32 v34, 1, v27
	v_and_b32_e32 v33, 1, v33
	v_cmp_eq_u32_e32 vcc, 1, v34
	v_mov_b32_e32 v34, 0
	v_cndmask_b32_e64 v33, v33, 1, vcc
	v_cmp_eq_u16_sdwa s[30:31], v27, v34 src0_sel:BYTE_0 src1_sel:DWORD
	v_cmp_lt_u32_e32 vcc, 1, v31
	v_mov_b32_dpp v32, v26 row_shr:2 row_mask:0xf bank_mask:0xf
	v_cndmask_b32_e32 v27, v27, v33, vcc
	s_and_b64 vcc, vcc, s[30:31]
	v_cndmask_b32_e32 v31, 0, v32, vcc
	v_add_u32_e32 v26, v31, v26
	ds_write_b32 v30, v26
	ds_write_b8 v30, v27 offset:4
.LBB102_91:
	s_or_b64 exec, exec, s[26:27]
	v_cmp_gt_u32_e32 vcc, 64, v0
	v_cmp_lt_u32_e64 s[26:27], 63, v0
	v_mov_b32_e32 v42, 0
	v_mov_b32_e32 v43, 0
	s_waitcnt lgkmcnt(0)
	s_barrier
	s_and_saveexec_b64 s[30:31], s[26:27]
	s_cbranch_execz .LBB102_93
; %bb.92:
	v_lshl_add_u32 v26, v1, 3, -8
	ds_read_b32 v42, v26
	ds_read_u8 v43, v26 offset:4
	v_mov_b32_e32 v27, 0
	v_and_b32_e32 v30, 1, v29
	v_cmp_eq_u16_sdwa s[26:27], v29, v27 src0_sel:BYTE_0 src1_sel:DWORD
	s_waitcnt lgkmcnt(1)
	v_cndmask_b32_e64 v26, 0, v42, s[26:27]
	v_cmp_eq_u32_e64 s[26:27], 1, v30
	v_add_u32_e32 v28, v26, v28
	s_waitcnt lgkmcnt(0)
	v_cndmask_b32_e64 v29, v43, 1, s[26:27]
.LBB102_93:
	s_or_b64 exec, exec, s[30:31]
	v_and_b32_e32 v26, 0xff, v29
	v_add_u32_e32 v27, -1, v46
	v_and_b32_e32 v29, 64, v46
	v_cmp_lt_i32_e64 s[26:27], v27, v29
	v_cndmask_b32_e64 v27, v27, v46, s[26:27]
	v_lshlrev_b32_e32 v27, 2, v27
	ds_bpermute_b32 v44, v27, v28
	ds_bpermute_b32 v45, v27, v26
	v_cmp_eq_u32_e64 s[26:27], 0, v46
	s_and_saveexec_b64 s[38:39], vcc
	s_cbranch_execz .LBB102_116
; %bb.94:
	v_mov_b32_e32 v29, 0
	ds_read_b64 v[26:27], v29 offset:24
	s_waitcnt lgkmcnt(0)
	v_readfirstlane_b32 s7, v27
	s_and_saveexec_b64 s[30:31], s[26:27]
	s_cbranch_execz .LBB102_96
; %bb.95:
	s_add_i32 s40, s6, 64
	s_mov_b32 s41, 0
	s_lshl_b64 s[48:49], s[40:41], 4
	s_add_u32 s48, s44, s48
	s_addc_u32 s49, s45, s49
	s_and_b32 s55, s7, 0xff000000
	s_mov_b32 s54, s41
	s_and_b32 s59, s7, 0xff0000
	s_mov_b32 s58, s41
	s_or_b64 s[54:55], s[58:59], s[54:55]
	s_and_b32 s59, s7, 0xff00
	s_or_b64 s[54:55], s[54:55], s[58:59]
	s_and_b32 s59, s7, 0xff
	s_or_b64 s[40:41], s[54:55], s[58:59]
	v_mov_b32_e32 v27, s41
	v_mov_b32_e32 v28, 1
	v_pk_mov_b32 v[30:31], s[48:49], s[48:49] op_sel:[0,1]
	;;#ASMSTART
	global_store_dwordx4 v[30:31], v[26:29] off	
s_waitcnt vmcnt(0)
	;;#ASMEND
.LBB102_96:
	s_or_b64 exec, exec, s[30:31]
	v_xad_u32 v34, v46, -1, s6
	v_add_u32_e32 v28, 64, v34
	v_lshlrev_b64 v[30:31], 4, v[28:29]
	v_mov_b32_e32 v27, s45
	v_add_co_u32_e32 v36, vcc, s44, v30
	v_addc_co_u32_e32 v37, vcc, v27, v31, vcc
	;;#ASMSTART
	global_load_dwordx4 v[30:33], v[36:37] off glc	
s_waitcnt vmcnt(0)
	;;#ASMEND
	v_and_b32_e32 v27, 0xff0000, v30
	v_or_b32_sdwa v27, v30, v27 dst_sel:DWORD dst_unused:UNUSED_PAD src0_sel:WORD_0 src1_sel:DWORD
	v_and_b32_e32 v28, 0xff000000, v30
	v_and_b32_e32 v30, 0xff, v31
	v_or3_b32 v31, 0, 0, v30
	v_or3_b32 v30, v27, v28, 0
	v_cmp_eq_u16_sdwa s[40:41], v32, v29 src0_sel:BYTE_0 src1_sel:DWORD
	s_and_saveexec_b64 s[30:31], s[40:41]
	s_cbranch_execz .LBB102_102
; %bb.97:
	s_mov_b32 s47, 1
	s_mov_b64 s[40:41], 0
	v_mov_b32_e32 v27, 0
.LBB102_98:                             ; =>This Loop Header: Depth=1
                                        ;     Child Loop BB102_99 Depth 2
	s_max_u32 s48, s47, 1
.LBB102_99:                             ;   Parent Loop BB102_98 Depth=1
                                        ; =>  This Inner Loop Header: Depth=2
	s_add_i32 s48, s48, -1
	s_cmp_eq_u32 s48, 0
	s_sleep 1
	s_cbranch_scc0 .LBB102_99
; %bb.100:                              ;   in Loop: Header=BB102_98 Depth=1
	s_cmp_lt_u32 s47, 32
	s_cselect_b64 s[48:49], -1, 0
	s_cmp_lg_u64 s[48:49], 0
	s_addc_u32 s47, s47, 0
	;;#ASMSTART
	global_load_dwordx4 v[30:33], v[36:37] off glc	
s_waitcnt vmcnt(0)
	;;#ASMEND
	v_cmp_ne_u16_sdwa s[48:49], v32, v27 src0_sel:BYTE_0 src1_sel:DWORD
	s_or_b64 s[40:41], s[48:49], s[40:41]
	s_andn2_b64 exec, exec, s[40:41]
	s_cbranch_execnz .LBB102_98
; %bb.101:
	s_or_b64 exec, exec, s[40:41]
	v_and_b32_e32 v31, 0xff, v31
.LBB102_102:
	s_or_b64 exec, exec, s[30:31]
	v_mov_b32_e32 v27, 2
	v_cmp_eq_u16_sdwa s[30:31], v32, v27 src0_sel:BYTE_0 src1_sel:DWORD
	v_lshlrev_b64 v[28:29], v46, -1
	v_and_b32_e32 v33, s31, v29
	v_or_b32_e32 v33, 0x80000000, v33
	v_and_b32_e32 v35, s30, v28
	v_ffbl_b32_e32 v33, v33
	v_and_b32_e32 v47, 63, v46
	v_add_u32_e32 v33, 32, v33
	v_ffbl_b32_e32 v35, v35
	v_cmp_ne_u32_e32 vcc, 63, v47
	v_min_u32_e32 v33, v35, v33
	v_addc_co_u32_e32 v35, vcc, 0, v46, vcc
	v_lshlrev_b32_e32 v48, 2, v35
	ds_bpermute_b32 v35, v48, v31
	ds_bpermute_b32 v36, v48, v30
	s_mov_b32 s40, 0
	v_and_b32_e32 v37, 1, v31
	s_mov_b32 s41, 1
	s_waitcnt lgkmcnt(1)
	v_and_b32_e32 v35, 1, v35
	v_cmp_eq_u32_e32 vcc, 1, v37
	v_cndmask_b32_e64 v35, v35, 1, vcc
	v_cmp_gt_u64_e32 vcc, s[40:41], v[30:31]
	v_cmp_lt_u32_e64 s[30:31], v47, v33
	s_and_b64 vcc, s[30:31], vcc
	v_and_b32_e32 v37, 0xffff, v35
	v_cndmask_b32_e64 v54, v31, v35, s[30:31]
	s_waitcnt lgkmcnt(0)
	v_cndmask_b32_e32 v35, 0, v36, vcc
	v_cmp_gt_u32_e32 vcc, 62, v47
	v_cndmask_b32_e64 v36, 0, 1, vcc
	v_lshlrev_b32_e32 v36, 1, v36
	v_cndmask_b32_e64 v31, v31, v37, s[30:31]
	v_add_lshl_u32 v49, v36, v46, 2
	ds_bpermute_b32 v36, v49, v31
	v_add_u32_e32 v30, v35, v30
	ds_bpermute_b32 v37, v49, v30
	v_and_b32_e32 v35, 1, v54
	v_cmp_eq_u32_e32 vcc, 1, v35
	s_waitcnt lgkmcnt(1)
	v_and_b32_e32 v36, 1, v36
	v_mov_b32_e32 v35, 0
	v_add_u32_e32 v53, 2, v47
	v_cndmask_b32_e64 v36, v36, 1, vcc
	v_cmp_eq_u16_sdwa vcc, v54, v35 src0_sel:BYTE_0 src1_sel:DWORD
	v_and_b32_e32 v55, 0xffff, v36
	s_waitcnt lgkmcnt(0)
	v_cndmask_b32_e32 v37, 0, v37, vcc
	v_cmp_gt_u32_e32 vcc, v53, v33
	v_cndmask_b32_e32 v36, v36, v54, vcc
	v_cndmask_b32_e64 v37, v37, 0, vcc
	v_cndmask_b32_e32 v31, v55, v31, vcc
	v_cmp_gt_u32_e32 vcc, 60, v47
	v_cndmask_b32_e64 v54, 0, 1, vcc
	v_lshlrev_b32_e32 v54, 2, v54
	v_add_lshl_u32 v54, v54, v46, 2
	ds_bpermute_b32 v56, v54, v31
	v_add_u32_e32 v30, v37, v30
	ds_bpermute_b32 v37, v54, v30
	v_and_b32_e32 v57, 1, v36
	v_cmp_eq_u32_e32 vcc, 1, v57
	s_waitcnt lgkmcnt(1)
	v_and_b32_e32 v56, 1, v56
	v_add_u32_e32 v55, 4, v47
	v_cndmask_b32_e64 v56, v56, 1, vcc
	v_cmp_eq_u16_sdwa vcc, v36, v35 src0_sel:BYTE_0 src1_sel:DWORD
	v_and_b32_e32 v57, 0xffff, v56
	s_waitcnt lgkmcnt(0)
	v_cndmask_b32_e32 v37, 0, v37, vcc
	v_cmp_gt_u32_e32 vcc, v55, v33
	v_cndmask_b32_e32 v36, v56, v36, vcc
	v_cndmask_b32_e64 v37, v37, 0, vcc
	v_cndmask_b32_e32 v31, v57, v31, vcc
	v_cmp_gt_u32_e32 vcc, 56, v47
	v_cndmask_b32_e64 v56, 0, 1, vcc
	v_lshlrev_b32_e32 v56, 3, v56
	v_add_lshl_u32 v56, v56, v46, 2
	ds_bpermute_b32 v58, v56, v31
	v_add_u32_e32 v30, v37, v30
	ds_bpermute_b32 v37, v56, v30
	v_and_b32_e32 v59, 1, v36
	v_cmp_eq_u32_e32 vcc, 1, v59
	s_waitcnt lgkmcnt(1)
	v_and_b32_e32 v58, 1, v58
	;; [unrolled: 21-line block ×4, first 2 shown]
	v_add_u32_e32 v62, 32, v47
	v_cndmask_b32_e64 v31, v31, 1, vcc
	v_cmp_eq_u16_sdwa vcc, v36, v35 src0_sel:BYTE_0 src1_sel:DWORD
	s_waitcnt lgkmcnt(0)
	v_cndmask_b32_e32 v37, 0, v37, vcc
	v_cmp_gt_u32_e32 vcc, v62, v33
	v_cndmask_b32_e64 v33, v37, 0, vcc
	v_cndmask_b32_e32 v31, v31, v36, vcc
	v_add_u32_e32 v30, v33, v30
	s_branch .LBB102_104
.LBB102_103:                            ;   in Loop: Header=BB102_104 Depth=1
	s_or_b64 exec, exec, s[30:31]
	v_cmp_eq_u16_sdwa s[30:31], v32, v27 src0_sel:BYTE_0 src1_sel:DWORD
	v_and_b32_e32 v33, s31, v29
	ds_bpermute_b32 v37, v48, v31
	v_or_b32_e32 v33, 0x80000000, v33
	v_and_b32_e32 v36, s30, v28
	v_ffbl_b32_e32 v33, v33
	v_add_u32_e32 v33, 32, v33
	v_ffbl_b32_e32 v36, v36
	v_min_u32_e32 v33, v36, v33
	ds_bpermute_b32 v36, v48, v30
	v_and_b32_e32 v63, 1, v31
	s_waitcnt lgkmcnt(1)
	v_and_b32_e32 v37, 1, v37
	v_cmp_eq_u32_e32 vcc, 1, v63
	v_cndmask_b32_e64 v37, v37, 1, vcc
	v_cmp_gt_u64_e32 vcc, s[40:41], v[30:31]
	v_and_b32_e32 v63, 0xffff, v37
	v_cmp_lt_u32_e64 s[30:31], v47, v33
	v_cndmask_b32_e64 v37, v31, v37, s[30:31]
	v_cndmask_b32_e64 v31, v31, v63, s[30:31]
	s_and_b64 vcc, s[30:31], vcc
	ds_bpermute_b32 v63, v49, v31
	s_waitcnt lgkmcnt(1)
	v_cndmask_b32_e32 v36, 0, v36, vcc
	v_add_u32_e32 v30, v36, v30
	ds_bpermute_b32 v36, v49, v30
	v_and_b32_e32 v64, 1, v37
	s_waitcnt lgkmcnt(1)
	v_and_b32_e32 v63, 1, v63
	v_cmp_eq_u32_e32 vcc, 1, v64
	v_cndmask_b32_e64 v63, v63, 1, vcc
	v_cmp_eq_u16_sdwa vcc, v37, v35 src0_sel:BYTE_0 src1_sel:DWORD
	v_and_b32_e32 v64, 0xffff, v63
	s_waitcnt lgkmcnt(0)
	v_cndmask_b32_e32 v36, 0, v36, vcc
	v_cmp_gt_u32_e32 vcc, v53, v33
	v_cndmask_b32_e32 v31, v64, v31, vcc
	v_cndmask_b32_e32 v37, v63, v37, vcc
	ds_bpermute_b32 v63, v54, v31
	v_cndmask_b32_e64 v36, v36, 0, vcc
	v_add_u32_e32 v30, v36, v30
	ds_bpermute_b32 v36, v54, v30
	v_and_b32_e32 v64, 1, v37
	s_waitcnt lgkmcnt(1)
	v_and_b32_e32 v63, 1, v63
	v_cmp_eq_u32_e32 vcc, 1, v64
	v_cndmask_b32_e64 v63, v63, 1, vcc
	v_cmp_eq_u16_sdwa vcc, v37, v35 src0_sel:BYTE_0 src1_sel:DWORD
	v_and_b32_e32 v64, 0xffff, v63
	s_waitcnt lgkmcnt(0)
	v_cndmask_b32_e32 v36, 0, v36, vcc
	v_cmp_gt_u32_e32 vcc, v55, v33
	v_cndmask_b32_e32 v31, v64, v31, vcc
	v_cndmask_b32_e32 v37, v63, v37, vcc
	ds_bpermute_b32 v63, v56, v31
	v_cndmask_b32_e64 v36, v36, 0, vcc
	;; [unrolled: 16-line block ×3, first 2 shown]
	v_add_u32_e32 v30, v36, v30
	ds_bpermute_b32 v36, v58, v30
	v_and_b32_e32 v64, 1, v37
	s_waitcnt lgkmcnt(1)
	v_and_b32_e32 v63, 1, v63
	v_cmp_eq_u32_e32 vcc, 1, v64
	v_cndmask_b32_e64 v63, v63, 1, vcc
	v_cmp_eq_u16_sdwa vcc, v37, v35 src0_sel:BYTE_0 src1_sel:DWORD
	v_and_b32_e32 v64, 0xffff, v63
	s_waitcnt lgkmcnt(0)
	v_cndmask_b32_e32 v36, 0, v36, vcc
	v_cmp_gt_u32_e32 vcc, v59, v33
	v_cndmask_b32_e64 v36, v36, 0, vcc
	v_cndmask_b32_e32 v31, v64, v31, vcc
	ds_bpermute_b32 v31, v61, v31
	v_add_u32_e32 v30, v36, v30
	ds_bpermute_b32 v36, v61, v30
	v_cndmask_b32_e32 v37, v63, v37, vcc
	v_and_b32_e32 v63, 1, v37
	v_cmp_eq_u32_e32 vcc, 1, v63
	s_waitcnt lgkmcnt(1)
	v_cndmask_b32_e64 v31, v31, 1, vcc
	v_cmp_eq_u16_sdwa vcc, v37, v35 src0_sel:BYTE_0 src1_sel:DWORD
	s_waitcnt lgkmcnt(0)
	v_cndmask_b32_e32 v36, 0, v36, vcc
	v_cmp_gt_u32_e32 vcc, v62, v33
	v_cndmask_b32_e64 v33, v36, 0, vcc
	v_cndmask_b32_e32 v31, v31, v37, vcc
	v_add_u32_e32 v30, v33, v30
	v_cmp_eq_u16_sdwa vcc, v46, v35 src0_sel:BYTE_0 src1_sel:DWORD
	v_and_b32_e32 v33, 1, v46
	v_cndmask_b32_e32 v30, 0, v30, vcc
	v_and_b32_e32 v31, 1, v31
	v_cmp_eq_u32_e32 vcc, 1, v33
	v_subrev_u32_e32 v34, 64, v34
	v_add_u32_e32 v30, v30, v60
	v_cndmask_b32_e64 v31, v31, 1, vcc
.LBB102_104:                            ; =>This Loop Header: Depth=1
                                        ;     Child Loop BB102_107 Depth 2
                                        ;       Child Loop BB102_108 Depth 3
	v_cmp_ne_u16_sdwa s[30:31], v32, v27 src0_sel:BYTE_0 src1_sel:DWORD
	v_mov_b32_e32 v46, v31
	v_cndmask_b32_e64 v31, 0, 1, s[30:31]
	;;#ASMSTART
	;;#ASMEND
	v_cmp_ne_u32_e32 vcc, 0, v31
	s_cmp_lg_u64 vcc, exec
	v_mov_b32_e32 v60, v30
	s_cbranch_scc1 .LBB102_111
; %bb.105:                              ;   in Loop: Header=BB102_104 Depth=1
	v_lshlrev_b64 v[30:31], 4, v[34:35]
	v_mov_b32_e32 v32, s45
	v_add_co_u32_e32 v36, vcc, s44, v30
	v_addc_co_u32_e32 v37, vcc, v32, v31, vcc
	;;#ASMSTART
	global_load_dwordx4 v[30:33], v[36:37] off glc	
s_waitcnt vmcnt(0)
	;;#ASMEND
	v_and_b32_e32 v33, 0xff0000, v30
	v_or_b32_sdwa v33, v30, v33 dst_sel:DWORD dst_unused:UNUSED_PAD src0_sel:WORD_0 src1_sel:DWORD
	v_and_b32_e32 v30, 0xff000000, v30
	v_and_b32_e32 v31, 0xff, v31
	v_or3_b32 v31, 0, 0, v31
	v_or3_b32 v30, v33, v30, 0
	v_cmp_eq_u16_sdwa s[48:49], v32, v35 src0_sel:BYTE_0 src1_sel:DWORD
	s_and_saveexec_b64 s[30:31], s[48:49]
	s_cbranch_execz .LBB102_103
; %bb.106:                              ;   in Loop: Header=BB102_104 Depth=1
	s_mov_b32 s47, 1
	s_mov_b64 s[48:49], 0
.LBB102_107:                            ;   Parent Loop BB102_104 Depth=1
                                        ; =>  This Loop Header: Depth=2
                                        ;       Child Loop BB102_108 Depth 3
	s_max_u32 s54, s47, 1
.LBB102_108:                            ;   Parent Loop BB102_104 Depth=1
                                        ;     Parent Loop BB102_107 Depth=2
                                        ; =>    This Inner Loop Header: Depth=3
	s_add_i32 s54, s54, -1
	s_cmp_eq_u32 s54, 0
	s_sleep 1
	s_cbranch_scc0 .LBB102_108
; %bb.109:                              ;   in Loop: Header=BB102_107 Depth=2
	s_cmp_lt_u32 s47, 32
	s_cselect_b64 s[54:55], -1, 0
	s_cmp_lg_u64 s[54:55], 0
	s_addc_u32 s47, s47, 0
	;;#ASMSTART
	global_load_dwordx4 v[30:33], v[36:37] off glc	
s_waitcnt vmcnt(0)
	;;#ASMEND
	v_cmp_ne_u16_sdwa s[54:55], v32, v35 src0_sel:BYTE_0 src1_sel:DWORD
	s_or_b64 s[48:49], s[54:55], s[48:49]
	s_andn2_b64 exec, exec, s[48:49]
	s_cbranch_execnz .LBB102_107
; %bb.110:                              ;   in Loop: Header=BB102_104 Depth=1
	s_or_b64 exec, exec, s[48:49]
	v_and_b32_e32 v31, 0xff, v31
	s_branch .LBB102_103
.LBB102_111:                            ;   in Loop: Header=BB102_104 Depth=1
                                        ; implicit-def: $vgpr31
                                        ; implicit-def: $vgpr30
                                        ; implicit-def: $vgpr32
	s_cbranch_execz .LBB102_104
; %bb.112:
	s_and_saveexec_b64 s[30:31], s[26:27]
	s_cbranch_execz .LBB102_114
; %bb.113:
	s_and_b32 s40, s7, 0xff
	s_cmp_eq_u32 s40, 0
	s_cselect_b64 vcc, -1, 0
	s_bitcmp1_b32 s7, 0
	s_mov_b32 s41, 0
	s_cselect_b64 s[48:49], -1, 0
	s_add_i32 s40, s6, 64
	s_lshl_b64 s[6:7], s[40:41], 4
	v_cndmask_b32_e32 v27, 0, v60, vcc
	s_add_u32 s6, s44, s6
	v_add_u32_e32 v26, v27, v26
	v_and_b32_e32 v27, 1, v46
	s_addc_u32 s7, s45, s7
	v_mov_b32_e32 v29, 0
	v_cndmask_b32_e64 v27, v27, 1, s[48:49]
	v_mov_b32_e32 v28, 2
	v_pk_mov_b32 v[30:31], s[6:7], s[6:7] op_sel:[0,1]
	;;#ASMSTART
	global_store_dwordx4 v[30:31], v[26:29] off	
s_waitcnt vmcnt(0)
	;;#ASMEND
.LBB102_114:
	s_or_b64 exec, exec, s[30:31]
	v_cmp_eq_u32_e32 vcc, 0, v0
	s_and_b64 exec, exec, vcc
	s_cbranch_execz .LBB102_116
; %bb.115:
	v_mov_b32_e32 v26, 0
	ds_write_b32 v26, v60 offset:24
	ds_write_b8 v26, v46 offset:28
.LBB102_116:
	s_or_b64 exec, exec, s[38:39]
	v_mov_b32_e32 v28, 0
	s_waitcnt lgkmcnt(0)
	s_barrier
	ds_read_b32 v26, v28 offset:24
	v_cndmask_b32_e64 v27, v45, v43, s[26:27]
	v_cmp_eq_u16_sdwa vcc, v27, v28 src0_sel:BYTE_0 src1_sel:DWORD
	v_cndmask_b32_e64 v29, v44, v42, s[26:27]
	s_waitcnt lgkmcnt(0)
	v_cndmask_b32_e32 v27, 0, v26, vcc
	v_add_u32_e32 v27, v27, v29
	v_cmp_eq_u32_e32 vcc, 0, v0
	v_and_b32_e32 v29, 0xff, v39
	v_cndmask_b32_e32 v26, v27, v26, vcc
	v_cmp_eq_u64_e32 vcc, 0, v[28:29]
	v_cndmask_b32_e32 v27, 0, v26, vcc
	v_add_u32_e32 v27, v27, v38
	v_cndmask_b32_e64 v28, 0, v27, s[2:3]
	v_add_u32_e32 v42, v28, v8
	v_cndmask_b32_e64 v28, 0, v42, s[4:5]
	;; [unrolled: 2-line block ×12, first 2 shown]
	v_add_u32_e32 v49, v28, v24
	s_branch .LBB102_143
.LBB102_117:
	s_or_b64 exec, exec, s[30:31]
                                        ; implicit-def: $vgpr14
	s_and_saveexec_b64 s[30:31], s[2:3]
	s_cbranch_execz .LBB102_33
.LBB102_118:
	v_mov_b32_e32 v15, s47
	v_add_co_u32_e32 v14, vcc, s7, v12
	v_addc_co_u32_e32 v15, vcc, 0, v15, vcc
	flat_load_dword v14, v[14:15] offset:1024
	s_or_b64 exec, exec, s[30:31]
                                        ; implicit-def: $vgpr15
	s_and_saveexec_b64 s[2:3], s[4:5]
	s_cbranch_execnz .LBB102_34
.LBB102_119:
	s_or_b64 exec, exec, s[2:3]
                                        ; implicit-def: $vgpr16
	s_and_saveexec_b64 s[2:3], s[28:29]
	s_cbranch_execz .LBB102_35
.LBB102_120:
	v_mov_b32_e32 v17, s47
	v_add_co_u32_e32 v16, vcc, s7, v12
	v_addc_co_u32_e32 v17, vcc, 0, v17, vcc
	flat_load_dword v16, v[16:17] offset:3072
	s_or_b64 exec, exec, s[2:3]
                                        ; implicit-def: $vgpr17
	s_and_saveexec_b64 s[2:3], s[8:9]
	s_cbranch_execnz .LBB102_36
.LBB102_121:
	s_or_b64 exec, exec, s[2:3]
                                        ; implicit-def: $vgpr2
	s_and_saveexec_b64 s[2:3], s[10:11]
	s_cbranch_execz .LBB102_37
.LBB102_122:
	v_lshlrev_b32_e32 v2, 2, v3
	v_mov_b32_e32 v3, s47
	v_add_co_u32_e32 v2, vcc, s7, v2
	v_addc_co_u32_e32 v3, vcc, 0, v3, vcc
	flat_load_dword v2, v[2:3]
	s_or_b64 exec, exec, s[2:3]
                                        ; implicit-def: $vgpr3
	s_and_saveexec_b64 s[2:3], s[12:13]
	s_cbranch_execnz .LBB102_38
.LBB102_123:
	s_or_b64 exec, exec, s[2:3]
                                        ; implicit-def: $vgpr4
	s_and_saveexec_b64 s[2:3], s[14:15]
	s_cbranch_execz .LBB102_39
.LBB102_124:
	v_lshlrev_b32_e32 v4, 2, v5
	v_mov_b32_e32 v5, s47
	v_add_co_u32_e32 v4, vcc, s7, v4
	v_addc_co_u32_e32 v5, vcc, 0, v5, vcc
	flat_load_dword v4, v[4:5]
	s_or_b64 exec, exec, s[2:3]
                                        ; implicit-def: $vgpr5
	s_and_saveexec_b64 s[2:3], s[16:17]
	s_cbranch_execnz .LBB102_40
.LBB102_125:
	s_or_b64 exec, exec, s[2:3]
                                        ; implicit-def: $vgpr6
	s_and_saveexec_b64 s[2:3], s[18:19]
	s_cbranch_execz .LBB102_41
.LBB102_126:
	v_lshlrev_b32_e32 v6, 2, v7
	v_mov_b32_e32 v7, s47
	v_add_co_u32_e32 v6, vcc, s7, v6
	v_addc_co_u32_e32 v7, vcc, 0, v7, vcc
	flat_load_dword v6, v[6:7]
	s_or_b64 exec, exec, s[2:3]
                                        ; implicit-def: $vgpr7
	s_and_saveexec_b64 s[2:3], s[20:21]
	s_cbranch_execnz .LBB102_42
.LBB102_127:
	s_or_b64 exec, exec, s[2:3]
                                        ; implicit-def: $vgpr8
	s_and_saveexec_b64 s[2:3], s[22:23]
	s_cbranch_execz .LBB102_43
.LBB102_128:
	v_lshlrev_b32_e32 v8, 2, v9
	v_mov_b32_e32 v9, s47
	v_add_co_u32_e32 v8, vcc, s7, v8
	v_addc_co_u32_e32 v9, vcc, 0, v9, vcc
	flat_load_dword v8, v[8:9]
	s_or_b64 exec, exec, s[2:3]
                                        ; implicit-def: $vgpr9
	s_and_saveexec_b64 s[2:3], s[24:25]
	s_cbranch_execz .LBB102_45
	s_branch .LBB102_44
.LBB102_129:
                                        ; implicit-def: $vgpr49
                                        ; implicit-def: $vgpr47
                                        ; implicit-def: $vgpr45
                                        ; implicit-def: $vgpr43
                                        ; implicit-def: $vgpr34_vgpr35_vgpr36_vgpr37
                                        ; implicit-def: $vgpr30_vgpr31_vgpr32_vgpr33
                                        ; implicit-def: $vgpr26_vgpr27_vgpr28_vgpr29
	s_cbranch_execz .LBB102_143
; %bb.130:
	s_cmp_lg_u64 s[52:53], 0
	s_cselect_b32 s3, s51, 0
	s_cselect_b32 s2, s50, 0
	s_mov_b32 s24, 0
	s_cmp_eq_u64 s[2:3], 0
	v_mov_b32_e32 v32, s56
	s_cbranch_scc1 .LBB102_132
; %bb.131:
	v_mov_b32_e32 v26, 0
	global_load_dword v32, v26, s[2:3]
.LBB102_132:
	s_mov_b32 s25, 1
	v_cmp_gt_u64_e32 vcc, s[24:25], v[8:9]
	v_cndmask_b32_e32 v27, 0, v38, vcc
	v_add_u32_e32 v27, v27, v8
	v_cmp_gt_u64_e64 s[2:3], s[24:25], v[6:7]
	v_cndmask_b32_e64 v27, 0, v27, s[2:3]
	v_add_u32_e32 v27, v27, v6
	v_cmp_gt_u64_e64 s[4:5], s[24:25], v[4:5]
	v_cndmask_b32_e64 v27, 0, v27, s[4:5]
	v_add_u32_e32 v27, v27, v4
	v_cmp_gt_u64_e64 s[6:7], s[24:25], v[2:3]
	v_cndmask_b32_e64 v27, 0, v27, s[6:7]
	v_add_u32_e32 v27, v27, v2
	v_cmp_gt_u64_e64 s[8:9], s[24:25], v[16:17]
	v_cndmask_b32_e64 v27, 0, v27, s[8:9]
	v_add_u32_e32 v27, v27, v16
	v_cmp_gt_u64_e64 s[10:11], s[24:25], v[14:15]
	v_cndmask_b32_e64 v27, 0, v27, s[10:11]
	v_add_u32_e32 v27, v27, v14
	v_cmp_gt_u64_e64 s[12:13], s[24:25], v[12:13]
	v_cndmask_b32_e64 v27, 0, v27, s[12:13]
	v_add_u32_e32 v27, v27, v12
	v_cmp_gt_u64_e64 s[14:15], s[24:25], v[10:11]
	v_cndmask_b32_e64 v27, 0, v27, s[14:15]
	v_add_u32_e32 v27, v27, v10
	v_cmp_gt_u64_e64 s[16:17], s[24:25], v[18:19]
	v_cndmask_b32_e64 v27, 0, v27, s[16:17]
	v_add_u32_e32 v27, v27, v18
	v_cmp_gt_u64_e64 s[18:19], s[24:25], v[20:21]
	v_cndmask_b32_e64 v27, 0, v27, s[18:19]
	v_add_u32_e32 v27, v27, v20
	v_cmp_gt_u64_e64 s[20:21], s[24:25], v[22:23]
	v_cndmask_b32_e64 v27, 0, v27, s[20:21]
	v_add_u32_e32 v27, v27, v22
	v_cmp_gt_u64_e64 s[22:23], s[24:25], v[24:25]
	v_cndmask_b32_e64 v27, 0, v27, s[22:23]
	v_mov_b32_e32 v26, 0
	v_add_u32_e32 v27, v27, v24
	v_cmp_gt_u64_e64 s[24:25], s[24:25], v[40:41]
	v_or3_b32 v7, v23, v15, v7
	v_cndmask_b32_e64 v27, 0, v27, s[24:25]
	v_or3_b32 v9, v25, v17, v9
	v_and_b32_e32 v35, 1, v7
	v_mov_b32_e32 v34, v26
	v_add_u32_e32 v33, v27, v40
	v_and_b32_e32 v27, 1, v41
	v_or3_b32 v3, v19, v11, v3
	v_and_b32_e32 v31, 1, v9
	v_mov_b32_e32 v30, v26
	v_cmp_ne_u64_e64 s[26:27], 0, v[34:35]
	v_cmp_eq_u32_e64 s[24:25], 1, v27
	v_or3_b32 v5, v21, v13, v5
	v_and_b32_e32 v27, 1, v3
	v_cndmask_b32_e64 v3, 0, 1, s[26:27]
	v_cmp_ne_u64_e64 s[26:27], 0, v[30:31]
	v_and_b32_e32 v29, 1, v5
	v_mov_b32_e32 v28, v26
	v_cndmask_b32_e64 v5, 0, 1, s[26:27]
	v_lshlrev_b16_e32 v3, 2, v3
	v_lshlrev_b16_e32 v5, 3, v5
	v_cmp_ne_u64_e64 s[26:27], 0, v[28:29]
	v_or_b32_e32 v3, v5, v3
	v_cndmask_b32_e64 v5, 0, 1, s[26:27]
	v_cmp_ne_u64_e64 s[26:27], 0, v[26:27]
	v_lshlrev_b16_e32 v5, 1, v5
	v_cndmask_b32_e64 v7, 0, 1, s[26:27]
	v_or_b32_e32 v5, v7, v5
	v_and_b32_e32 v5, 3, v5
	v_or_b32_e32 v3, v5, v3
	v_and_b32_e32 v3, 15, v3
	v_cmp_ne_u16_e64 s[26:27], 0, v3
	s_or_b64 s[24:25], s[24:25], s[26:27]
	v_cndmask_b32_e64 v5, v39, 1, s[24:25]
	v_and_b32_e32 v7, 0xff, v5
	v_mov_b32_dpp v11, v33 row_shr:1 row_mask:0xf bank_mask:0xf
	v_cmp_eq_u16_e64 s[24:25], 0, v7
	v_mov_b32_dpp v13, v7 row_shr:1 row_mask:0xf bank_mask:0xf
	v_and_b32_e32 v15, 1, v5
	v_mbcnt_hi_u32_b32 v3, -1, v52
	v_cndmask_b32_e64 v11, 0, v11, s[24:25]
	v_and_b32_e32 v13, 1, v13
	v_cmp_eq_u32_e64 s[24:25], 1, v15
	v_and_b32_e32 v9, 15, v3
	v_cndmask_b32_e64 v13, v13, 1, s[24:25]
	v_and_b32_e32 v15, 0xffff, v13
	v_cmp_eq_u32_e64 s[24:25], 0, v9
	v_cndmask_b32_e64 v5, v13, v5, s[24:25]
	v_cndmask_b32_e64 v7, v15, v7, s[24:25]
	v_and_b32_e32 v17, 1, v5
	v_cndmask_b32_e64 v11, v11, 0, s[24:25]
	v_mov_b32_dpp v15, v7 row_shr:2 row_mask:0xf bank_mask:0xf
	v_and_b32_e32 v15, 1, v15
	v_cmp_eq_u32_e64 s[24:25], 1, v17
	v_cndmask_b32_e64 v15, v15, 1, s[24:25]
	v_and_b32_e32 v17, 0xffff, v15
	v_cmp_lt_u32_e64 s[24:25], 1, v9
	v_add_u32_e32 v11, v11, v33
	v_cmp_eq_u16_sdwa s[26:27], v5, v26 src0_sel:BYTE_0 src1_sel:DWORD
	v_cndmask_b32_e64 v5, v5, v15, s[24:25]
	v_cndmask_b32_e64 v7, v7, v17, s[24:25]
	v_mov_b32_dpp v13, v11 row_shr:2 row_mask:0xf bank_mask:0xf
	s_and_b64 s[24:25], s[24:25], s[26:27]
	v_mov_b32_dpp v15, v7 row_shr:4 row_mask:0xf bank_mask:0xf
	v_and_b32_e32 v17, 1, v5
	v_cndmask_b32_e64 v13, 0, v13, s[24:25]
	v_and_b32_e32 v15, 1, v15
	v_cmp_eq_u32_e64 s[24:25], 1, v17
	v_cndmask_b32_e64 v15, v15, 1, s[24:25]
	v_and_b32_e32 v17, 0xffff, v15
	v_cmp_lt_u32_e64 s[24:25], 3, v9
	v_add_u32_e32 v11, v13, v11
	v_cmp_eq_u16_sdwa s[26:27], v5, v26 src0_sel:BYTE_0 src1_sel:DWORD
	v_cndmask_b32_e64 v5, v5, v15, s[24:25]
	v_cndmask_b32_e64 v7, v7, v17, s[24:25]
	v_mov_b32_dpp v13, v11 row_shr:4 row_mask:0xf bank_mask:0xf
	s_and_b64 s[24:25], s[24:25], s[26:27]
	v_mov_b32_dpp v15, v7 row_shr:8 row_mask:0xf bank_mask:0xf
	v_and_b32_e32 v17, 1, v5
	v_cndmask_b32_e64 v13, 0, v13, s[24:25]
	v_and_b32_e32 v15, 1, v15
	v_cmp_eq_u32_e64 s[24:25], 1, v17
	v_cndmask_b32_e64 v15, v15, 1, s[24:25]
	v_add_u32_e32 v11, v13, v11
	v_cmp_eq_u16_sdwa s[26:27], v5, v26 src0_sel:BYTE_0 src1_sel:DWORD
	v_and_b32_e32 v17, 0xffff, v15
	v_cmp_lt_u32_e64 s[24:25], 7, v9
	v_mov_b32_dpp v13, v11 row_shr:8 row_mask:0xf bank_mask:0xf
	v_cndmask_b32_e64 v5, v5, v15, s[24:25]
	v_cndmask_b32_e64 v7, v7, v17, s[24:25]
	s_and_b64 s[24:25], s[24:25], s[26:27]
	v_cndmask_b32_e64 v9, 0, v13, s[24:25]
	v_add_u32_e32 v9, v9, v11
	v_mov_b32_dpp v13, v7 row_bcast:15 row_mask:0xf bank_mask:0xf
	v_cmp_eq_u16_sdwa s[24:25], v5, v26 src0_sel:BYTE_0 src1_sel:DWORD
	v_mov_b32_dpp v11, v9 row_bcast:15 row_mask:0xf bank_mask:0xf
	v_and_b32_e32 v19, 1, v5
	v_cndmask_b32_e64 v11, 0, v11, s[24:25]
	v_and_b32_e32 v13, 1, v13
	v_cmp_eq_u32_e64 s[24:25], 1, v19
	v_and_b32_e32 v17, 16, v3
	v_cndmask_b32_e64 v13, v13, 1, s[24:25]
	v_and_b32_e32 v19, 0xffff, v13
	v_cmp_eq_u32_e64 s[24:25], 0, v17
	v_cndmask_b32_e64 v5, v13, v5, s[24:25]
	v_cndmask_b32_e64 v7, v19, v7, s[24:25]
	v_bfe_i32 v15, v3, 4, 1
	v_and_b32_e32 v13, 1, v5
	v_mov_b32_dpp v7, v7 row_bcast:31 row_mask:0xf bank_mask:0xf
	v_and_b32_e32 v11, v15, v11
	v_and_b32_e32 v7, 1, v7
	v_cmp_eq_u32_e64 s[24:25], 1, v13
	v_add_u32_e32 v9, v11, v9
	v_cmp_eq_u16_sdwa s[26:27], v5, v26 src0_sel:BYTE_0 src1_sel:DWORD
	v_cndmask_b32_e64 v7, v7, 1, s[24:25]
	v_cmp_lt_u32_e64 s[24:25], 31, v3
	v_mov_b32_dpp v11, v9 row_bcast:31 row_mask:0xf bank_mask:0xf
	v_cndmask_b32_e64 v5, v5, v7, s[24:25]
	s_and_b64 s[24:25], s[24:25], s[26:27]
	v_cndmask_b32_e64 v7, 0, v11, s[24:25]
	v_add_u32_e32 v7, v7, v9
	v_cmp_eq_u32_e64 s[24:25], v51, v0
	s_and_saveexec_b64 s[26:27], s[24:25]
	s_cbranch_execz .LBB102_134
; %bb.133:
	v_lshlrev_b32_e32 v9, 3, v1
	ds_write_b32 v9, v7
	ds_write_b8 v9, v5 offset:4
.LBB102_134:
	s_or_b64 exec, exec, s[26:27]
	v_cmp_gt_u32_e64 s[24:25], 4, v0
	s_waitcnt lgkmcnt(0)
	s_barrier
	s_and_saveexec_b64 s[26:27], s[24:25]
	s_cbranch_execz .LBB102_138
; %bb.135:
	v_lshlrev_b32_e32 v9, 3, v0
	ds_read_b64 v[26:27], v9
	v_and_b32_e32 v11, 3, v3
	v_cmp_ne_u32_e64 s[24:25], 0, v11
	s_waitcnt lgkmcnt(0)
	v_mov_b32_dpp v13, v26 row_shr:1 row_mask:0xf bank_mask:0xf
	v_mov_b32_dpp v17, v27 row_shr:1 row_mask:0xf bank_mask:0xf
	v_mov_b32_e32 v15, v27
	s_and_saveexec_b64 s[28:29], s[24:25]
	s_cbranch_execz .LBB102_137
; %bb.136:
	v_and_b32_e32 v15, 1, v27
	v_and_b32_e32 v17, 1, v17
	v_cmp_eq_u32_e64 s[24:25], 1, v15
	v_mov_b32_e32 v15, 0
	v_cndmask_b32_e64 v17, v17, 1, s[24:25]
	v_cmp_eq_u16_sdwa s[24:25], v27, v15 src0_sel:BYTE_0 src1_sel:DWORD
	v_cndmask_b32_e64 v13, 0, v13, s[24:25]
	v_add_u32_e32 v26, v13, v26
	v_and_b32_e32 v13, 0xffff, v17
	s_movk_i32 s24, 0xff00
	v_and_or_b32 v15, v27, s24, v13
	v_mov_b32_e32 v27, v17
.LBB102_137:
	s_or_b64 exec, exec, s[28:29]
	v_mov_b32_dpp v15, v15 row_shr:2 row_mask:0xf bank_mask:0xf
	v_and_b32_e32 v17, 1, v27
	v_and_b32_e32 v15, 1, v15
	v_cmp_eq_u32_e64 s[24:25], 1, v17
	v_mov_b32_e32 v17, 0
	v_cndmask_b32_e64 v15, v15, 1, s[24:25]
	v_cmp_eq_u16_sdwa s[28:29], v27, v17 src0_sel:BYTE_0 src1_sel:DWORD
	v_cmp_lt_u32_e64 s[24:25], 1, v11
	v_mov_b32_dpp v13, v26 row_shr:2 row_mask:0xf bank_mask:0xf
	v_cndmask_b32_e64 v11, v27, v15, s[24:25]
	s_and_b64 s[24:25], s[24:25], s[28:29]
	v_cndmask_b32_e64 v13, 0, v13, s[24:25]
	v_add_u32_e32 v13, v13, v26
	ds_write_b32 v9, v13
	ds_write_b8 v9, v11 offset:4
.LBB102_138:
	s_or_b64 exec, exec, s[26:27]
	v_cmp_lt_u32_e64 s[24:25], 63, v0
	s_waitcnt vmcnt(0)
	v_mov_b32_e32 v9, v32
	s_waitcnt lgkmcnt(0)
	s_barrier
	s_and_saveexec_b64 s[26:27], s[24:25]
	s_cbranch_execz .LBB102_140
; %bb.139:
	v_lshl_add_u32 v1, v1, 3, -8
	ds_read_u8 v9, v1 offset:4
	ds_read_b32 v1, v1
	s_waitcnt lgkmcnt(1)
	v_cmp_eq_u16_e64 s[24:25], 0, v9
	v_cndmask_b32_e64 v9, 0, v32, s[24:25]
	s_waitcnt lgkmcnt(0)
	v_add_u32_e32 v9, v9, v1
.LBB102_140:
	s_or_b64 exec, exec, s[26:27]
	v_mov_b32_e32 v28, 0
	v_cmp_eq_u16_sdwa s[24:25], v5, v28 src0_sel:BYTE_0 src1_sel:DWORD
	v_cndmask_b32_e64 v1, 0, v9, s[24:25]
	v_add_u32_e32 v1, v1, v7
	v_add_u32_e32 v5, -1, v3
	v_and_b32_e32 v7, 64, v3
	v_cmp_lt_i32_e64 s[24:25], v5, v7
	v_cndmask_b32_e64 v5, v5, v3, s[24:25]
	v_lshlrev_b32_e32 v5, 2, v5
	ds_bpermute_b32 v1, v5, v1
	v_cmp_eq_u32_e64 s[24:25], 0, v3
	v_and_b32_e32 v29, 0xff, v39
	v_cmp_eq_u64_e64 s[26:27], 0, v[28:29]
	s_waitcnt lgkmcnt(0)
	v_cndmask_b32_e64 v26, v1, v9, s[24:25]
	v_cmp_eq_u32_e64 s[24:25], 0, v0
	v_cndmask_b32_e64 v1, v26, v32, s[24:25]
	v_cndmask_b32_e64 v1, 0, v1, s[26:27]
	v_add_u32_e32 v27, v1, v38
	v_cndmask_b32_e32 v1, 0, v27, vcc
	v_add_u32_e32 v42, v1, v8
	v_cndmask_b32_e64 v1, 0, v42, s[2:3]
	v_add_u32_e32 v43, v1, v6
	v_cndmask_b32_e64 v1, 0, v43, s[4:5]
	;; [unrolled: 2-line block ×11, first 2 shown]
	s_and_saveexec_b64 s[2:3], s[24:25]
	s_cbranch_execz .LBB102_142
; %bb.141:
	ds_read_u8 v3, v28 offset:28
	ds_read_b32 v2, v28 offset:24
	s_add_u32 s4, s44, 0x400
	s_addc_u32 s5, s45, 0
	v_mov_b32_e32 v5, v28
	s_waitcnt lgkmcnt(1)
	v_cmp_eq_u16_e32 vcc, 0, v3
	v_cndmask_b32_e32 v4, 0, v32, vcc
	s_waitcnt lgkmcnt(0)
	v_add_u32_e32 v2, v4, v2
	v_and_b32_e32 v3, 0xffff, v3
	v_mov_b32_e32 v4, 2
	v_pk_mov_b32 v[6:7], s[4:5], s[4:5] op_sel:[0,1]
	;;#ASMSTART
	global_store_dwordx4 v[6:7], v[2:5] off	
s_waitcnt vmcnt(0)
	;;#ASMEND
	v_mov_b32_e32 v26, v32
.LBB102_142:
	s_or_b64 exec, exec, s[2:3]
	v_add_u32_e32 v49, v1, v24
.LBB102_143:
	s_add_u32 s2, s42, s34
	s_addc_u32 s3, s43, s35
	s_add_u32 s4, s2, s36
	v_mul_u32_u24_e32 v1, 14, v0
	s_addc_u32 s5, s3, s37
	s_and_b64 vcc, exec, s[0:1]
	v_lshlrev_b32_e32 v2, 2, v1
	s_cbranch_vccz .LBB102_171
; %bb.144:
	s_movk_i32 s0, 0xffcc
	v_mad_i32_i24 v3, v0, s0, v2
	s_barrier
	ds_write2_b64 v2, v[26:27], v[42:43] offset1:1
	ds_write2_b64 v2, v[30:31], v[44:45] offset0:2 offset1:3
	ds_write2_b64 v2, v[34:35], v[46:47] offset0:4 offset1:5
	ds_write_b64 v2, v[48:49] offset:48
	s_waitcnt lgkmcnt(0)
	s_barrier
	ds_read2st64_b32 v[16:17], v3 offset0:4 offset1:8
	ds_read2st64_b32 v[14:15], v3 offset0:12 offset1:16
	;; [unrolled: 1-line block ×6, first 2 shown]
	ds_read_b32 v3, v3 offset:13312
	v_mov_b32_e32 v7, s5
	v_add_co_u32_e32 v6, vcc, s4, v50
	s_add_i32 s33, s33, s46
	v_addc_co_u32_e32 v7, vcc, 0, v7, vcc
	v_mov_b32_e32 v1, 0
	v_cmp_gt_u32_e32 vcc, s33, v0
	s_and_saveexec_b64 s[0:1], vcc
	s_cbranch_execz .LBB102_146
; %bb.145:
	v_mul_i32_i24_e32 v18, 0xffffffcc, v0
	v_add_u32_e32 v18, v2, v18
	ds_read_b32 v18, v18
	s_waitcnt lgkmcnt(0)
	flat_store_dword v[6:7], v18
.LBB102_146:
	s_or_b64 exec, exec, s[0:1]
	v_or_b32_e32 v18, 0x100, v0
	v_cmp_gt_u32_e32 vcc, s33, v18
	s_and_saveexec_b64 s[0:1], vcc
	s_cbranch_execz .LBB102_148
; %bb.147:
	s_waitcnt lgkmcnt(0)
	flat_store_dword v[6:7], v16 offset:1024
.LBB102_148:
	s_or_b64 exec, exec, s[0:1]
	s_waitcnt lgkmcnt(0)
	v_or_b32_e32 v16, 0x200, v0
	v_cmp_gt_u32_e32 vcc, s33, v16
	s_and_saveexec_b64 s[0:1], vcc
	s_cbranch_execz .LBB102_150
; %bb.149:
	flat_store_dword v[6:7], v17 offset:2048
.LBB102_150:
	s_or_b64 exec, exec, s[0:1]
	v_or_b32_e32 v16, 0x300, v0
	v_cmp_gt_u32_e32 vcc, s33, v16
	s_and_saveexec_b64 s[0:1], vcc
	s_cbranch_execz .LBB102_152
; %bb.151:
	flat_store_dword v[6:7], v14 offset:3072
.LBB102_152:
	s_or_b64 exec, exec, s[0:1]
	v_or_b32_e32 v14, 0x400, v0
	v_cmp_gt_u32_e32 vcc, s33, v14
	s_and_saveexec_b64 s[0:1], vcc
	s_cbranch_execz .LBB102_154
; %bb.153:
	v_add_co_u32_e32 v16, vcc, 0x1000, v6
	v_addc_co_u32_e32 v17, vcc, 0, v7, vcc
	flat_store_dword v[16:17], v15
.LBB102_154:
	s_or_b64 exec, exec, s[0:1]
	v_or_b32_e32 v14, 0x500, v0
	v_cmp_gt_u32_e32 vcc, s33, v14
	s_and_saveexec_b64 s[0:1], vcc
	s_cbranch_execz .LBB102_156
; %bb.155:
	v_add_co_u32_e32 v14, vcc, 0x1000, v6
	v_addc_co_u32_e32 v15, vcc, 0, v7, vcc
	flat_store_dword v[14:15], v12 offset:1024
.LBB102_156:
	s_or_b64 exec, exec, s[0:1]
	v_or_b32_e32 v12, 0x600, v0
	v_cmp_gt_u32_e32 vcc, s33, v12
	s_and_saveexec_b64 s[0:1], vcc
	s_cbranch_execz .LBB102_158
; %bb.157:
	v_add_co_u32_e32 v14, vcc, 0x1000, v6
	v_addc_co_u32_e32 v15, vcc, 0, v7, vcc
	flat_store_dword v[14:15], v13 offset:2048
.LBB102_158:
	;; [unrolled: 10-line block ×3, first 2 shown]
	s_or_b64 exec, exec, s[0:1]
	v_or_b32_e32 v10, 0x800, v0
	v_cmp_gt_u32_e32 vcc, s33, v10
	s_and_saveexec_b64 s[0:1], vcc
	s_cbranch_execz .LBB102_162
; %bb.161:
	v_add_co_u32_e32 v12, vcc, 0x2000, v6
	v_addc_co_u32_e32 v13, vcc, 0, v7, vcc
	flat_store_dword v[12:13], v11
.LBB102_162:
	s_or_b64 exec, exec, s[0:1]
	v_or_b32_e32 v10, 0x900, v0
	v_cmp_gt_u32_e32 vcc, s33, v10
	s_and_saveexec_b64 s[0:1], vcc
	s_cbranch_execz .LBB102_164
; %bb.163:
	v_add_co_u32_e32 v10, vcc, 0x2000, v6
	v_addc_co_u32_e32 v11, vcc, 0, v7, vcc
	flat_store_dword v[10:11], v8 offset:1024
.LBB102_164:
	s_or_b64 exec, exec, s[0:1]
	v_or_b32_e32 v8, 0xa00, v0
	v_cmp_gt_u32_e32 vcc, s33, v8
	s_and_saveexec_b64 s[0:1], vcc
	s_cbranch_execz .LBB102_166
; %bb.165:
	v_add_co_u32_e32 v10, vcc, 0x2000, v6
	v_addc_co_u32_e32 v11, vcc, 0, v7, vcc
	flat_store_dword v[10:11], v9 offset:2048
.LBB102_166:
	;; [unrolled: 10-line block ×3, first 2 shown]
	s_or_b64 exec, exec, s[0:1]
	v_or_b32_e32 v4, 0xc00, v0
	v_cmp_gt_u32_e32 vcc, s33, v4
	s_and_saveexec_b64 s[0:1], vcc
	s_cbranch_execz .LBB102_170
; %bb.169:
	v_add_co_u32_e32 v6, vcc, 0x3000, v6
	v_addc_co_u32_e32 v7, vcc, 0, v7, vcc
	flat_store_dword v[6:7], v5
.LBB102_170:
	s_or_b64 exec, exec, s[0:1]
	v_or_b32_e32 v4, 0xd00, v0
	v_cmp_gt_u32_e64 s[0:1], s33, v4
	s_branch .LBB102_173
.LBB102_171:
	s_mov_b64 s[0:1], 0
                                        ; implicit-def: $vgpr3
	s_cbranch_execz .LBB102_173
; %bb.172:
	s_movk_i32 s2, 0xffcc
	s_waitcnt lgkmcnt(0)
	s_barrier
	ds_write2_b64 v2, v[26:27], v[42:43] offset1:1
	ds_write2_b64 v2, v[30:31], v[44:45] offset0:2 offset1:3
	ds_write2_b64 v2, v[34:35], v[46:47] offset0:4 offset1:5
	ds_write_b64 v2, v[48:49] offset:48
	v_mad_i32_i24 v2, v0, s2, v2
	v_mov_b32_e32 v17, s5
	v_add_co_u32_e32 v16, vcc, s4, v50
	s_waitcnt lgkmcnt(0)
	s_barrier
	ds_read2st64_b32 v[4:5], v2 offset1:4
	ds_read2st64_b32 v[6:7], v2 offset0:8 offset1:12
	ds_read2st64_b32 v[8:9], v2 offset0:16 offset1:20
	;; [unrolled: 1-line block ×6, first 2 shown]
	v_addc_co_u32_e32 v17, vcc, 0, v17, vcc
	s_movk_i32 s2, 0x1000
	s_waitcnt lgkmcnt(0)
	flat_store_dword v[16:17], v4
	flat_store_dword v[16:17], v5 offset:1024
	flat_store_dword v[16:17], v6 offset:2048
	;; [unrolled: 1-line block ×3, first 2 shown]
	v_add_co_u32_e32 v4, vcc, s2, v16
	v_addc_co_u32_e32 v5, vcc, 0, v17, vcc
	flat_store_dword v[4:5], v8
	flat_store_dword v[4:5], v9 offset:1024
	flat_store_dword v[4:5], v10 offset:2048
	;; [unrolled: 1-line block ×3, first 2 shown]
	v_add_co_u32_e32 v4, vcc, 0x2000, v16
	v_addc_co_u32_e32 v5, vcc, 0, v17, vcc
	flat_store_dword v[4:5], v12
	flat_store_dword v[4:5], v13 offset:1024
	flat_store_dword v[4:5], v14 offset:2048
	;; [unrolled: 1-line block ×3, first 2 shown]
	v_add_co_u32_e32 v4, vcc, 0x3000, v16
	v_mov_b32_e32 v1, 0
	v_addc_co_u32_e32 v5, vcc, 0, v17, vcc
	s_or_b64 s[0:1], s[0:1], exec
	flat_store_dword v[4:5], v2
.LBB102_173:
	s_and_saveexec_b64 s[2:3], s[0:1]
	s_cbranch_execz .LBB102_175
; %bb.174:
	v_lshlrev_b64 v[0:1], 2, v[0:1]
	v_mov_b32_e32 v2, s5
	v_add_co_u32_e32 v0, vcc, s4, v0
	v_addc_co_u32_e32 v1, vcc, v2, v1, vcc
	v_add_co_u32_e32 v0, vcc, 0x3000, v0
	v_addc_co_u32_e32 v1, vcc, 0, v1, vcc
	flat_store_dword v[0:1], v3 offset:1024
	s_endpgm
.LBB102_175:
	s_endpgm
	.section	.rodata,"a",@progbits
	.p2align	6, 0x0
	.amdhsa_kernel _ZN7rocprim17ROCPRIM_400000_NS6detail17trampoline_kernelINS0_14default_configENS1_27scan_by_key_config_selectorIiiEEZZNS1_16scan_by_key_implILNS1_25lookback_scan_determinismE0ELb1ES3_N6thrust23THRUST_200600_302600_NS6detail15normal_iteratorINS9_10device_ptrIiEEEESE_SE_iNS9_4plusIvEENS9_8equal_toIvEEiEE10hipError_tPvRmT2_T3_T4_T5_mT6_T7_P12ihipStream_tbENKUlT_T0_E_clISt17integral_constantIbLb1EESY_IbLb0EEEEDaSU_SV_EUlSU_E_NS1_11comp_targetILNS1_3genE4ELNS1_11target_archE910ELNS1_3gpuE8ELNS1_3repE0EEENS1_30default_config_static_selectorELNS0_4arch9wavefront6targetE1EEEvT1_
		.amdhsa_group_segment_fixed_size 16384
		.amdhsa_private_segment_fixed_size 0
		.amdhsa_kernarg_size 112
		.amdhsa_user_sgpr_count 6
		.amdhsa_user_sgpr_private_segment_buffer 1
		.amdhsa_user_sgpr_dispatch_ptr 0
		.amdhsa_user_sgpr_queue_ptr 0
		.amdhsa_user_sgpr_kernarg_segment_ptr 1
		.amdhsa_user_sgpr_dispatch_id 0
		.amdhsa_user_sgpr_flat_scratch_init 0
		.amdhsa_user_sgpr_kernarg_preload_length 0
		.amdhsa_user_sgpr_kernarg_preload_offset 0
		.amdhsa_user_sgpr_private_segment_size 0
		.amdhsa_uses_dynamic_stack 0
		.amdhsa_system_sgpr_private_segment_wavefront_offset 0
		.amdhsa_system_sgpr_workgroup_id_x 1
		.amdhsa_system_sgpr_workgroup_id_y 0
		.amdhsa_system_sgpr_workgroup_id_z 0
		.amdhsa_system_sgpr_workgroup_info 0
		.amdhsa_system_vgpr_workitem_id 0
		.amdhsa_next_free_vgpr 65
		.amdhsa_next_free_sgpr 60
		.amdhsa_accum_offset 68
		.amdhsa_reserve_vcc 1
		.amdhsa_reserve_flat_scratch 0
		.amdhsa_float_round_mode_32 0
		.amdhsa_float_round_mode_16_64 0
		.amdhsa_float_denorm_mode_32 3
		.amdhsa_float_denorm_mode_16_64 3
		.amdhsa_dx10_clamp 1
		.amdhsa_ieee_mode 1
		.amdhsa_fp16_overflow 0
		.amdhsa_tg_split 0
		.amdhsa_exception_fp_ieee_invalid_op 0
		.amdhsa_exception_fp_denorm_src 0
		.amdhsa_exception_fp_ieee_div_zero 0
		.amdhsa_exception_fp_ieee_overflow 0
		.amdhsa_exception_fp_ieee_underflow 0
		.amdhsa_exception_fp_ieee_inexact 0
		.amdhsa_exception_int_div_zero 0
	.end_amdhsa_kernel
	.section	.text._ZN7rocprim17ROCPRIM_400000_NS6detail17trampoline_kernelINS0_14default_configENS1_27scan_by_key_config_selectorIiiEEZZNS1_16scan_by_key_implILNS1_25lookback_scan_determinismE0ELb1ES3_N6thrust23THRUST_200600_302600_NS6detail15normal_iteratorINS9_10device_ptrIiEEEESE_SE_iNS9_4plusIvEENS9_8equal_toIvEEiEE10hipError_tPvRmT2_T3_T4_T5_mT6_T7_P12ihipStream_tbENKUlT_T0_E_clISt17integral_constantIbLb1EESY_IbLb0EEEEDaSU_SV_EUlSU_E_NS1_11comp_targetILNS1_3genE4ELNS1_11target_archE910ELNS1_3gpuE8ELNS1_3repE0EEENS1_30default_config_static_selectorELNS0_4arch9wavefront6targetE1EEEvT1_,"axG",@progbits,_ZN7rocprim17ROCPRIM_400000_NS6detail17trampoline_kernelINS0_14default_configENS1_27scan_by_key_config_selectorIiiEEZZNS1_16scan_by_key_implILNS1_25lookback_scan_determinismE0ELb1ES3_N6thrust23THRUST_200600_302600_NS6detail15normal_iteratorINS9_10device_ptrIiEEEESE_SE_iNS9_4plusIvEENS9_8equal_toIvEEiEE10hipError_tPvRmT2_T3_T4_T5_mT6_T7_P12ihipStream_tbENKUlT_T0_E_clISt17integral_constantIbLb1EESY_IbLb0EEEEDaSU_SV_EUlSU_E_NS1_11comp_targetILNS1_3genE4ELNS1_11target_archE910ELNS1_3gpuE8ELNS1_3repE0EEENS1_30default_config_static_selectorELNS0_4arch9wavefront6targetE1EEEvT1_,comdat
.Lfunc_end102:
	.size	_ZN7rocprim17ROCPRIM_400000_NS6detail17trampoline_kernelINS0_14default_configENS1_27scan_by_key_config_selectorIiiEEZZNS1_16scan_by_key_implILNS1_25lookback_scan_determinismE0ELb1ES3_N6thrust23THRUST_200600_302600_NS6detail15normal_iteratorINS9_10device_ptrIiEEEESE_SE_iNS9_4plusIvEENS9_8equal_toIvEEiEE10hipError_tPvRmT2_T3_T4_T5_mT6_T7_P12ihipStream_tbENKUlT_T0_E_clISt17integral_constantIbLb1EESY_IbLb0EEEEDaSU_SV_EUlSU_E_NS1_11comp_targetILNS1_3genE4ELNS1_11target_archE910ELNS1_3gpuE8ELNS1_3repE0EEENS1_30default_config_static_selectorELNS0_4arch9wavefront6targetE1EEEvT1_, .Lfunc_end102-_ZN7rocprim17ROCPRIM_400000_NS6detail17trampoline_kernelINS0_14default_configENS1_27scan_by_key_config_selectorIiiEEZZNS1_16scan_by_key_implILNS1_25lookback_scan_determinismE0ELb1ES3_N6thrust23THRUST_200600_302600_NS6detail15normal_iteratorINS9_10device_ptrIiEEEESE_SE_iNS9_4plusIvEENS9_8equal_toIvEEiEE10hipError_tPvRmT2_T3_T4_T5_mT6_T7_P12ihipStream_tbENKUlT_T0_E_clISt17integral_constantIbLb1EESY_IbLb0EEEEDaSU_SV_EUlSU_E_NS1_11comp_targetILNS1_3genE4ELNS1_11target_archE910ELNS1_3gpuE8ELNS1_3repE0EEENS1_30default_config_static_selectorELNS0_4arch9wavefront6targetE1EEEvT1_
                                        ; -- End function
	.section	.AMDGPU.csdata,"",@progbits
; Kernel info:
; codeLenInByte = 11304
; NumSgprs: 64
; NumVgprs: 65
; NumAgprs: 0
; TotalNumVgprs: 65
; ScratchSize: 0
; MemoryBound: 0
; FloatMode: 240
; IeeeMode: 1
; LDSByteSize: 16384 bytes/workgroup (compile time only)
; SGPRBlocks: 7
; VGPRBlocks: 8
; NumSGPRsForWavesPerEU: 64
; NumVGPRsForWavesPerEU: 65
; AccumOffset: 68
; Occupancy: 4
; WaveLimiterHint : 1
; COMPUTE_PGM_RSRC2:SCRATCH_EN: 0
; COMPUTE_PGM_RSRC2:USER_SGPR: 6
; COMPUTE_PGM_RSRC2:TRAP_HANDLER: 0
; COMPUTE_PGM_RSRC2:TGID_X_EN: 1
; COMPUTE_PGM_RSRC2:TGID_Y_EN: 0
; COMPUTE_PGM_RSRC2:TGID_Z_EN: 0
; COMPUTE_PGM_RSRC2:TIDIG_COMP_CNT: 0
; COMPUTE_PGM_RSRC3_GFX90A:ACCUM_OFFSET: 16
; COMPUTE_PGM_RSRC3_GFX90A:TG_SPLIT: 0
	.section	.text._ZN7rocprim17ROCPRIM_400000_NS6detail17trampoline_kernelINS0_14default_configENS1_27scan_by_key_config_selectorIiiEEZZNS1_16scan_by_key_implILNS1_25lookback_scan_determinismE0ELb1ES3_N6thrust23THRUST_200600_302600_NS6detail15normal_iteratorINS9_10device_ptrIiEEEESE_SE_iNS9_4plusIvEENS9_8equal_toIvEEiEE10hipError_tPvRmT2_T3_T4_T5_mT6_T7_P12ihipStream_tbENKUlT_T0_E_clISt17integral_constantIbLb1EESY_IbLb0EEEEDaSU_SV_EUlSU_E_NS1_11comp_targetILNS1_3genE3ELNS1_11target_archE908ELNS1_3gpuE7ELNS1_3repE0EEENS1_30default_config_static_selectorELNS0_4arch9wavefront6targetE1EEEvT1_,"axG",@progbits,_ZN7rocprim17ROCPRIM_400000_NS6detail17trampoline_kernelINS0_14default_configENS1_27scan_by_key_config_selectorIiiEEZZNS1_16scan_by_key_implILNS1_25lookback_scan_determinismE0ELb1ES3_N6thrust23THRUST_200600_302600_NS6detail15normal_iteratorINS9_10device_ptrIiEEEESE_SE_iNS9_4plusIvEENS9_8equal_toIvEEiEE10hipError_tPvRmT2_T3_T4_T5_mT6_T7_P12ihipStream_tbENKUlT_T0_E_clISt17integral_constantIbLb1EESY_IbLb0EEEEDaSU_SV_EUlSU_E_NS1_11comp_targetILNS1_3genE3ELNS1_11target_archE908ELNS1_3gpuE7ELNS1_3repE0EEENS1_30default_config_static_selectorELNS0_4arch9wavefront6targetE1EEEvT1_,comdat
	.protected	_ZN7rocprim17ROCPRIM_400000_NS6detail17trampoline_kernelINS0_14default_configENS1_27scan_by_key_config_selectorIiiEEZZNS1_16scan_by_key_implILNS1_25lookback_scan_determinismE0ELb1ES3_N6thrust23THRUST_200600_302600_NS6detail15normal_iteratorINS9_10device_ptrIiEEEESE_SE_iNS9_4plusIvEENS9_8equal_toIvEEiEE10hipError_tPvRmT2_T3_T4_T5_mT6_T7_P12ihipStream_tbENKUlT_T0_E_clISt17integral_constantIbLb1EESY_IbLb0EEEEDaSU_SV_EUlSU_E_NS1_11comp_targetILNS1_3genE3ELNS1_11target_archE908ELNS1_3gpuE7ELNS1_3repE0EEENS1_30default_config_static_selectorELNS0_4arch9wavefront6targetE1EEEvT1_ ; -- Begin function _ZN7rocprim17ROCPRIM_400000_NS6detail17trampoline_kernelINS0_14default_configENS1_27scan_by_key_config_selectorIiiEEZZNS1_16scan_by_key_implILNS1_25lookback_scan_determinismE0ELb1ES3_N6thrust23THRUST_200600_302600_NS6detail15normal_iteratorINS9_10device_ptrIiEEEESE_SE_iNS9_4plusIvEENS9_8equal_toIvEEiEE10hipError_tPvRmT2_T3_T4_T5_mT6_T7_P12ihipStream_tbENKUlT_T0_E_clISt17integral_constantIbLb1EESY_IbLb0EEEEDaSU_SV_EUlSU_E_NS1_11comp_targetILNS1_3genE3ELNS1_11target_archE908ELNS1_3gpuE7ELNS1_3repE0EEENS1_30default_config_static_selectorELNS0_4arch9wavefront6targetE1EEEvT1_
	.globl	_ZN7rocprim17ROCPRIM_400000_NS6detail17trampoline_kernelINS0_14default_configENS1_27scan_by_key_config_selectorIiiEEZZNS1_16scan_by_key_implILNS1_25lookback_scan_determinismE0ELb1ES3_N6thrust23THRUST_200600_302600_NS6detail15normal_iteratorINS9_10device_ptrIiEEEESE_SE_iNS9_4plusIvEENS9_8equal_toIvEEiEE10hipError_tPvRmT2_T3_T4_T5_mT6_T7_P12ihipStream_tbENKUlT_T0_E_clISt17integral_constantIbLb1EESY_IbLb0EEEEDaSU_SV_EUlSU_E_NS1_11comp_targetILNS1_3genE3ELNS1_11target_archE908ELNS1_3gpuE7ELNS1_3repE0EEENS1_30default_config_static_selectorELNS0_4arch9wavefront6targetE1EEEvT1_
	.p2align	8
	.type	_ZN7rocprim17ROCPRIM_400000_NS6detail17trampoline_kernelINS0_14default_configENS1_27scan_by_key_config_selectorIiiEEZZNS1_16scan_by_key_implILNS1_25lookback_scan_determinismE0ELb1ES3_N6thrust23THRUST_200600_302600_NS6detail15normal_iteratorINS9_10device_ptrIiEEEESE_SE_iNS9_4plusIvEENS9_8equal_toIvEEiEE10hipError_tPvRmT2_T3_T4_T5_mT6_T7_P12ihipStream_tbENKUlT_T0_E_clISt17integral_constantIbLb1EESY_IbLb0EEEEDaSU_SV_EUlSU_E_NS1_11comp_targetILNS1_3genE3ELNS1_11target_archE908ELNS1_3gpuE7ELNS1_3repE0EEENS1_30default_config_static_selectorELNS0_4arch9wavefront6targetE1EEEvT1_,@function
_ZN7rocprim17ROCPRIM_400000_NS6detail17trampoline_kernelINS0_14default_configENS1_27scan_by_key_config_selectorIiiEEZZNS1_16scan_by_key_implILNS1_25lookback_scan_determinismE0ELb1ES3_N6thrust23THRUST_200600_302600_NS6detail15normal_iteratorINS9_10device_ptrIiEEEESE_SE_iNS9_4plusIvEENS9_8equal_toIvEEiEE10hipError_tPvRmT2_T3_T4_T5_mT6_T7_P12ihipStream_tbENKUlT_T0_E_clISt17integral_constantIbLb1EESY_IbLb0EEEEDaSU_SV_EUlSU_E_NS1_11comp_targetILNS1_3genE3ELNS1_11target_archE908ELNS1_3gpuE7ELNS1_3repE0EEENS1_30default_config_static_selectorELNS0_4arch9wavefront6targetE1EEEvT1_: ; @_ZN7rocprim17ROCPRIM_400000_NS6detail17trampoline_kernelINS0_14default_configENS1_27scan_by_key_config_selectorIiiEEZZNS1_16scan_by_key_implILNS1_25lookback_scan_determinismE0ELb1ES3_N6thrust23THRUST_200600_302600_NS6detail15normal_iteratorINS9_10device_ptrIiEEEESE_SE_iNS9_4plusIvEENS9_8equal_toIvEEiEE10hipError_tPvRmT2_T3_T4_T5_mT6_T7_P12ihipStream_tbENKUlT_T0_E_clISt17integral_constantIbLb1EESY_IbLb0EEEEDaSU_SV_EUlSU_E_NS1_11comp_targetILNS1_3genE3ELNS1_11target_archE908ELNS1_3gpuE7ELNS1_3repE0EEENS1_30default_config_static_selectorELNS0_4arch9wavefront6targetE1EEEvT1_
; %bb.0:
	.section	.rodata,"a",@progbits
	.p2align	6, 0x0
	.amdhsa_kernel _ZN7rocprim17ROCPRIM_400000_NS6detail17trampoline_kernelINS0_14default_configENS1_27scan_by_key_config_selectorIiiEEZZNS1_16scan_by_key_implILNS1_25lookback_scan_determinismE0ELb1ES3_N6thrust23THRUST_200600_302600_NS6detail15normal_iteratorINS9_10device_ptrIiEEEESE_SE_iNS9_4plusIvEENS9_8equal_toIvEEiEE10hipError_tPvRmT2_T3_T4_T5_mT6_T7_P12ihipStream_tbENKUlT_T0_E_clISt17integral_constantIbLb1EESY_IbLb0EEEEDaSU_SV_EUlSU_E_NS1_11comp_targetILNS1_3genE3ELNS1_11target_archE908ELNS1_3gpuE7ELNS1_3repE0EEENS1_30default_config_static_selectorELNS0_4arch9wavefront6targetE1EEEvT1_
		.amdhsa_group_segment_fixed_size 0
		.amdhsa_private_segment_fixed_size 0
		.amdhsa_kernarg_size 112
		.amdhsa_user_sgpr_count 6
		.amdhsa_user_sgpr_private_segment_buffer 1
		.amdhsa_user_sgpr_dispatch_ptr 0
		.amdhsa_user_sgpr_queue_ptr 0
		.amdhsa_user_sgpr_kernarg_segment_ptr 1
		.amdhsa_user_sgpr_dispatch_id 0
		.amdhsa_user_sgpr_flat_scratch_init 0
		.amdhsa_user_sgpr_kernarg_preload_length 0
		.amdhsa_user_sgpr_kernarg_preload_offset 0
		.amdhsa_user_sgpr_private_segment_size 0
		.amdhsa_uses_dynamic_stack 0
		.amdhsa_system_sgpr_private_segment_wavefront_offset 0
		.amdhsa_system_sgpr_workgroup_id_x 1
		.amdhsa_system_sgpr_workgroup_id_y 0
		.amdhsa_system_sgpr_workgroup_id_z 0
		.amdhsa_system_sgpr_workgroup_info 0
		.amdhsa_system_vgpr_workitem_id 0
		.amdhsa_next_free_vgpr 1
		.amdhsa_next_free_sgpr 0
		.amdhsa_accum_offset 4
		.amdhsa_reserve_vcc 0
		.amdhsa_reserve_flat_scratch 0
		.amdhsa_float_round_mode_32 0
		.amdhsa_float_round_mode_16_64 0
		.amdhsa_float_denorm_mode_32 3
		.amdhsa_float_denorm_mode_16_64 3
		.amdhsa_dx10_clamp 1
		.amdhsa_ieee_mode 1
		.amdhsa_fp16_overflow 0
		.amdhsa_tg_split 0
		.amdhsa_exception_fp_ieee_invalid_op 0
		.amdhsa_exception_fp_denorm_src 0
		.amdhsa_exception_fp_ieee_div_zero 0
		.amdhsa_exception_fp_ieee_overflow 0
		.amdhsa_exception_fp_ieee_underflow 0
		.amdhsa_exception_fp_ieee_inexact 0
		.amdhsa_exception_int_div_zero 0
	.end_amdhsa_kernel
	.section	.text._ZN7rocprim17ROCPRIM_400000_NS6detail17trampoline_kernelINS0_14default_configENS1_27scan_by_key_config_selectorIiiEEZZNS1_16scan_by_key_implILNS1_25lookback_scan_determinismE0ELb1ES3_N6thrust23THRUST_200600_302600_NS6detail15normal_iteratorINS9_10device_ptrIiEEEESE_SE_iNS9_4plusIvEENS9_8equal_toIvEEiEE10hipError_tPvRmT2_T3_T4_T5_mT6_T7_P12ihipStream_tbENKUlT_T0_E_clISt17integral_constantIbLb1EESY_IbLb0EEEEDaSU_SV_EUlSU_E_NS1_11comp_targetILNS1_3genE3ELNS1_11target_archE908ELNS1_3gpuE7ELNS1_3repE0EEENS1_30default_config_static_selectorELNS0_4arch9wavefront6targetE1EEEvT1_,"axG",@progbits,_ZN7rocprim17ROCPRIM_400000_NS6detail17trampoline_kernelINS0_14default_configENS1_27scan_by_key_config_selectorIiiEEZZNS1_16scan_by_key_implILNS1_25lookback_scan_determinismE0ELb1ES3_N6thrust23THRUST_200600_302600_NS6detail15normal_iteratorINS9_10device_ptrIiEEEESE_SE_iNS9_4plusIvEENS9_8equal_toIvEEiEE10hipError_tPvRmT2_T3_T4_T5_mT6_T7_P12ihipStream_tbENKUlT_T0_E_clISt17integral_constantIbLb1EESY_IbLb0EEEEDaSU_SV_EUlSU_E_NS1_11comp_targetILNS1_3genE3ELNS1_11target_archE908ELNS1_3gpuE7ELNS1_3repE0EEENS1_30default_config_static_selectorELNS0_4arch9wavefront6targetE1EEEvT1_,comdat
.Lfunc_end103:
	.size	_ZN7rocprim17ROCPRIM_400000_NS6detail17trampoline_kernelINS0_14default_configENS1_27scan_by_key_config_selectorIiiEEZZNS1_16scan_by_key_implILNS1_25lookback_scan_determinismE0ELb1ES3_N6thrust23THRUST_200600_302600_NS6detail15normal_iteratorINS9_10device_ptrIiEEEESE_SE_iNS9_4plusIvEENS9_8equal_toIvEEiEE10hipError_tPvRmT2_T3_T4_T5_mT6_T7_P12ihipStream_tbENKUlT_T0_E_clISt17integral_constantIbLb1EESY_IbLb0EEEEDaSU_SV_EUlSU_E_NS1_11comp_targetILNS1_3genE3ELNS1_11target_archE908ELNS1_3gpuE7ELNS1_3repE0EEENS1_30default_config_static_selectorELNS0_4arch9wavefront6targetE1EEEvT1_, .Lfunc_end103-_ZN7rocprim17ROCPRIM_400000_NS6detail17trampoline_kernelINS0_14default_configENS1_27scan_by_key_config_selectorIiiEEZZNS1_16scan_by_key_implILNS1_25lookback_scan_determinismE0ELb1ES3_N6thrust23THRUST_200600_302600_NS6detail15normal_iteratorINS9_10device_ptrIiEEEESE_SE_iNS9_4plusIvEENS9_8equal_toIvEEiEE10hipError_tPvRmT2_T3_T4_T5_mT6_T7_P12ihipStream_tbENKUlT_T0_E_clISt17integral_constantIbLb1EESY_IbLb0EEEEDaSU_SV_EUlSU_E_NS1_11comp_targetILNS1_3genE3ELNS1_11target_archE908ELNS1_3gpuE7ELNS1_3repE0EEENS1_30default_config_static_selectorELNS0_4arch9wavefront6targetE1EEEvT1_
                                        ; -- End function
	.section	.AMDGPU.csdata,"",@progbits
; Kernel info:
; codeLenInByte = 0
; NumSgprs: 4
; NumVgprs: 0
; NumAgprs: 0
; TotalNumVgprs: 0
; ScratchSize: 0
; MemoryBound: 0
; FloatMode: 240
; IeeeMode: 1
; LDSByteSize: 0 bytes/workgroup (compile time only)
; SGPRBlocks: 0
; VGPRBlocks: 0
; NumSGPRsForWavesPerEU: 4
; NumVGPRsForWavesPerEU: 1
; AccumOffset: 4
; Occupancy: 8
; WaveLimiterHint : 0
; COMPUTE_PGM_RSRC2:SCRATCH_EN: 0
; COMPUTE_PGM_RSRC2:USER_SGPR: 6
; COMPUTE_PGM_RSRC2:TRAP_HANDLER: 0
; COMPUTE_PGM_RSRC2:TGID_X_EN: 1
; COMPUTE_PGM_RSRC2:TGID_Y_EN: 0
; COMPUTE_PGM_RSRC2:TGID_Z_EN: 0
; COMPUTE_PGM_RSRC2:TIDIG_COMP_CNT: 0
; COMPUTE_PGM_RSRC3_GFX90A:ACCUM_OFFSET: 0
; COMPUTE_PGM_RSRC3_GFX90A:TG_SPLIT: 0
	.section	.text._ZN7rocprim17ROCPRIM_400000_NS6detail17trampoline_kernelINS0_14default_configENS1_27scan_by_key_config_selectorIiiEEZZNS1_16scan_by_key_implILNS1_25lookback_scan_determinismE0ELb1ES3_N6thrust23THRUST_200600_302600_NS6detail15normal_iteratorINS9_10device_ptrIiEEEESE_SE_iNS9_4plusIvEENS9_8equal_toIvEEiEE10hipError_tPvRmT2_T3_T4_T5_mT6_T7_P12ihipStream_tbENKUlT_T0_E_clISt17integral_constantIbLb1EESY_IbLb0EEEEDaSU_SV_EUlSU_E_NS1_11comp_targetILNS1_3genE2ELNS1_11target_archE906ELNS1_3gpuE6ELNS1_3repE0EEENS1_30default_config_static_selectorELNS0_4arch9wavefront6targetE1EEEvT1_,"axG",@progbits,_ZN7rocprim17ROCPRIM_400000_NS6detail17trampoline_kernelINS0_14default_configENS1_27scan_by_key_config_selectorIiiEEZZNS1_16scan_by_key_implILNS1_25lookback_scan_determinismE0ELb1ES3_N6thrust23THRUST_200600_302600_NS6detail15normal_iteratorINS9_10device_ptrIiEEEESE_SE_iNS9_4plusIvEENS9_8equal_toIvEEiEE10hipError_tPvRmT2_T3_T4_T5_mT6_T7_P12ihipStream_tbENKUlT_T0_E_clISt17integral_constantIbLb1EESY_IbLb0EEEEDaSU_SV_EUlSU_E_NS1_11comp_targetILNS1_3genE2ELNS1_11target_archE906ELNS1_3gpuE6ELNS1_3repE0EEENS1_30default_config_static_selectorELNS0_4arch9wavefront6targetE1EEEvT1_,comdat
	.protected	_ZN7rocprim17ROCPRIM_400000_NS6detail17trampoline_kernelINS0_14default_configENS1_27scan_by_key_config_selectorIiiEEZZNS1_16scan_by_key_implILNS1_25lookback_scan_determinismE0ELb1ES3_N6thrust23THRUST_200600_302600_NS6detail15normal_iteratorINS9_10device_ptrIiEEEESE_SE_iNS9_4plusIvEENS9_8equal_toIvEEiEE10hipError_tPvRmT2_T3_T4_T5_mT6_T7_P12ihipStream_tbENKUlT_T0_E_clISt17integral_constantIbLb1EESY_IbLb0EEEEDaSU_SV_EUlSU_E_NS1_11comp_targetILNS1_3genE2ELNS1_11target_archE906ELNS1_3gpuE6ELNS1_3repE0EEENS1_30default_config_static_selectorELNS0_4arch9wavefront6targetE1EEEvT1_ ; -- Begin function _ZN7rocprim17ROCPRIM_400000_NS6detail17trampoline_kernelINS0_14default_configENS1_27scan_by_key_config_selectorIiiEEZZNS1_16scan_by_key_implILNS1_25lookback_scan_determinismE0ELb1ES3_N6thrust23THRUST_200600_302600_NS6detail15normal_iteratorINS9_10device_ptrIiEEEESE_SE_iNS9_4plusIvEENS9_8equal_toIvEEiEE10hipError_tPvRmT2_T3_T4_T5_mT6_T7_P12ihipStream_tbENKUlT_T0_E_clISt17integral_constantIbLb1EESY_IbLb0EEEEDaSU_SV_EUlSU_E_NS1_11comp_targetILNS1_3genE2ELNS1_11target_archE906ELNS1_3gpuE6ELNS1_3repE0EEENS1_30default_config_static_selectorELNS0_4arch9wavefront6targetE1EEEvT1_
	.globl	_ZN7rocprim17ROCPRIM_400000_NS6detail17trampoline_kernelINS0_14default_configENS1_27scan_by_key_config_selectorIiiEEZZNS1_16scan_by_key_implILNS1_25lookback_scan_determinismE0ELb1ES3_N6thrust23THRUST_200600_302600_NS6detail15normal_iteratorINS9_10device_ptrIiEEEESE_SE_iNS9_4plusIvEENS9_8equal_toIvEEiEE10hipError_tPvRmT2_T3_T4_T5_mT6_T7_P12ihipStream_tbENKUlT_T0_E_clISt17integral_constantIbLb1EESY_IbLb0EEEEDaSU_SV_EUlSU_E_NS1_11comp_targetILNS1_3genE2ELNS1_11target_archE906ELNS1_3gpuE6ELNS1_3repE0EEENS1_30default_config_static_selectorELNS0_4arch9wavefront6targetE1EEEvT1_
	.p2align	8
	.type	_ZN7rocprim17ROCPRIM_400000_NS6detail17trampoline_kernelINS0_14default_configENS1_27scan_by_key_config_selectorIiiEEZZNS1_16scan_by_key_implILNS1_25lookback_scan_determinismE0ELb1ES3_N6thrust23THRUST_200600_302600_NS6detail15normal_iteratorINS9_10device_ptrIiEEEESE_SE_iNS9_4plusIvEENS9_8equal_toIvEEiEE10hipError_tPvRmT2_T3_T4_T5_mT6_T7_P12ihipStream_tbENKUlT_T0_E_clISt17integral_constantIbLb1EESY_IbLb0EEEEDaSU_SV_EUlSU_E_NS1_11comp_targetILNS1_3genE2ELNS1_11target_archE906ELNS1_3gpuE6ELNS1_3repE0EEENS1_30default_config_static_selectorELNS0_4arch9wavefront6targetE1EEEvT1_,@function
_ZN7rocprim17ROCPRIM_400000_NS6detail17trampoline_kernelINS0_14default_configENS1_27scan_by_key_config_selectorIiiEEZZNS1_16scan_by_key_implILNS1_25lookback_scan_determinismE0ELb1ES3_N6thrust23THRUST_200600_302600_NS6detail15normal_iteratorINS9_10device_ptrIiEEEESE_SE_iNS9_4plusIvEENS9_8equal_toIvEEiEE10hipError_tPvRmT2_T3_T4_T5_mT6_T7_P12ihipStream_tbENKUlT_T0_E_clISt17integral_constantIbLb1EESY_IbLb0EEEEDaSU_SV_EUlSU_E_NS1_11comp_targetILNS1_3genE2ELNS1_11target_archE906ELNS1_3gpuE6ELNS1_3repE0EEENS1_30default_config_static_selectorELNS0_4arch9wavefront6targetE1EEEvT1_: ; @_ZN7rocprim17ROCPRIM_400000_NS6detail17trampoline_kernelINS0_14default_configENS1_27scan_by_key_config_selectorIiiEEZZNS1_16scan_by_key_implILNS1_25lookback_scan_determinismE0ELb1ES3_N6thrust23THRUST_200600_302600_NS6detail15normal_iteratorINS9_10device_ptrIiEEEESE_SE_iNS9_4plusIvEENS9_8equal_toIvEEiEE10hipError_tPvRmT2_T3_T4_T5_mT6_T7_P12ihipStream_tbENKUlT_T0_E_clISt17integral_constantIbLb1EESY_IbLb0EEEEDaSU_SV_EUlSU_E_NS1_11comp_targetILNS1_3genE2ELNS1_11target_archE906ELNS1_3gpuE6ELNS1_3repE0EEENS1_30default_config_static_selectorELNS0_4arch9wavefront6targetE1EEEvT1_
; %bb.0:
	.section	.rodata,"a",@progbits
	.p2align	6, 0x0
	.amdhsa_kernel _ZN7rocprim17ROCPRIM_400000_NS6detail17trampoline_kernelINS0_14default_configENS1_27scan_by_key_config_selectorIiiEEZZNS1_16scan_by_key_implILNS1_25lookback_scan_determinismE0ELb1ES3_N6thrust23THRUST_200600_302600_NS6detail15normal_iteratorINS9_10device_ptrIiEEEESE_SE_iNS9_4plusIvEENS9_8equal_toIvEEiEE10hipError_tPvRmT2_T3_T4_T5_mT6_T7_P12ihipStream_tbENKUlT_T0_E_clISt17integral_constantIbLb1EESY_IbLb0EEEEDaSU_SV_EUlSU_E_NS1_11comp_targetILNS1_3genE2ELNS1_11target_archE906ELNS1_3gpuE6ELNS1_3repE0EEENS1_30default_config_static_selectorELNS0_4arch9wavefront6targetE1EEEvT1_
		.amdhsa_group_segment_fixed_size 0
		.amdhsa_private_segment_fixed_size 0
		.amdhsa_kernarg_size 112
		.amdhsa_user_sgpr_count 6
		.amdhsa_user_sgpr_private_segment_buffer 1
		.amdhsa_user_sgpr_dispatch_ptr 0
		.amdhsa_user_sgpr_queue_ptr 0
		.amdhsa_user_sgpr_kernarg_segment_ptr 1
		.amdhsa_user_sgpr_dispatch_id 0
		.amdhsa_user_sgpr_flat_scratch_init 0
		.amdhsa_user_sgpr_kernarg_preload_length 0
		.amdhsa_user_sgpr_kernarg_preload_offset 0
		.amdhsa_user_sgpr_private_segment_size 0
		.amdhsa_uses_dynamic_stack 0
		.amdhsa_system_sgpr_private_segment_wavefront_offset 0
		.amdhsa_system_sgpr_workgroup_id_x 1
		.amdhsa_system_sgpr_workgroup_id_y 0
		.amdhsa_system_sgpr_workgroup_id_z 0
		.amdhsa_system_sgpr_workgroup_info 0
		.amdhsa_system_vgpr_workitem_id 0
		.amdhsa_next_free_vgpr 1
		.amdhsa_next_free_sgpr 0
		.amdhsa_accum_offset 4
		.amdhsa_reserve_vcc 0
		.amdhsa_reserve_flat_scratch 0
		.amdhsa_float_round_mode_32 0
		.amdhsa_float_round_mode_16_64 0
		.amdhsa_float_denorm_mode_32 3
		.amdhsa_float_denorm_mode_16_64 3
		.amdhsa_dx10_clamp 1
		.amdhsa_ieee_mode 1
		.amdhsa_fp16_overflow 0
		.amdhsa_tg_split 0
		.amdhsa_exception_fp_ieee_invalid_op 0
		.amdhsa_exception_fp_denorm_src 0
		.amdhsa_exception_fp_ieee_div_zero 0
		.amdhsa_exception_fp_ieee_overflow 0
		.amdhsa_exception_fp_ieee_underflow 0
		.amdhsa_exception_fp_ieee_inexact 0
		.amdhsa_exception_int_div_zero 0
	.end_amdhsa_kernel
	.section	.text._ZN7rocprim17ROCPRIM_400000_NS6detail17trampoline_kernelINS0_14default_configENS1_27scan_by_key_config_selectorIiiEEZZNS1_16scan_by_key_implILNS1_25lookback_scan_determinismE0ELb1ES3_N6thrust23THRUST_200600_302600_NS6detail15normal_iteratorINS9_10device_ptrIiEEEESE_SE_iNS9_4plusIvEENS9_8equal_toIvEEiEE10hipError_tPvRmT2_T3_T4_T5_mT6_T7_P12ihipStream_tbENKUlT_T0_E_clISt17integral_constantIbLb1EESY_IbLb0EEEEDaSU_SV_EUlSU_E_NS1_11comp_targetILNS1_3genE2ELNS1_11target_archE906ELNS1_3gpuE6ELNS1_3repE0EEENS1_30default_config_static_selectorELNS0_4arch9wavefront6targetE1EEEvT1_,"axG",@progbits,_ZN7rocprim17ROCPRIM_400000_NS6detail17trampoline_kernelINS0_14default_configENS1_27scan_by_key_config_selectorIiiEEZZNS1_16scan_by_key_implILNS1_25lookback_scan_determinismE0ELb1ES3_N6thrust23THRUST_200600_302600_NS6detail15normal_iteratorINS9_10device_ptrIiEEEESE_SE_iNS9_4plusIvEENS9_8equal_toIvEEiEE10hipError_tPvRmT2_T3_T4_T5_mT6_T7_P12ihipStream_tbENKUlT_T0_E_clISt17integral_constantIbLb1EESY_IbLb0EEEEDaSU_SV_EUlSU_E_NS1_11comp_targetILNS1_3genE2ELNS1_11target_archE906ELNS1_3gpuE6ELNS1_3repE0EEENS1_30default_config_static_selectorELNS0_4arch9wavefront6targetE1EEEvT1_,comdat
.Lfunc_end104:
	.size	_ZN7rocprim17ROCPRIM_400000_NS6detail17trampoline_kernelINS0_14default_configENS1_27scan_by_key_config_selectorIiiEEZZNS1_16scan_by_key_implILNS1_25lookback_scan_determinismE0ELb1ES3_N6thrust23THRUST_200600_302600_NS6detail15normal_iteratorINS9_10device_ptrIiEEEESE_SE_iNS9_4plusIvEENS9_8equal_toIvEEiEE10hipError_tPvRmT2_T3_T4_T5_mT6_T7_P12ihipStream_tbENKUlT_T0_E_clISt17integral_constantIbLb1EESY_IbLb0EEEEDaSU_SV_EUlSU_E_NS1_11comp_targetILNS1_3genE2ELNS1_11target_archE906ELNS1_3gpuE6ELNS1_3repE0EEENS1_30default_config_static_selectorELNS0_4arch9wavefront6targetE1EEEvT1_, .Lfunc_end104-_ZN7rocprim17ROCPRIM_400000_NS6detail17trampoline_kernelINS0_14default_configENS1_27scan_by_key_config_selectorIiiEEZZNS1_16scan_by_key_implILNS1_25lookback_scan_determinismE0ELb1ES3_N6thrust23THRUST_200600_302600_NS6detail15normal_iteratorINS9_10device_ptrIiEEEESE_SE_iNS9_4plusIvEENS9_8equal_toIvEEiEE10hipError_tPvRmT2_T3_T4_T5_mT6_T7_P12ihipStream_tbENKUlT_T0_E_clISt17integral_constantIbLb1EESY_IbLb0EEEEDaSU_SV_EUlSU_E_NS1_11comp_targetILNS1_3genE2ELNS1_11target_archE906ELNS1_3gpuE6ELNS1_3repE0EEENS1_30default_config_static_selectorELNS0_4arch9wavefront6targetE1EEEvT1_
                                        ; -- End function
	.section	.AMDGPU.csdata,"",@progbits
; Kernel info:
; codeLenInByte = 0
; NumSgprs: 4
; NumVgprs: 0
; NumAgprs: 0
; TotalNumVgprs: 0
; ScratchSize: 0
; MemoryBound: 0
; FloatMode: 240
; IeeeMode: 1
; LDSByteSize: 0 bytes/workgroup (compile time only)
; SGPRBlocks: 0
; VGPRBlocks: 0
; NumSGPRsForWavesPerEU: 4
; NumVGPRsForWavesPerEU: 1
; AccumOffset: 4
; Occupancy: 8
; WaveLimiterHint : 0
; COMPUTE_PGM_RSRC2:SCRATCH_EN: 0
; COMPUTE_PGM_RSRC2:USER_SGPR: 6
; COMPUTE_PGM_RSRC2:TRAP_HANDLER: 0
; COMPUTE_PGM_RSRC2:TGID_X_EN: 1
; COMPUTE_PGM_RSRC2:TGID_Y_EN: 0
; COMPUTE_PGM_RSRC2:TGID_Z_EN: 0
; COMPUTE_PGM_RSRC2:TIDIG_COMP_CNT: 0
; COMPUTE_PGM_RSRC3_GFX90A:ACCUM_OFFSET: 0
; COMPUTE_PGM_RSRC3_GFX90A:TG_SPLIT: 0
	.section	.text._ZN7rocprim17ROCPRIM_400000_NS6detail17trampoline_kernelINS0_14default_configENS1_27scan_by_key_config_selectorIiiEEZZNS1_16scan_by_key_implILNS1_25lookback_scan_determinismE0ELb1ES3_N6thrust23THRUST_200600_302600_NS6detail15normal_iteratorINS9_10device_ptrIiEEEESE_SE_iNS9_4plusIvEENS9_8equal_toIvEEiEE10hipError_tPvRmT2_T3_T4_T5_mT6_T7_P12ihipStream_tbENKUlT_T0_E_clISt17integral_constantIbLb1EESY_IbLb0EEEEDaSU_SV_EUlSU_E_NS1_11comp_targetILNS1_3genE10ELNS1_11target_archE1200ELNS1_3gpuE4ELNS1_3repE0EEENS1_30default_config_static_selectorELNS0_4arch9wavefront6targetE1EEEvT1_,"axG",@progbits,_ZN7rocprim17ROCPRIM_400000_NS6detail17trampoline_kernelINS0_14default_configENS1_27scan_by_key_config_selectorIiiEEZZNS1_16scan_by_key_implILNS1_25lookback_scan_determinismE0ELb1ES3_N6thrust23THRUST_200600_302600_NS6detail15normal_iteratorINS9_10device_ptrIiEEEESE_SE_iNS9_4plusIvEENS9_8equal_toIvEEiEE10hipError_tPvRmT2_T3_T4_T5_mT6_T7_P12ihipStream_tbENKUlT_T0_E_clISt17integral_constantIbLb1EESY_IbLb0EEEEDaSU_SV_EUlSU_E_NS1_11comp_targetILNS1_3genE10ELNS1_11target_archE1200ELNS1_3gpuE4ELNS1_3repE0EEENS1_30default_config_static_selectorELNS0_4arch9wavefront6targetE1EEEvT1_,comdat
	.protected	_ZN7rocprim17ROCPRIM_400000_NS6detail17trampoline_kernelINS0_14default_configENS1_27scan_by_key_config_selectorIiiEEZZNS1_16scan_by_key_implILNS1_25lookback_scan_determinismE0ELb1ES3_N6thrust23THRUST_200600_302600_NS6detail15normal_iteratorINS9_10device_ptrIiEEEESE_SE_iNS9_4plusIvEENS9_8equal_toIvEEiEE10hipError_tPvRmT2_T3_T4_T5_mT6_T7_P12ihipStream_tbENKUlT_T0_E_clISt17integral_constantIbLb1EESY_IbLb0EEEEDaSU_SV_EUlSU_E_NS1_11comp_targetILNS1_3genE10ELNS1_11target_archE1200ELNS1_3gpuE4ELNS1_3repE0EEENS1_30default_config_static_selectorELNS0_4arch9wavefront6targetE1EEEvT1_ ; -- Begin function _ZN7rocprim17ROCPRIM_400000_NS6detail17trampoline_kernelINS0_14default_configENS1_27scan_by_key_config_selectorIiiEEZZNS1_16scan_by_key_implILNS1_25lookback_scan_determinismE0ELb1ES3_N6thrust23THRUST_200600_302600_NS6detail15normal_iteratorINS9_10device_ptrIiEEEESE_SE_iNS9_4plusIvEENS9_8equal_toIvEEiEE10hipError_tPvRmT2_T3_T4_T5_mT6_T7_P12ihipStream_tbENKUlT_T0_E_clISt17integral_constantIbLb1EESY_IbLb0EEEEDaSU_SV_EUlSU_E_NS1_11comp_targetILNS1_3genE10ELNS1_11target_archE1200ELNS1_3gpuE4ELNS1_3repE0EEENS1_30default_config_static_selectorELNS0_4arch9wavefront6targetE1EEEvT1_
	.globl	_ZN7rocprim17ROCPRIM_400000_NS6detail17trampoline_kernelINS0_14default_configENS1_27scan_by_key_config_selectorIiiEEZZNS1_16scan_by_key_implILNS1_25lookback_scan_determinismE0ELb1ES3_N6thrust23THRUST_200600_302600_NS6detail15normal_iteratorINS9_10device_ptrIiEEEESE_SE_iNS9_4plusIvEENS9_8equal_toIvEEiEE10hipError_tPvRmT2_T3_T4_T5_mT6_T7_P12ihipStream_tbENKUlT_T0_E_clISt17integral_constantIbLb1EESY_IbLb0EEEEDaSU_SV_EUlSU_E_NS1_11comp_targetILNS1_3genE10ELNS1_11target_archE1200ELNS1_3gpuE4ELNS1_3repE0EEENS1_30default_config_static_selectorELNS0_4arch9wavefront6targetE1EEEvT1_
	.p2align	8
	.type	_ZN7rocprim17ROCPRIM_400000_NS6detail17trampoline_kernelINS0_14default_configENS1_27scan_by_key_config_selectorIiiEEZZNS1_16scan_by_key_implILNS1_25lookback_scan_determinismE0ELb1ES3_N6thrust23THRUST_200600_302600_NS6detail15normal_iteratorINS9_10device_ptrIiEEEESE_SE_iNS9_4plusIvEENS9_8equal_toIvEEiEE10hipError_tPvRmT2_T3_T4_T5_mT6_T7_P12ihipStream_tbENKUlT_T0_E_clISt17integral_constantIbLb1EESY_IbLb0EEEEDaSU_SV_EUlSU_E_NS1_11comp_targetILNS1_3genE10ELNS1_11target_archE1200ELNS1_3gpuE4ELNS1_3repE0EEENS1_30default_config_static_selectorELNS0_4arch9wavefront6targetE1EEEvT1_,@function
_ZN7rocprim17ROCPRIM_400000_NS6detail17trampoline_kernelINS0_14default_configENS1_27scan_by_key_config_selectorIiiEEZZNS1_16scan_by_key_implILNS1_25lookback_scan_determinismE0ELb1ES3_N6thrust23THRUST_200600_302600_NS6detail15normal_iteratorINS9_10device_ptrIiEEEESE_SE_iNS9_4plusIvEENS9_8equal_toIvEEiEE10hipError_tPvRmT2_T3_T4_T5_mT6_T7_P12ihipStream_tbENKUlT_T0_E_clISt17integral_constantIbLb1EESY_IbLb0EEEEDaSU_SV_EUlSU_E_NS1_11comp_targetILNS1_3genE10ELNS1_11target_archE1200ELNS1_3gpuE4ELNS1_3repE0EEENS1_30default_config_static_selectorELNS0_4arch9wavefront6targetE1EEEvT1_: ; @_ZN7rocprim17ROCPRIM_400000_NS6detail17trampoline_kernelINS0_14default_configENS1_27scan_by_key_config_selectorIiiEEZZNS1_16scan_by_key_implILNS1_25lookback_scan_determinismE0ELb1ES3_N6thrust23THRUST_200600_302600_NS6detail15normal_iteratorINS9_10device_ptrIiEEEESE_SE_iNS9_4plusIvEENS9_8equal_toIvEEiEE10hipError_tPvRmT2_T3_T4_T5_mT6_T7_P12ihipStream_tbENKUlT_T0_E_clISt17integral_constantIbLb1EESY_IbLb0EEEEDaSU_SV_EUlSU_E_NS1_11comp_targetILNS1_3genE10ELNS1_11target_archE1200ELNS1_3gpuE4ELNS1_3repE0EEENS1_30default_config_static_selectorELNS0_4arch9wavefront6targetE1EEEvT1_
; %bb.0:
	.section	.rodata,"a",@progbits
	.p2align	6, 0x0
	.amdhsa_kernel _ZN7rocprim17ROCPRIM_400000_NS6detail17trampoline_kernelINS0_14default_configENS1_27scan_by_key_config_selectorIiiEEZZNS1_16scan_by_key_implILNS1_25lookback_scan_determinismE0ELb1ES3_N6thrust23THRUST_200600_302600_NS6detail15normal_iteratorINS9_10device_ptrIiEEEESE_SE_iNS9_4plusIvEENS9_8equal_toIvEEiEE10hipError_tPvRmT2_T3_T4_T5_mT6_T7_P12ihipStream_tbENKUlT_T0_E_clISt17integral_constantIbLb1EESY_IbLb0EEEEDaSU_SV_EUlSU_E_NS1_11comp_targetILNS1_3genE10ELNS1_11target_archE1200ELNS1_3gpuE4ELNS1_3repE0EEENS1_30default_config_static_selectorELNS0_4arch9wavefront6targetE1EEEvT1_
		.amdhsa_group_segment_fixed_size 0
		.amdhsa_private_segment_fixed_size 0
		.amdhsa_kernarg_size 112
		.amdhsa_user_sgpr_count 6
		.amdhsa_user_sgpr_private_segment_buffer 1
		.amdhsa_user_sgpr_dispatch_ptr 0
		.amdhsa_user_sgpr_queue_ptr 0
		.amdhsa_user_sgpr_kernarg_segment_ptr 1
		.amdhsa_user_sgpr_dispatch_id 0
		.amdhsa_user_sgpr_flat_scratch_init 0
		.amdhsa_user_sgpr_kernarg_preload_length 0
		.amdhsa_user_sgpr_kernarg_preload_offset 0
		.amdhsa_user_sgpr_private_segment_size 0
		.amdhsa_uses_dynamic_stack 0
		.amdhsa_system_sgpr_private_segment_wavefront_offset 0
		.amdhsa_system_sgpr_workgroup_id_x 1
		.amdhsa_system_sgpr_workgroup_id_y 0
		.amdhsa_system_sgpr_workgroup_id_z 0
		.amdhsa_system_sgpr_workgroup_info 0
		.amdhsa_system_vgpr_workitem_id 0
		.amdhsa_next_free_vgpr 1
		.amdhsa_next_free_sgpr 0
		.amdhsa_accum_offset 4
		.amdhsa_reserve_vcc 0
		.amdhsa_reserve_flat_scratch 0
		.amdhsa_float_round_mode_32 0
		.amdhsa_float_round_mode_16_64 0
		.amdhsa_float_denorm_mode_32 3
		.amdhsa_float_denorm_mode_16_64 3
		.amdhsa_dx10_clamp 1
		.amdhsa_ieee_mode 1
		.amdhsa_fp16_overflow 0
		.amdhsa_tg_split 0
		.amdhsa_exception_fp_ieee_invalid_op 0
		.amdhsa_exception_fp_denorm_src 0
		.amdhsa_exception_fp_ieee_div_zero 0
		.amdhsa_exception_fp_ieee_overflow 0
		.amdhsa_exception_fp_ieee_underflow 0
		.amdhsa_exception_fp_ieee_inexact 0
		.amdhsa_exception_int_div_zero 0
	.end_amdhsa_kernel
	.section	.text._ZN7rocprim17ROCPRIM_400000_NS6detail17trampoline_kernelINS0_14default_configENS1_27scan_by_key_config_selectorIiiEEZZNS1_16scan_by_key_implILNS1_25lookback_scan_determinismE0ELb1ES3_N6thrust23THRUST_200600_302600_NS6detail15normal_iteratorINS9_10device_ptrIiEEEESE_SE_iNS9_4plusIvEENS9_8equal_toIvEEiEE10hipError_tPvRmT2_T3_T4_T5_mT6_T7_P12ihipStream_tbENKUlT_T0_E_clISt17integral_constantIbLb1EESY_IbLb0EEEEDaSU_SV_EUlSU_E_NS1_11comp_targetILNS1_3genE10ELNS1_11target_archE1200ELNS1_3gpuE4ELNS1_3repE0EEENS1_30default_config_static_selectorELNS0_4arch9wavefront6targetE1EEEvT1_,"axG",@progbits,_ZN7rocprim17ROCPRIM_400000_NS6detail17trampoline_kernelINS0_14default_configENS1_27scan_by_key_config_selectorIiiEEZZNS1_16scan_by_key_implILNS1_25lookback_scan_determinismE0ELb1ES3_N6thrust23THRUST_200600_302600_NS6detail15normal_iteratorINS9_10device_ptrIiEEEESE_SE_iNS9_4plusIvEENS9_8equal_toIvEEiEE10hipError_tPvRmT2_T3_T4_T5_mT6_T7_P12ihipStream_tbENKUlT_T0_E_clISt17integral_constantIbLb1EESY_IbLb0EEEEDaSU_SV_EUlSU_E_NS1_11comp_targetILNS1_3genE10ELNS1_11target_archE1200ELNS1_3gpuE4ELNS1_3repE0EEENS1_30default_config_static_selectorELNS0_4arch9wavefront6targetE1EEEvT1_,comdat
.Lfunc_end105:
	.size	_ZN7rocprim17ROCPRIM_400000_NS6detail17trampoline_kernelINS0_14default_configENS1_27scan_by_key_config_selectorIiiEEZZNS1_16scan_by_key_implILNS1_25lookback_scan_determinismE0ELb1ES3_N6thrust23THRUST_200600_302600_NS6detail15normal_iteratorINS9_10device_ptrIiEEEESE_SE_iNS9_4plusIvEENS9_8equal_toIvEEiEE10hipError_tPvRmT2_T3_T4_T5_mT6_T7_P12ihipStream_tbENKUlT_T0_E_clISt17integral_constantIbLb1EESY_IbLb0EEEEDaSU_SV_EUlSU_E_NS1_11comp_targetILNS1_3genE10ELNS1_11target_archE1200ELNS1_3gpuE4ELNS1_3repE0EEENS1_30default_config_static_selectorELNS0_4arch9wavefront6targetE1EEEvT1_, .Lfunc_end105-_ZN7rocprim17ROCPRIM_400000_NS6detail17trampoline_kernelINS0_14default_configENS1_27scan_by_key_config_selectorIiiEEZZNS1_16scan_by_key_implILNS1_25lookback_scan_determinismE0ELb1ES3_N6thrust23THRUST_200600_302600_NS6detail15normal_iteratorINS9_10device_ptrIiEEEESE_SE_iNS9_4plusIvEENS9_8equal_toIvEEiEE10hipError_tPvRmT2_T3_T4_T5_mT6_T7_P12ihipStream_tbENKUlT_T0_E_clISt17integral_constantIbLb1EESY_IbLb0EEEEDaSU_SV_EUlSU_E_NS1_11comp_targetILNS1_3genE10ELNS1_11target_archE1200ELNS1_3gpuE4ELNS1_3repE0EEENS1_30default_config_static_selectorELNS0_4arch9wavefront6targetE1EEEvT1_
                                        ; -- End function
	.section	.AMDGPU.csdata,"",@progbits
; Kernel info:
; codeLenInByte = 0
; NumSgprs: 4
; NumVgprs: 0
; NumAgprs: 0
; TotalNumVgprs: 0
; ScratchSize: 0
; MemoryBound: 0
; FloatMode: 240
; IeeeMode: 1
; LDSByteSize: 0 bytes/workgroup (compile time only)
; SGPRBlocks: 0
; VGPRBlocks: 0
; NumSGPRsForWavesPerEU: 4
; NumVGPRsForWavesPerEU: 1
; AccumOffset: 4
; Occupancy: 8
; WaveLimiterHint : 0
; COMPUTE_PGM_RSRC2:SCRATCH_EN: 0
; COMPUTE_PGM_RSRC2:USER_SGPR: 6
; COMPUTE_PGM_RSRC2:TRAP_HANDLER: 0
; COMPUTE_PGM_RSRC2:TGID_X_EN: 1
; COMPUTE_PGM_RSRC2:TGID_Y_EN: 0
; COMPUTE_PGM_RSRC2:TGID_Z_EN: 0
; COMPUTE_PGM_RSRC2:TIDIG_COMP_CNT: 0
; COMPUTE_PGM_RSRC3_GFX90A:ACCUM_OFFSET: 0
; COMPUTE_PGM_RSRC3_GFX90A:TG_SPLIT: 0
	.section	.text._ZN7rocprim17ROCPRIM_400000_NS6detail17trampoline_kernelINS0_14default_configENS1_27scan_by_key_config_selectorIiiEEZZNS1_16scan_by_key_implILNS1_25lookback_scan_determinismE0ELb1ES3_N6thrust23THRUST_200600_302600_NS6detail15normal_iteratorINS9_10device_ptrIiEEEESE_SE_iNS9_4plusIvEENS9_8equal_toIvEEiEE10hipError_tPvRmT2_T3_T4_T5_mT6_T7_P12ihipStream_tbENKUlT_T0_E_clISt17integral_constantIbLb1EESY_IbLb0EEEEDaSU_SV_EUlSU_E_NS1_11comp_targetILNS1_3genE9ELNS1_11target_archE1100ELNS1_3gpuE3ELNS1_3repE0EEENS1_30default_config_static_selectorELNS0_4arch9wavefront6targetE1EEEvT1_,"axG",@progbits,_ZN7rocprim17ROCPRIM_400000_NS6detail17trampoline_kernelINS0_14default_configENS1_27scan_by_key_config_selectorIiiEEZZNS1_16scan_by_key_implILNS1_25lookback_scan_determinismE0ELb1ES3_N6thrust23THRUST_200600_302600_NS6detail15normal_iteratorINS9_10device_ptrIiEEEESE_SE_iNS9_4plusIvEENS9_8equal_toIvEEiEE10hipError_tPvRmT2_T3_T4_T5_mT6_T7_P12ihipStream_tbENKUlT_T0_E_clISt17integral_constantIbLb1EESY_IbLb0EEEEDaSU_SV_EUlSU_E_NS1_11comp_targetILNS1_3genE9ELNS1_11target_archE1100ELNS1_3gpuE3ELNS1_3repE0EEENS1_30default_config_static_selectorELNS0_4arch9wavefront6targetE1EEEvT1_,comdat
	.protected	_ZN7rocprim17ROCPRIM_400000_NS6detail17trampoline_kernelINS0_14default_configENS1_27scan_by_key_config_selectorIiiEEZZNS1_16scan_by_key_implILNS1_25lookback_scan_determinismE0ELb1ES3_N6thrust23THRUST_200600_302600_NS6detail15normal_iteratorINS9_10device_ptrIiEEEESE_SE_iNS9_4plusIvEENS9_8equal_toIvEEiEE10hipError_tPvRmT2_T3_T4_T5_mT6_T7_P12ihipStream_tbENKUlT_T0_E_clISt17integral_constantIbLb1EESY_IbLb0EEEEDaSU_SV_EUlSU_E_NS1_11comp_targetILNS1_3genE9ELNS1_11target_archE1100ELNS1_3gpuE3ELNS1_3repE0EEENS1_30default_config_static_selectorELNS0_4arch9wavefront6targetE1EEEvT1_ ; -- Begin function _ZN7rocprim17ROCPRIM_400000_NS6detail17trampoline_kernelINS0_14default_configENS1_27scan_by_key_config_selectorIiiEEZZNS1_16scan_by_key_implILNS1_25lookback_scan_determinismE0ELb1ES3_N6thrust23THRUST_200600_302600_NS6detail15normal_iteratorINS9_10device_ptrIiEEEESE_SE_iNS9_4plusIvEENS9_8equal_toIvEEiEE10hipError_tPvRmT2_T3_T4_T5_mT6_T7_P12ihipStream_tbENKUlT_T0_E_clISt17integral_constantIbLb1EESY_IbLb0EEEEDaSU_SV_EUlSU_E_NS1_11comp_targetILNS1_3genE9ELNS1_11target_archE1100ELNS1_3gpuE3ELNS1_3repE0EEENS1_30default_config_static_selectorELNS0_4arch9wavefront6targetE1EEEvT1_
	.globl	_ZN7rocprim17ROCPRIM_400000_NS6detail17trampoline_kernelINS0_14default_configENS1_27scan_by_key_config_selectorIiiEEZZNS1_16scan_by_key_implILNS1_25lookback_scan_determinismE0ELb1ES3_N6thrust23THRUST_200600_302600_NS6detail15normal_iteratorINS9_10device_ptrIiEEEESE_SE_iNS9_4plusIvEENS9_8equal_toIvEEiEE10hipError_tPvRmT2_T3_T4_T5_mT6_T7_P12ihipStream_tbENKUlT_T0_E_clISt17integral_constantIbLb1EESY_IbLb0EEEEDaSU_SV_EUlSU_E_NS1_11comp_targetILNS1_3genE9ELNS1_11target_archE1100ELNS1_3gpuE3ELNS1_3repE0EEENS1_30default_config_static_selectorELNS0_4arch9wavefront6targetE1EEEvT1_
	.p2align	8
	.type	_ZN7rocprim17ROCPRIM_400000_NS6detail17trampoline_kernelINS0_14default_configENS1_27scan_by_key_config_selectorIiiEEZZNS1_16scan_by_key_implILNS1_25lookback_scan_determinismE0ELb1ES3_N6thrust23THRUST_200600_302600_NS6detail15normal_iteratorINS9_10device_ptrIiEEEESE_SE_iNS9_4plusIvEENS9_8equal_toIvEEiEE10hipError_tPvRmT2_T3_T4_T5_mT6_T7_P12ihipStream_tbENKUlT_T0_E_clISt17integral_constantIbLb1EESY_IbLb0EEEEDaSU_SV_EUlSU_E_NS1_11comp_targetILNS1_3genE9ELNS1_11target_archE1100ELNS1_3gpuE3ELNS1_3repE0EEENS1_30default_config_static_selectorELNS0_4arch9wavefront6targetE1EEEvT1_,@function
_ZN7rocprim17ROCPRIM_400000_NS6detail17trampoline_kernelINS0_14default_configENS1_27scan_by_key_config_selectorIiiEEZZNS1_16scan_by_key_implILNS1_25lookback_scan_determinismE0ELb1ES3_N6thrust23THRUST_200600_302600_NS6detail15normal_iteratorINS9_10device_ptrIiEEEESE_SE_iNS9_4plusIvEENS9_8equal_toIvEEiEE10hipError_tPvRmT2_T3_T4_T5_mT6_T7_P12ihipStream_tbENKUlT_T0_E_clISt17integral_constantIbLb1EESY_IbLb0EEEEDaSU_SV_EUlSU_E_NS1_11comp_targetILNS1_3genE9ELNS1_11target_archE1100ELNS1_3gpuE3ELNS1_3repE0EEENS1_30default_config_static_selectorELNS0_4arch9wavefront6targetE1EEEvT1_: ; @_ZN7rocprim17ROCPRIM_400000_NS6detail17trampoline_kernelINS0_14default_configENS1_27scan_by_key_config_selectorIiiEEZZNS1_16scan_by_key_implILNS1_25lookback_scan_determinismE0ELb1ES3_N6thrust23THRUST_200600_302600_NS6detail15normal_iteratorINS9_10device_ptrIiEEEESE_SE_iNS9_4plusIvEENS9_8equal_toIvEEiEE10hipError_tPvRmT2_T3_T4_T5_mT6_T7_P12ihipStream_tbENKUlT_T0_E_clISt17integral_constantIbLb1EESY_IbLb0EEEEDaSU_SV_EUlSU_E_NS1_11comp_targetILNS1_3genE9ELNS1_11target_archE1100ELNS1_3gpuE3ELNS1_3repE0EEENS1_30default_config_static_selectorELNS0_4arch9wavefront6targetE1EEEvT1_
; %bb.0:
	.section	.rodata,"a",@progbits
	.p2align	6, 0x0
	.amdhsa_kernel _ZN7rocprim17ROCPRIM_400000_NS6detail17trampoline_kernelINS0_14default_configENS1_27scan_by_key_config_selectorIiiEEZZNS1_16scan_by_key_implILNS1_25lookback_scan_determinismE0ELb1ES3_N6thrust23THRUST_200600_302600_NS6detail15normal_iteratorINS9_10device_ptrIiEEEESE_SE_iNS9_4plusIvEENS9_8equal_toIvEEiEE10hipError_tPvRmT2_T3_T4_T5_mT6_T7_P12ihipStream_tbENKUlT_T0_E_clISt17integral_constantIbLb1EESY_IbLb0EEEEDaSU_SV_EUlSU_E_NS1_11comp_targetILNS1_3genE9ELNS1_11target_archE1100ELNS1_3gpuE3ELNS1_3repE0EEENS1_30default_config_static_selectorELNS0_4arch9wavefront6targetE1EEEvT1_
		.amdhsa_group_segment_fixed_size 0
		.amdhsa_private_segment_fixed_size 0
		.amdhsa_kernarg_size 112
		.amdhsa_user_sgpr_count 6
		.amdhsa_user_sgpr_private_segment_buffer 1
		.amdhsa_user_sgpr_dispatch_ptr 0
		.amdhsa_user_sgpr_queue_ptr 0
		.amdhsa_user_sgpr_kernarg_segment_ptr 1
		.amdhsa_user_sgpr_dispatch_id 0
		.amdhsa_user_sgpr_flat_scratch_init 0
		.amdhsa_user_sgpr_kernarg_preload_length 0
		.amdhsa_user_sgpr_kernarg_preload_offset 0
		.amdhsa_user_sgpr_private_segment_size 0
		.amdhsa_uses_dynamic_stack 0
		.amdhsa_system_sgpr_private_segment_wavefront_offset 0
		.amdhsa_system_sgpr_workgroup_id_x 1
		.amdhsa_system_sgpr_workgroup_id_y 0
		.amdhsa_system_sgpr_workgroup_id_z 0
		.amdhsa_system_sgpr_workgroup_info 0
		.amdhsa_system_vgpr_workitem_id 0
		.amdhsa_next_free_vgpr 1
		.amdhsa_next_free_sgpr 0
		.amdhsa_accum_offset 4
		.amdhsa_reserve_vcc 0
		.amdhsa_reserve_flat_scratch 0
		.amdhsa_float_round_mode_32 0
		.amdhsa_float_round_mode_16_64 0
		.amdhsa_float_denorm_mode_32 3
		.amdhsa_float_denorm_mode_16_64 3
		.amdhsa_dx10_clamp 1
		.amdhsa_ieee_mode 1
		.amdhsa_fp16_overflow 0
		.amdhsa_tg_split 0
		.amdhsa_exception_fp_ieee_invalid_op 0
		.amdhsa_exception_fp_denorm_src 0
		.amdhsa_exception_fp_ieee_div_zero 0
		.amdhsa_exception_fp_ieee_overflow 0
		.amdhsa_exception_fp_ieee_underflow 0
		.amdhsa_exception_fp_ieee_inexact 0
		.amdhsa_exception_int_div_zero 0
	.end_amdhsa_kernel
	.section	.text._ZN7rocprim17ROCPRIM_400000_NS6detail17trampoline_kernelINS0_14default_configENS1_27scan_by_key_config_selectorIiiEEZZNS1_16scan_by_key_implILNS1_25lookback_scan_determinismE0ELb1ES3_N6thrust23THRUST_200600_302600_NS6detail15normal_iteratorINS9_10device_ptrIiEEEESE_SE_iNS9_4plusIvEENS9_8equal_toIvEEiEE10hipError_tPvRmT2_T3_T4_T5_mT6_T7_P12ihipStream_tbENKUlT_T0_E_clISt17integral_constantIbLb1EESY_IbLb0EEEEDaSU_SV_EUlSU_E_NS1_11comp_targetILNS1_3genE9ELNS1_11target_archE1100ELNS1_3gpuE3ELNS1_3repE0EEENS1_30default_config_static_selectorELNS0_4arch9wavefront6targetE1EEEvT1_,"axG",@progbits,_ZN7rocprim17ROCPRIM_400000_NS6detail17trampoline_kernelINS0_14default_configENS1_27scan_by_key_config_selectorIiiEEZZNS1_16scan_by_key_implILNS1_25lookback_scan_determinismE0ELb1ES3_N6thrust23THRUST_200600_302600_NS6detail15normal_iteratorINS9_10device_ptrIiEEEESE_SE_iNS9_4plusIvEENS9_8equal_toIvEEiEE10hipError_tPvRmT2_T3_T4_T5_mT6_T7_P12ihipStream_tbENKUlT_T0_E_clISt17integral_constantIbLb1EESY_IbLb0EEEEDaSU_SV_EUlSU_E_NS1_11comp_targetILNS1_3genE9ELNS1_11target_archE1100ELNS1_3gpuE3ELNS1_3repE0EEENS1_30default_config_static_selectorELNS0_4arch9wavefront6targetE1EEEvT1_,comdat
.Lfunc_end106:
	.size	_ZN7rocprim17ROCPRIM_400000_NS6detail17trampoline_kernelINS0_14default_configENS1_27scan_by_key_config_selectorIiiEEZZNS1_16scan_by_key_implILNS1_25lookback_scan_determinismE0ELb1ES3_N6thrust23THRUST_200600_302600_NS6detail15normal_iteratorINS9_10device_ptrIiEEEESE_SE_iNS9_4plusIvEENS9_8equal_toIvEEiEE10hipError_tPvRmT2_T3_T4_T5_mT6_T7_P12ihipStream_tbENKUlT_T0_E_clISt17integral_constantIbLb1EESY_IbLb0EEEEDaSU_SV_EUlSU_E_NS1_11comp_targetILNS1_3genE9ELNS1_11target_archE1100ELNS1_3gpuE3ELNS1_3repE0EEENS1_30default_config_static_selectorELNS0_4arch9wavefront6targetE1EEEvT1_, .Lfunc_end106-_ZN7rocprim17ROCPRIM_400000_NS6detail17trampoline_kernelINS0_14default_configENS1_27scan_by_key_config_selectorIiiEEZZNS1_16scan_by_key_implILNS1_25lookback_scan_determinismE0ELb1ES3_N6thrust23THRUST_200600_302600_NS6detail15normal_iteratorINS9_10device_ptrIiEEEESE_SE_iNS9_4plusIvEENS9_8equal_toIvEEiEE10hipError_tPvRmT2_T3_T4_T5_mT6_T7_P12ihipStream_tbENKUlT_T0_E_clISt17integral_constantIbLb1EESY_IbLb0EEEEDaSU_SV_EUlSU_E_NS1_11comp_targetILNS1_3genE9ELNS1_11target_archE1100ELNS1_3gpuE3ELNS1_3repE0EEENS1_30default_config_static_selectorELNS0_4arch9wavefront6targetE1EEEvT1_
                                        ; -- End function
	.section	.AMDGPU.csdata,"",@progbits
; Kernel info:
; codeLenInByte = 0
; NumSgprs: 4
; NumVgprs: 0
; NumAgprs: 0
; TotalNumVgprs: 0
; ScratchSize: 0
; MemoryBound: 0
; FloatMode: 240
; IeeeMode: 1
; LDSByteSize: 0 bytes/workgroup (compile time only)
; SGPRBlocks: 0
; VGPRBlocks: 0
; NumSGPRsForWavesPerEU: 4
; NumVGPRsForWavesPerEU: 1
; AccumOffset: 4
; Occupancy: 8
; WaveLimiterHint : 0
; COMPUTE_PGM_RSRC2:SCRATCH_EN: 0
; COMPUTE_PGM_RSRC2:USER_SGPR: 6
; COMPUTE_PGM_RSRC2:TRAP_HANDLER: 0
; COMPUTE_PGM_RSRC2:TGID_X_EN: 1
; COMPUTE_PGM_RSRC2:TGID_Y_EN: 0
; COMPUTE_PGM_RSRC2:TGID_Z_EN: 0
; COMPUTE_PGM_RSRC2:TIDIG_COMP_CNT: 0
; COMPUTE_PGM_RSRC3_GFX90A:ACCUM_OFFSET: 0
; COMPUTE_PGM_RSRC3_GFX90A:TG_SPLIT: 0
	.section	.text._ZN7rocprim17ROCPRIM_400000_NS6detail17trampoline_kernelINS0_14default_configENS1_27scan_by_key_config_selectorIiiEEZZNS1_16scan_by_key_implILNS1_25lookback_scan_determinismE0ELb1ES3_N6thrust23THRUST_200600_302600_NS6detail15normal_iteratorINS9_10device_ptrIiEEEESE_SE_iNS9_4plusIvEENS9_8equal_toIvEEiEE10hipError_tPvRmT2_T3_T4_T5_mT6_T7_P12ihipStream_tbENKUlT_T0_E_clISt17integral_constantIbLb1EESY_IbLb0EEEEDaSU_SV_EUlSU_E_NS1_11comp_targetILNS1_3genE8ELNS1_11target_archE1030ELNS1_3gpuE2ELNS1_3repE0EEENS1_30default_config_static_selectorELNS0_4arch9wavefront6targetE1EEEvT1_,"axG",@progbits,_ZN7rocprim17ROCPRIM_400000_NS6detail17trampoline_kernelINS0_14default_configENS1_27scan_by_key_config_selectorIiiEEZZNS1_16scan_by_key_implILNS1_25lookback_scan_determinismE0ELb1ES3_N6thrust23THRUST_200600_302600_NS6detail15normal_iteratorINS9_10device_ptrIiEEEESE_SE_iNS9_4plusIvEENS9_8equal_toIvEEiEE10hipError_tPvRmT2_T3_T4_T5_mT6_T7_P12ihipStream_tbENKUlT_T0_E_clISt17integral_constantIbLb1EESY_IbLb0EEEEDaSU_SV_EUlSU_E_NS1_11comp_targetILNS1_3genE8ELNS1_11target_archE1030ELNS1_3gpuE2ELNS1_3repE0EEENS1_30default_config_static_selectorELNS0_4arch9wavefront6targetE1EEEvT1_,comdat
	.protected	_ZN7rocprim17ROCPRIM_400000_NS6detail17trampoline_kernelINS0_14default_configENS1_27scan_by_key_config_selectorIiiEEZZNS1_16scan_by_key_implILNS1_25lookback_scan_determinismE0ELb1ES3_N6thrust23THRUST_200600_302600_NS6detail15normal_iteratorINS9_10device_ptrIiEEEESE_SE_iNS9_4plusIvEENS9_8equal_toIvEEiEE10hipError_tPvRmT2_T3_T4_T5_mT6_T7_P12ihipStream_tbENKUlT_T0_E_clISt17integral_constantIbLb1EESY_IbLb0EEEEDaSU_SV_EUlSU_E_NS1_11comp_targetILNS1_3genE8ELNS1_11target_archE1030ELNS1_3gpuE2ELNS1_3repE0EEENS1_30default_config_static_selectorELNS0_4arch9wavefront6targetE1EEEvT1_ ; -- Begin function _ZN7rocprim17ROCPRIM_400000_NS6detail17trampoline_kernelINS0_14default_configENS1_27scan_by_key_config_selectorIiiEEZZNS1_16scan_by_key_implILNS1_25lookback_scan_determinismE0ELb1ES3_N6thrust23THRUST_200600_302600_NS6detail15normal_iteratorINS9_10device_ptrIiEEEESE_SE_iNS9_4plusIvEENS9_8equal_toIvEEiEE10hipError_tPvRmT2_T3_T4_T5_mT6_T7_P12ihipStream_tbENKUlT_T0_E_clISt17integral_constantIbLb1EESY_IbLb0EEEEDaSU_SV_EUlSU_E_NS1_11comp_targetILNS1_3genE8ELNS1_11target_archE1030ELNS1_3gpuE2ELNS1_3repE0EEENS1_30default_config_static_selectorELNS0_4arch9wavefront6targetE1EEEvT1_
	.globl	_ZN7rocprim17ROCPRIM_400000_NS6detail17trampoline_kernelINS0_14default_configENS1_27scan_by_key_config_selectorIiiEEZZNS1_16scan_by_key_implILNS1_25lookback_scan_determinismE0ELb1ES3_N6thrust23THRUST_200600_302600_NS6detail15normal_iteratorINS9_10device_ptrIiEEEESE_SE_iNS9_4plusIvEENS9_8equal_toIvEEiEE10hipError_tPvRmT2_T3_T4_T5_mT6_T7_P12ihipStream_tbENKUlT_T0_E_clISt17integral_constantIbLb1EESY_IbLb0EEEEDaSU_SV_EUlSU_E_NS1_11comp_targetILNS1_3genE8ELNS1_11target_archE1030ELNS1_3gpuE2ELNS1_3repE0EEENS1_30default_config_static_selectorELNS0_4arch9wavefront6targetE1EEEvT1_
	.p2align	8
	.type	_ZN7rocprim17ROCPRIM_400000_NS6detail17trampoline_kernelINS0_14default_configENS1_27scan_by_key_config_selectorIiiEEZZNS1_16scan_by_key_implILNS1_25lookback_scan_determinismE0ELb1ES3_N6thrust23THRUST_200600_302600_NS6detail15normal_iteratorINS9_10device_ptrIiEEEESE_SE_iNS9_4plusIvEENS9_8equal_toIvEEiEE10hipError_tPvRmT2_T3_T4_T5_mT6_T7_P12ihipStream_tbENKUlT_T0_E_clISt17integral_constantIbLb1EESY_IbLb0EEEEDaSU_SV_EUlSU_E_NS1_11comp_targetILNS1_3genE8ELNS1_11target_archE1030ELNS1_3gpuE2ELNS1_3repE0EEENS1_30default_config_static_selectorELNS0_4arch9wavefront6targetE1EEEvT1_,@function
_ZN7rocprim17ROCPRIM_400000_NS6detail17trampoline_kernelINS0_14default_configENS1_27scan_by_key_config_selectorIiiEEZZNS1_16scan_by_key_implILNS1_25lookback_scan_determinismE0ELb1ES3_N6thrust23THRUST_200600_302600_NS6detail15normal_iteratorINS9_10device_ptrIiEEEESE_SE_iNS9_4plusIvEENS9_8equal_toIvEEiEE10hipError_tPvRmT2_T3_T4_T5_mT6_T7_P12ihipStream_tbENKUlT_T0_E_clISt17integral_constantIbLb1EESY_IbLb0EEEEDaSU_SV_EUlSU_E_NS1_11comp_targetILNS1_3genE8ELNS1_11target_archE1030ELNS1_3gpuE2ELNS1_3repE0EEENS1_30default_config_static_selectorELNS0_4arch9wavefront6targetE1EEEvT1_: ; @_ZN7rocprim17ROCPRIM_400000_NS6detail17trampoline_kernelINS0_14default_configENS1_27scan_by_key_config_selectorIiiEEZZNS1_16scan_by_key_implILNS1_25lookback_scan_determinismE0ELb1ES3_N6thrust23THRUST_200600_302600_NS6detail15normal_iteratorINS9_10device_ptrIiEEEESE_SE_iNS9_4plusIvEENS9_8equal_toIvEEiEE10hipError_tPvRmT2_T3_T4_T5_mT6_T7_P12ihipStream_tbENKUlT_T0_E_clISt17integral_constantIbLb1EESY_IbLb0EEEEDaSU_SV_EUlSU_E_NS1_11comp_targetILNS1_3genE8ELNS1_11target_archE1030ELNS1_3gpuE2ELNS1_3repE0EEENS1_30default_config_static_selectorELNS0_4arch9wavefront6targetE1EEEvT1_
; %bb.0:
	.section	.rodata,"a",@progbits
	.p2align	6, 0x0
	.amdhsa_kernel _ZN7rocprim17ROCPRIM_400000_NS6detail17trampoline_kernelINS0_14default_configENS1_27scan_by_key_config_selectorIiiEEZZNS1_16scan_by_key_implILNS1_25lookback_scan_determinismE0ELb1ES3_N6thrust23THRUST_200600_302600_NS6detail15normal_iteratorINS9_10device_ptrIiEEEESE_SE_iNS9_4plusIvEENS9_8equal_toIvEEiEE10hipError_tPvRmT2_T3_T4_T5_mT6_T7_P12ihipStream_tbENKUlT_T0_E_clISt17integral_constantIbLb1EESY_IbLb0EEEEDaSU_SV_EUlSU_E_NS1_11comp_targetILNS1_3genE8ELNS1_11target_archE1030ELNS1_3gpuE2ELNS1_3repE0EEENS1_30default_config_static_selectorELNS0_4arch9wavefront6targetE1EEEvT1_
		.amdhsa_group_segment_fixed_size 0
		.amdhsa_private_segment_fixed_size 0
		.amdhsa_kernarg_size 112
		.amdhsa_user_sgpr_count 6
		.amdhsa_user_sgpr_private_segment_buffer 1
		.amdhsa_user_sgpr_dispatch_ptr 0
		.amdhsa_user_sgpr_queue_ptr 0
		.amdhsa_user_sgpr_kernarg_segment_ptr 1
		.amdhsa_user_sgpr_dispatch_id 0
		.amdhsa_user_sgpr_flat_scratch_init 0
		.amdhsa_user_sgpr_kernarg_preload_length 0
		.amdhsa_user_sgpr_kernarg_preload_offset 0
		.amdhsa_user_sgpr_private_segment_size 0
		.amdhsa_uses_dynamic_stack 0
		.amdhsa_system_sgpr_private_segment_wavefront_offset 0
		.amdhsa_system_sgpr_workgroup_id_x 1
		.amdhsa_system_sgpr_workgroup_id_y 0
		.amdhsa_system_sgpr_workgroup_id_z 0
		.amdhsa_system_sgpr_workgroup_info 0
		.amdhsa_system_vgpr_workitem_id 0
		.amdhsa_next_free_vgpr 1
		.amdhsa_next_free_sgpr 0
		.amdhsa_accum_offset 4
		.amdhsa_reserve_vcc 0
		.amdhsa_reserve_flat_scratch 0
		.amdhsa_float_round_mode_32 0
		.amdhsa_float_round_mode_16_64 0
		.amdhsa_float_denorm_mode_32 3
		.amdhsa_float_denorm_mode_16_64 3
		.amdhsa_dx10_clamp 1
		.amdhsa_ieee_mode 1
		.amdhsa_fp16_overflow 0
		.amdhsa_tg_split 0
		.amdhsa_exception_fp_ieee_invalid_op 0
		.amdhsa_exception_fp_denorm_src 0
		.amdhsa_exception_fp_ieee_div_zero 0
		.amdhsa_exception_fp_ieee_overflow 0
		.amdhsa_exception_fp_ieee_underflow 0
		.amdhsa_exception_fp_ieee_inexact 0
		.amdhsa_exception_int_div_zero 0
	.end_amdhsa_kernel
	.section	.text._ZN7rocprim17ROCPRIM_400000_NS6detail17trampoline_kernelINS0_14default_configENS1_27scan_by_key_config_selectorIiiEEZZNS1_16scan_by_key_implILNS1_25lookback_scan_determinismE0ELb1ES3_N6thrust23THRUST_200600_302600_NS6detail15normal_iteratorINS9_10device_ptrIiEEEESE_SE_iNS9_4plusIvEENS9_8equal_toIvEEiEE10hipError_tPvRmT2_T3_T4_T5_mT6_T7_P12ihipStream_tbENKUlT_T0_E_clISt17integral_constantIbLb1EESY_IbLb0EEEEDaSU_SV_EUlSU_E_NS1_11comp_targetILNS1_3genE8ELNS1_11target_archE1030ELNS1_3gpuE2ELNS1_3repE0EEENS1_30default_config_static_selectorELNS0_4arch9wavefront6targetE1EEEvT1_,"axG",@progbits,_ZN7rocprim17ROCPRIM_400000_NS6detail17trampoline_kernelINS0_14default_configENS1_27scan_by_key_config_selectorIiiEEZZNS1_16scan_by_key_implILNS1_25lookback_scan_determinismE0ELb1ES3_N6thrust23THRUST_200600_302600_NS6detail15normal_iteratorINS9_10device_ptrIiEEEESE_SE_iNS9_4plusIvEENS9_8equal_toIvEEiEE10hipError_tPvRmT2_T3_T4_T5_mT6_T7_P12ihipStream_tbENKUlT_T0_E_clISt17integral_constantIbLb1EESY_IbLb0EEEEDaSU_SV_EUlSU_E_NS1_11comp_targetILNS1_3genE8ELNS1_11target_archE1030ELNS1_3gpuE2ELNS1_3repE0EEENS1_30default_config_static_selectorELNS0_4arch9wavefront6targetE1EEEvT1_,comdat
.Lfunc_end107:
	.size	_ZN7rocprim17ROCPRIM_400000_NS6detail17trampoline_kernelINS0_14default_configENS1_27scan_by_key_config_selectorIiiEEZZNS1_16scan_by_key_implILNS1_25lookback_scan_determinismE0ELb1ES3_N6thrust23THRUST_200600_302600_NS6detail15normal_iteratorINS9_10device_ptrIiEEEESE_SE_iNS9_4plusIvEENS9_8equal_toIvEEiEE10hipError_tPvRmT2_T3_T4_T5_mT6_T7_P12ihipStream_tbENKUlT_T0_E_clISt17integral_constantIbLb1EESY_IbLb0EEEEDaSU_SV_EUlSU_E_NS1_11comp_targetILNS1_3genE8ELNS1_11target_archE1030ELNS1_3gpuE2ELNS1_3repE0EEENS1_30default_config_static_selectorELNS0_4arch9wavefront6targetE1EEEvT1_, .Lfunc_end107-_ZN7rocprim17ROCPRIM_400000_NS6detail17trampoline_kernelINS0_14default_configENS1_27scan_by_key_config_selectorIiiEEZZNS1_16scan_by_key_implILNS1_25lookback_scan_determinismE0ELb1ES3_N6thrust23THRUST_200600_302600_NS6detail15normal_iteratorINS9_10device_ptrIiEEEESE_SE_iNS9_4plusIvEENS9_8equal_toIvEEiEE10hipError_tPvRmT2_T3_T4_T5_mT6_T7_P12ihipStream_tbENKUlT_T0_E_clISt17integral_constantIbLb1EESY_IbLb0EEEEDaSU_SV_EUlSU_E_NS1_11comp_targetILNS1_3genE8ELNS1_11target_archE1030ELNS1_3gpuE2ELNS1_3repE0EEENS1_30default_config_static_selectorELNS0_4arch9wavefront6targetE1EEEvT1_
                                        ; -- End function
	.section	.AMDGPU.csdata,"",@progbits
; Kernel info:
; codeLenInByte = 0
; NumSgprs: 4
; NumVgprs: 0
; NumAgprs: 0
; TotalNumVgprs: 0
; ScratchSize: 0
; MemoryBound: 0
; FloatMode: 240
; IeeeMode: 1
; LDSByteSize: 0 bytes/workgroup (compile time only)
; SGPRBlocks: 0
; VGPRBlocks: 0
; NumSGPRsForWavesPerEU: 4
; NumVGPRsForWavesPerEU: 1
; AccumOffset: 4
; Occupancy: 8
; WaveLimiterHint : 0
; COMPUTE_PGM_RSRC2:SCRATCH_EN: 0
; COMPUTE_PGM_RSRC2:USER_SGPR: 6
; COMPUTE_PGM_RSRC2:TRAP_HANDLER: 0
; COMPUTE_PGM_RSRC2:TGID_X_EN: 1
; COMPUTE_PGM_RSRC2:TGID_Y_EN: 0
; COMPUTE_PGM_RSRC2:TGID_Z_EN: 0
; COMPUTE_PGM_RSRC2:TIDIG_COMP_CNT: 0
; COMPUTE_PGM_RSRC3_GFX90A:ACCUM_OFFSET: 0
; COMPUTE_PGM_RSRC3_GFX90A:TG_SPLIT: 0
	.section	.text._ZN7rocprim17ROCPRIM_400000_NS6detail17trampoline_kernelINS0_14default_configENS1_27scan_by_key_config_selectorIiiEEZZNS1_16scan_by_key_implILNS1_25lookback_scan_determinismE0ELb1ES3_N6thrust23THRUST_200600_302600_NS6detail15normal_iteratorINS9_10device_ptrIiEEEESE_SE_iNS9_4plusIvEENS9_8equal_toIvEEiEE10hipError_tPvRmT2_T3_T4_T5_mT6_T7_P12ihipStream_tbENKUlT_T0_E_clISt17integral_constantIbLb0EESY_IbLb1EEEEDaSU_SV_EUlSU_E_NS1_11comp_targetILNS1_3genE0ELNS1_11target_archE4294967295ELNS1_3gpuE0ELNS1_3repE0EEENS1_30default_config_static_selectorELNS0_4arch9wavefront6targetE1EEEvT1_,"axG",@progbits,_ZN7rocprim17ROCPRIM_400000_NS6detail17trampoline_kernelINS0_14default_configENS1_27scan_by_key_config_selectorIiiEEZZNS1_16scan_by_key_implILNS1_25lookback_scan_determinismE0ELb1ES3_N6thrust23THRUST_200600_302600_NS6detail15normal_iteratorINS9_10device_ptrIiEEEESE_SE_iNS9_4plusIvEENS9_8equal_toIvEEiEE10hipError_tPvRmT2_T3_T4_T5_mT6_T7_P12ihipStream_tbENKUlT_T0_E_clISt17integral_constantIbLb0EESY_IbLb1EEEEDaSU_SV_EUlSU_E_NS1_11comp_targetILNS1_3genE0ELNS1_11target_archE4294967295ELNS1_3gpuE0ELNS1_3repE0EEENS1_30default_config_static_selectorELNS0_4arch9wavefront6targetE1EEEvT1_,comdat
	.protected	_ZN7rocprim17ROCPRIM_400000_NS6detail17trampoline_kernelINS0_14default_configENS1_27scan_by_key_config_selectorIiiEEZZNS1_16scan_by_key_implILNS1_25lookback_scan_determinismE0ELb1ES3_N6thrust23THRUST_200600_302600_NS6detail15normal_iteratorINS9_10device_ptrIiEEEESE_SE_iNS9_4plusIvEENS9_8equal_toIvEEiEE10hipError_tPvRmT2_T3_T4_T5_mT6_T7_P12ihipStream_tbENKUlT_T0_E_clISt17integral_constantIbLb0EESY_IbLb1EEEEDaSU_SV_EUlSU_E_NS1_11comp_targetILNS1_3genE0ELNS1_11target_archE4294967295ELNS1_3gpuE0ELNS1_3repE0EEENS1_30default_config_static_selectorELNS0_4arch9wavefront6targetE1EEEvT1_ ; -- Begin function _ZN7rocprim17ROCPRIM_400000_NS6detail17trampoline_kernelINS0_14default_configENS1_27scan_by_key_config_selectorIiiEEZZNS1_16scan_by_key_implILNS1_25lookback_scan_determinismE0ELb1ES3_N6thrust23THRUST_200600_302600_NS6detail15normal_iteratorINS9_10device_ptrIiEEEESE_SE_iNS9_4plusIvEENS9_8equal_toIvEEiEE10hipError_tPvRmT2_T3_T4_T5_mT6_T7_P12ihipStream_tbENKUlT_T0_E_clISt17integral_constantIbLb0EESY_IbLb1EEEEDaSU_SV_EUlSU_E_NS1_11comp_targetILNS1_3genE0ELNS1_11target_archE4294967295ELNS1_3gpuE0ELNS1_3repE0EEENS1_30default_config_static_selectorELNS0_4arch9wavefront6targetE1EEEvT1_
	.globl	_ZN7rocprim17ROCPRIM_400000_NS6detail17trampoline_kernelINS0_14default_configENS1_27scan_by_key_config_selectorIiiEEZZNS1_16scan_by_key_implILNS1_25lookback_scan_determinismE0ELb1ES3_N6thrust23THRUST_200600_302600_NS6detail15normal_iteratorINS9_10device_ptrIiEEEESE_SE_iNS9_4plusIvEENS9_8equal_toIvEEiEE10hipError_tPvRmT2_T3_T4_T5_mT6_T7_P12ihipStream_tbENKUlT_T0_E_clISt17integral_constantIbLb0EESY_IbLb1EEEEDaSU_SV_EUlSU_E_NS1_11comp_targetILNS1_3genE0ELNS1_11target_archE4294967295ELNS1_3gpuE0ELNS1_3repE0EEENS1_30default_config_static_selectorELNS0_4arch9wavefront6targetE1EEEvT1_
	.p2align	8
	.type	_ZN7rocprim17ROCPRIM_400000_NS6detail17trampoline_kernelINS0_14default_configENS1_27scan_by_key_config_selectorIiiEEZZNS1_16scan_by_key_implILNS1_25lookback_scan_determinismE0ELb1ES3_N6thrust23THRUST_200600_302600_NS6detail15normal_iteratorINS9_10device_ptrIiEEEESE_SE_iNS9_4plusIvEENS9_8equal_toIvEEiEE10hipError_tPvRmT2_T3_T4_T5_mT6_T7_P12ihipStream_tbENKUlT_T0_E_clISt17integral_constantIbLb0EESY_IbLb1EEEEDaSU_SV_EUlSU_E_NS1_11comp_targetILNS1_3genE0ELNS1_11target_archE4294967295ELNS1_3gpuE0ELNS1_3repE0EEENS1_30default_config_static_selectorELNS0_4arch9wavefront6targetE1EEEvT1_,@function
_ZN7rocprim17ROCPRIM_400000_NS6detail17trampoline_kernelINS0_14default_configENS1_27scan_by_key_config_selectorIiiEEZZNS1_16scan_by_key_implILNS1_25lookback_scan_determinismE0ELb1ES3_N6thrust23THRUST_200600_302600_NS6detail15normal_iteratorINS9_10device_ptrIiEEEESE_SE_iNS9_4plusIvEENS9_8equal_toIvEEiEE10hipError_tPvRmT2_T3_T4_T5_mT6_T7_P12ihipStream_tbENKUlT_T0_E_clISt17integral_constantIbLb0EESY_IbLb1EEEEDaSU_SV_EUlSU_E_NS1_11comp_targetILNS1_3genE0ELNS1_11target_archE4294967295ELNS1_3gpuE0ELNS1_3repE0EEENS1_30default_config_static_selectorELNS0_4arch9wavefront6targetE1EEEvT1_: ; @_ZN7rocprim17ROCPRIM_400000_NS6detail17trampoline_kernelINS0_14default_configENS1_27scan_by_key_config_selectorIiiEEZZNS1_16scan_by_key_implILNS1_25lookback_scan_determinismE0ELb1ES3_N6thrust23THRUST_200600_302600_NS6detail15normal_iteratorINS9_10device_ptrIiEEEESE_SE_iNS9_4plusIvEENS9_8equal_toIvEEiEE10hipError_tPvRmT2_T3_T4_T5_mT6_T7_P12ihipStream_tbENKUlT_T0_E_clISt17integral_constantIbLb0EESY_IbLb1EEEEDaSU_SV_EUlSU_E_NS1_11comp_targetILNS1_3genE0ELNS1_11target_archE4294967295ELNS1_3gpuE0ELNS1_3repE0EEENS1_30default_config_static_selectorELNS0_4arch9wavefront6targetE1EEEvT1_
; %bb.0:
	.section	.rodata,"a",@progbits
	.p2align	6, 0x0
	.amdhsa_kernel _ZN7rocprim17ROCPRIM_400000_NS6detail17trampoline_kernelINS0_14default_configENS1_27scan_by_key_config_selectorIiiEEZZNS1_16scan_by_key_implILNS1_25lookback_scan_determinismE0ELb1ES3_N6thrust23THRUST_200600_302600_NS6detail15normal_iteratorINS9_10device_ptrIiEEEESE_SE_iNS9_4plusIvEENS9_8equal_toIvEEiEE10hipError_tPvRmT2_T3_T4_T5_mT6_T7_P12ihipStream_tbENKUlT_T0_E_clISt17integral_constantIbLb0EESY_IbLb1EEEEDaSU_SV_EUlSU_E_NS1_11comp_targetILNS1_3genE0ELNS1_11target_archE4294967295ELNS1_3gpuE0ELNS1_3repE0EEENS1_30default_config_static_selectorELNS0_4arch9wavefront6targetE1EEEvT1_
		.amdhsa_group_segment_fixed_size 0
		.amdhsa_private_segment_fixed_size 0
		.amdhsa_kernarg_size 112
		.amdhsa_user_sgpr_count 6
		.amdhsa_user_sgpr_private_segment_buffer 1
		.amdhsa_user_sgpr_dispatch_ptr 0
		.amdhsa_user_sgpr_queue_ptr 0
		.amdhsa_user_sgpr_kernarg_segment_ptr 1
		.amdhsa_user_sgpr_dispatch_id 0
		.amdhsa_user_sgpr_flat_scratch_init 0
		.amdhsa_user_sgpr_kernarg_preload_length 0
		.amdhsa_user_sgpr_kernarg_preload_offset 0
		.amdhsa_user_sgpr_private_segment_size 0
		.amdhsa_uses_dynamic_stack 0
		.amdhsa_system_sgpr_private_segment_wavefront_offset 0
		.amdhsa_system_sgpr_workgroup_id_x 1
		.amdhsa_system_sgpr_workgroup_id_y 0
		.amdhsa_system_sgpr_workgroup_id_z 0
		.amdhsa_system_sgpr_workgroup_info 0
		.amdhsa_system_vgpr_workitem_id 0
		.amdhsa_next_free_vgpr 1
		.amdhsa_next_free_sgpr 0
		.amdhsa_accum_offset 4
		.amdhsa_reserve_vcc 0
		.amdhsa_reserve_flat_scratch 0
		.amdhsa_float_round_mode_32 0
		.amdhsa_float_round_mode_16_64 0
		.amdhsa_float_denorm_mode_32 3
		.amdhsa_float_denorm_mode_16_64 3
		.amdhsa_dx10_clamp 1
		.amdhsa_ieee_mode 1
		.amdhsa_fp16_overflow 0
		.amdhsa_tg_split 0
		.amdhsa_exception_fp_ieee_invalid_op 0
		.amdhsa_exception_fp_denorm_src 0
		.amdhsa_exception_fp_ieee_div_zero 0
		.amdhsa_exception_fp_ieee_overflow 0
		.amdhsa_exception_fp_ieee_underflow 0
		.amdhsa_exception_fp_ieee_inexact 0
		.amdhsa_exception_int_div_zero 0
	.end_amdhsa_kernel
	.section	.text._ZN7rocprim17ROCPRIM_400000_NS6detail17trampoline_kernelINS0_14default_configENS1_27scan_by_key_config_selectorIiiEEZZNS1_16scan_by_key_implILNS1_25lookback_scan_determinismE0ELb1ES3_N6thrust23THRUST_200600_302600_NS6detail15normal_iteratorINS9_10device_ptrIiEEEESE_SE_iNS9_4plusIvEENS9_8equal_toIvEEiEE10hipError_tPvRmT2_T3_T4_T5_mT6_T7_P12ihipStream_tbENKUlT_T0_E_clISt17integral_constantIbLb0EESY_IbLb1EEEEDaSU_SV_EUlSU_E_NS1_11comp_targetILNS1_3genE0ELNS1_11target_archE4294967295ELNS1_3gpuE0ELNS1_3repE0EEENS1_30default_config_static_selectorELNS0_4arch9wavefront6targetE1EEEvT1_,"axG",@progbits,_ZN7rocprim17ROCPRIM_400000_NS6detail17trampoline_kernelINS0_14default_configENS1_27scan_by_key_config_selectorIiiEEZZNS1_16scan_by_key_implILNS1_25lookback_scan_determinismE0ELb1ES3_N6thrust23THRUST_200600_302600_NS6detail15normal_iteratorINS9_10device_ptrIiEEEESE_SE_iNS9_4plusIvEENS9_8equal_toIvEEiEE10hipError_tPvRmT2_T3_T4_T5_mT6_T7_P12ihipStream_tbENKUlT_T0_E_clISt17integral_constantIbLb0EESY_IbLb1EEEEDaSU_SV_EUlSU_E_NS1_11comp_targetILNS1_3genE0ELNS1_11target_archE4294967295ELNS1_3gpuE0ELNS1_3repE0EEENS1_30default_config_static_selectorELNS0_4arch9wavefront6targetE1EEEvT1_,comdat
.Lfunc_end108:
	.size	_ZN7rocprim17ROCPRIM_400000_NS6detail17trampoline_kernelINS0_14default_configENS1_27scan_by_key_config_selectorIiiEEZZNS1_16scan_by_key_implILNS1_25lookback_scan_determinismE0ELb1ES3_N6thrust23THRUST_200600_302600_NS6detail15normal_iteratorINS9_10device_ptrIiEEEESE_SE_iNS9_4plusIvEENS9_8equal_toIvEEiEE10hipError_tPvRmT2_T3_T4_T5_mT6_T7_P12ihipStream_tbENKUlT_T0_E_clISt17integral_constantIbLb0EESY_IbLb1EEEEDaSU_SV_EUlSU_E_NS1_11comp_targetILNS1_3genE0ELNS1_11target_archE4294967295ELNS1_3gpuE0ELNS1_3repE0EEENS1_30default_config_static_selectorELNS0_4arch9wavefront6targetE1EEEvT1_, .Lfunc_end108-_ZN7rocprim17ROCPRIM_400000_NS6detail17trampoline_kernelINS0_14default_configENS1_27scan_by_key_config_selectorIiiEEZZNS1_16scan_by_key_implILNS1_25lookback_scan_determinismE0ELb1ES3_N6thrust23THRUST_200600_302600_NS6detail15normal_iteratorINS9_10device_ptrIiEEEESE_SE_iNS9_4plusIvEENS9_8equal_toIvEEiEE10hipError_tPvRmT2_T3_T4_T5_mT6_T7_P12ihipStream_tbENKUlT_T0_E_clISt17integral_constantIbLb0EESY_IbLb1EEEEDaSU_SV_EUlSU_E_NS1_11comp_targetILNS1_3genE0ELNS1_11target_archE4294967295ELNS1_3gpuE0ELNS1_3repE0EEENS1_30default_config_static_selectorELNS0_4arch9wavefront6targetE1EEEvT1_
                                        ; -- End function
	.section	.AMDGPU.csdata,"",@progbits
; Kernel info:
; codeLenInByte = 0
; NumSgprs: 4
; NumVgprs: 0
; NumAgprs: 0
; TotalNumVgprs: 0
; ScratchSize: 0
; MemoryBound: 0
; FloatMode: 240
; IeeeMode: 1
; LDSByteSize: 0 bytes/workgroup (compile time only)
; SGPRBlocks: 0
; VGPRBlocks: 0
; NumSGPRsForWavesPerEU: 4
; NumVGPRsForWavesPerEU: 1
; AccumOffset: 4
; Occupancy: 8
; WaveLimiterHint : 0
; COMPUTE_PGM_RSRC2:SCRATCH_EN: 0
; COMPUTE_PGM_RSRC2:USER_SGPR: 6
; COMPUTE_PGM_RSRC2:TRAP_HANDLER: 0
; COMPUTE_PGM_RSRC2:TGID_X_EN: 1
; COMPUTE_PGM_RSRC2:TGID_Y_EN: 0
; COMPUTE_PGM_RSRC2:TGID_Z_EN: 0
; COMPUTE_PGM_RSRC2:TIDIG_COMP_CNT: 0
; COMPUTE_PGM_RSRC3_GFX90A:ACCUM_OFFSET: 0
; COMPUTE_PGM_RSRC3_GFX90A:TG_SPLIT: 0
	.section	.text._ZN7rocprim17ROCPRIM_400000_NS6detail17trampoline_kernelINS0_14default_configENS1_27scan_by_key_config_selectorIiiEEZZNS1_16scan_by_key_implILNS1_25lookback_scan_determinismE0ELb1ES3_N6thrust23THRUST_200600_302600_NS6detail15normal_iteratorINS9_10device_ptrIiEEEESE_SE_iNS9_4plusIvEENS9_8equal_toIvEEiEE10hipError_tPvRmT2_T3_T4_T5_mT6_T7_P12ihipStream_tbENKUlT_T0_E_clISt17integral_constantIbLb0EESY_IbLb1EEEEDaSU_SV_EUlSU_E_NS1_11comp_targetILNS1_3genE10ELNS1_11target_archE1201ELNS1_3gpuE5ELNS1_3repE0EEENS1_30default_config_static_selectorELNS0_4arch9wavefront6targetE1EEEvT1_,"axG",@progbits,_ZN7rocprim17ROCPRIM_400000_NS6detail17trampoline_kernelINS0_14default_configENS1_27scan_by_key_config_selectorIiiEEZZNS1_16scan_by_key_implILNS1_25lookback_scan_determinismE0ELb1ES3_N6thrust23THRUST_200600_302600_NS6detail15normal_iteratorINS9_10device_ptrIiEEEESE_SE_iNS9_4plusIvEENS9_8equal_toIvEEiEE10hipError_tPvRmT2_T3_T4_T5_mT6_T7_P12ihipStream_tbENKUlT_T0_E_clISt17integral_constantIbLb0EESY_IbLb1EEEEDaSU_SV_EUlSU_E_NS1_11comp_targetILNS1_3genE10ELNS1_11target_archE1201ELNS1_3gpuE5ELNS1_3repE0EEENS1_30default_config_static_selectorELNS0_4arch9wavefront6targetE1EEEvT1_,comdat
	.protected	_ZN7rocprim17ROCPRIM_400000_NS6detail17trampoline_kernelINS0_14default_configENS1_27scan_by_key_config_selectorIiiEEZZNS1_16scan_by_key_implILNS1_25lookback_scan_determinismE0ELb1ES3_N6thrust23THRUST_200600_302600_NS6detail15normal_iteratorINS9_10device_ptrIiEEEESE_SE_iNS9_4plusIvEENS9_8equal_toIvEEiEE10hipError_tPvRmT2_T3_T4_T5_mT6_T7_P12ihipStream_tbENKUlT_T0_E_clISt17integral_constantIbLb0EESY_IbLb1EEEEDaSU_SV_EUlSU_E_NS1_11comp_targetILNS1_3genE10ELNS1_11target_archE1201ELNS1_3gpuE5ELNS1_3repE0EEENS1_30default_config_static_selectorELNS0_4arch9wavefront6targetE1EEEvT1_ ; -- Begin function _ZN7rocprim17ROCPRIM_400000_NS6detail17trampoline_kernelINS0_14default_configENS1_27scan_by_key_config_selectorIiiEEZZNS1_16scan_by_key_implILNS1_25lookback_scan_determinismE0ELb1ES3_N6thrust23THRUST_200600_302600_NS6detail15normal_iteratorINS9_10device_ptrIiEEEESE_SE_iNS9_4plusIvEENS9_8equal_toIvEEiEE10hipError_tPvRmT2_T3_T4_T5_mT6_T7_P12ihipStream_tbENKUlT_T0_E_clISt17integral_constantIbLb0EESY_IbLb1EEEEDaSU_SV_EUlSU_E_NS1_11comp_targetILNS1_3genE10ELNS1_11target_archE1201ELNS1_3gpuE5ELNS1_3repE0EEENS1_30default_config_static_selectorELNS0_4arch9wavefront6targetE1EEEvT1_
	.globl	_ZN7rocprim17ROCPRIM_400000_NS6detail17trampoline_kernelINS0_14default_configENS1_27scan_by_key_config_selectorIiiEEZZNS1_16scan_by_key_implILNS1_25lookback_scan_determinismE0ELb1ES3_N6thrust23THRUST_200600_302600_NS6detail15normal_iteratorINS9_10device_ptrIiEEEESE_SE_iNS9_4plusIvEENS9_8equal_toIvEEiEE10hipError_tPvRmT2_T3_T4_T5_mT6_T7_P12ihipStream_tbENKUlT_T0_E_clISt17integral_constantIbLb0EESY_IbLb1EEEEDaSU_SV_EUlSU_E_NS1_11comp_targetILNS1_3genE10ELNS1_11target_archE1201ELNS1_3gpuE5ELNS1_3repE0EEENS1_30default_config_static_selectorELNS0_4arch9wavefront6targetE1EEEvT1_
	.p2align	8
	.type	_ZN7rocprim17ROCPRIM_400000_NS6detail17trampoline_kernelINS0_14default_configENS1_27scan_by_key_config_selectorIiiEEZZNS1_16scan_by_key_implILNS1_25lookback_scan_determinismE0ELb1ES3_N6thrust23THRUST_200600_302600_NS6detail15normal_iteratorINS9_10device_ptrIiEEEESE_SE_iNS9_4plusIvEENS9_8equal_toIvEEiEE10hipError_tPvRmT2_T3_T4_T5_mT6_T7_P12ihipStream_tbENKUlT_T0_E_clISt17integral_constantIbLb0EESY_IbLb1EEEEDaSU_SV_EUlSU_E_NS1_11comp_targetILNS1_3genE10ELNS1_11target_archE1201ELNS1_3gpuE5ELNS1_3repE0EEENS1_30default_config_static_selectorELNS0_4arch9wavefront6targetE1EEEvT1_,@function
_ZN7rocprim17ROCPRIM_400000_NS6detail17trampoline_kernelINS0_14default_configENS1_27scan_by_key_config_selectorIiiEEZZNS1_16scan_by_key_implILNS1_25lookback_scan_determinismE0ELb1ES3_N6thrust23THRUST_200600_302600_NS6detail15normal_iteratorINS9_10device_ptrIiEEEESE_SE_iNS9_4plusIvEENS9_8equal_toIvEEiEE10hipError_tPvRmT2_T3_T4_T5_mT6_T7_P12ihipStream_tbENKUlT_T0_E_clISt17integral_constantIbLb0EESY_IbLb1EEEEDaSU_SV_EUlSU_E_NS1_11comp_targetILNS1_3genE10ELNS1_11target_archE1201ELNS1_3gpuE5ELNS1_3repE0EEENS1_30default_config_static_selectorELNS0_4arch9wavefront6targetE1EEEvT1_: ; @_ZN7rocprim17ROCPRIM_400000_NS6detail17trampoline_kernelINS0_14default_configENS1_27scan_by_key_config_selectorIiiEEZZNS1_16scan_by_key_implILNS1_25lookback_scan_determinismE0ELb1ES3_N6thrust23THRUST_200600_302600_NS6detail15normal_iteratorINS9_10device_ptrIiEEEESE_SE_iNS9_4plusIvEENS9_8equal_toIvEEiEE10hipError_tPvRmT2_T3_T4_T5_mT6_T7_P12ihipStream_tbENKUlT_T0_E_clISt17integral_constantIbLb0EESY_IbLb1EEEEDaSU_SV_EUlSU_E_NS1_11comp_targetILNS1_3genE10ELNS1_11target_archE1201ELNS1_3gpuE5ELNS1_3repE0EEENS1_30default_config_static_selectorELNS0_4arch9wavefront6targetE1EEEvT1_
; %bb.0:
	.section	.rodata,"a",@progbits
	.p2align	6, 0x0
	.amdhsa_kernel _ZN7rocprim17ROCPRIM_400000_NS6detail17trampoline_kernelINS0_14default_configENS1_27scan_by_key_config_selectorIiiEEZZNS1_16scan_by_key_implILNS1_25lookback_scan_determinismE0ELb1ES3_N6thrust23THRUST_200600_302600_NS6detail15normal_iteratorINS9_10device_ptrIiEEEESE_SE_iNS9_4plusIvEENS9_8equal_toIvEEiEE10hipError_tPvRmT2_T3_T4_T5_mT6_T7_P12ihipStream_tbENKUlT_T0_E_clISt17integral_constantIbLb0EESY_IbLb1EEEEDaSU_SV_EUlSU_E_NS1_11comp_targetILNS1_3genE10ELNS1_11target_archE1201ELNS1_3gpuE5ELNS1_3repE0EEENS1_30default_config_static_selectorELNS0_4arch9wavefront6targetE1EEEvT1_
		.amdhsa_group_segment_fixed_size 0
		.amdhsa_private_segment_fixed_size 0
		.amdhsa_kernarg_size 112
		.amdhsa_user_sgpr_count 6
		.amdhsa_user_sgpr_private_segment_buffer 1
		.amdhsa_user_sgpr_dispatch_ptr 0
		.amdhsa_user_sgpr_queue_ptr 0
		.amdhsa_user_sgpr_kernarg_segment_ptr 1
		.amdhsa_user_sgpr_dispatch_id 0
		.amdhsa_user_sgpr_flat_scratch_init 0
		.amdhsa_user_sgpr_kernarg_preload_length 0
		.amdhsa_user_sgpr_kernarg_preload_offset 0
		.amdhsa_user_sgpr_private_segment_size 0
		.amdhsa_uses_dynamic_stack 0
		.amdhsa_system_sgpr_private_segment_wavefront_offset 0
		.amdhsa_system_sgpr_workgroup_id_x 1
		.amdhsa_system_sgpr_workgroup_id_y 0
		.amdhsa_system_sgpr_workgroup_id_z 0
		.amdhsa_system_sgpr_workgroup_info 0
		.amdhsa_system_vgpr_workitem_id 0
		.amdhsa_next_free_vgpr 1
		.amdhsa_next_free_sgpr 0
		.amdhsa_accum_offset 4
		.amdhsa_reserve_vcc 0
		.amdhsa_reserve_flat_scratch 0
		.amdhsa_float_round_mode_32 0
		.amdhsa_float_round_mode_16_64 0
		.amdhsa_float_denorm_mode_32 3
		.amdhsa_float_denorm_mode_16_64 3
		.amdhsa_dx10_clamp 1
		.amdhsa_ieee_mode 1
		.amdhsa_fp16_overflow 0
		.amdhsa_tg_split 0
		.amdhsa_exception_fp_ieee_invalid_op 0
		.amdhsa_exception_fp_denorm_src 0
		.amdhsa_exception_fp_ieee_div_zero 0
		.amdhsa_exception_fp_ieee_overflow 0
		.amdhsa_exception_fp_ieee_underflow 0
		.amdhsa_exception_fp_ieee_inexact 0
		.amdhsa_exception_int_div_zero 0
	.end_amdhsa_kernel
	.section	.text._ZN7rocprim17ROCPRIM_400000_NS6detail17trampoline_kernelINS0_14default_configENS1_27scan_by_key_config_selectorIiiEEZZNS1_16scan_by_key_implILNS1_25lookback_scan_determinismE0ELb1ES3_N6thrust23THRUST_200600_302600_NS6detail15normal_iteratorINS9_10device_ptrIiEEEESE_SE_iNS9_4plusIvEENS9_8equal_toIvEEiEE10hipError_tPvRmT2_T3_T4_T5_mT6_T7_P12ihipStream_tbENKUlT_T0_E_clISt17integral_constantIbLb0EESY_IbLb1EEEEDaSU_SV_EUlSU_E_NS1_11comp_targetILNS1_3genE10ELNS1_11target_archE1201ELNS1_3gpuE5ELNS1_3repE0EEENS1_30default_config_static_selectorELNS0_4arch9wavefront6targetE1EEEvT1_,"axG",@progbits,_ZN7rocprim17ROCPRIM_400000_NS6detail17trampoline_kernelINS0_14default_configENS1_27scan_by_key_config_selectorIiiEEZZNS1_16scan_by_key_implILNS1_25lookback_scan_determinismE0ELb1ES3_N6thrust23THRUST_200600_302600_NS6detail15normal_iteratorINS9_10device_ptrIiEEEESE_SE_iNS9_4plusIvEENS9_8equal_toIvEEiEE10hipError_tPvRmT2_T3_T4_T5_mT6_T7_P12ihipStream_tbENKUlT_T0_E_clISt17integral_constantIbLb0EESY_IbLb1EEEEDaSU_SV_EUlSU_E_NS1_11comp_targetILNS1_3genE10ELNS1_11target_archE1201ELNS1_3gpuE5ELNS1_3repE0EEENS1_30default_config_static_selectorELNS0_4arch9wavefront6targetE1EEEvT1_,comdat
.Lfunc_end109:
	.size	_ZN7rocprim17ROCPRIM_400000_NS6detail17trampoline_kernelINS0_14default_configENS1_27scan_by_key_config_selectorIiiEEZZNS1_16scan_by_key_implILNS1_25lookback_scan_determinismE0ELb1ES3_N6thrust23THRUST_200600_302600_NS6detail15normal_iteratorINS9_10device_ptrIiEEEESE_SE_iNS9_4plusIvEENS9_8equal_toIvEEiEE10hipError_tPvRmT2_T3_T4_T5_mT6_T7_P12ihipStream_tbENKUlT_T0_E_clISt17integral_constantIbLb0EESY_IbLb1EEEEDaSU_SV_EUlSU_E_NS1_11comp_targetILNS1_3genE10ELNS1_11target_archE1201ELNS1_3gpuE5ELNS1_3repE0EEENS1_30default_config_static_selectorELNS0_4arch9wavefront6targetE1EEEvT1_, .Lfunc_end109-_ZN7rocprim17ROCPRIM_400000_NS6detail17trampoline_kernelINS0_14default_configENS1_27scan_by_key_config_selectorIiiEEZZNS1_16scan_by_key_implILNS1_25lookback_scan_determinismE0ELb1ES3_N6thrust23THRUST_200600_302600_NS6detail15normal_iteratorINS9_10device_ptrIiEEEESE_SE_iNS9_4plusIvEENS9_8equal_toIvEEiEE10hipError_tPvRmT2_T3_T4_T5_mT6_T7_P12ihipStream_tbENKUlT_T0_E_clISt17integral_constantIbLb0EESY_IbLb1EEEEDaSU_SV_EUlSU_E_NS1_11comp_targetILNS1_3genE10ELNS1_11target_archE1201ELNS1_3gpuE5ELNS1_3repE0EEENS1_30default_config_static_selectorELNS0_4arch9wavefront6targetE1EEEvT1_
                                        ; -- End function
	.section	.AMDGPU.csdata,"",@progbits
; Kernel info:
; codeLenInByte = 0
; NumSgprs: 4
; NumVgprs: 0
; NumAgprs: 0
; TotalNumVgprs: 0
; ScratchSize: 0
; MemoryBound: 0
; FloatMode: 240
; IeeeMode: 1
; LDSByteSize: 0 bytes/workgroup (compile time only)
; SGPRBlocks: 0
; VGPRBlocks: 0
; NumSGPRsForWavesPerEU: 4
; NumVGPRsForWavesPerEU: 1
; AccumOffset: 4
; Occupancy: 8
; WaveLimiterHint : 0
; COMPUTE_PGM_RSRC2:SCRATCH_EN: 0
; COMPUTE_PGM_RSRC2:USER_SGPR: 6
; COMPUTE_PGM_RSRC2:TRAP_HANDLER: 0
; COMPUTE_PGM_RSRC2:TGID_X_EN: 1
; COMPUTE_PGM_RSRC2:TGID_Y_EN: 0
; COMPUTE_PGM_RSRC2:TGID_Z_EN: 0
; COMPUTE_PGM_RSRC2:TIDIG_COMP_CNT: 0
; COMPUTE_PGM_RSRC3_GFX90A:ACCUM_OFFSET: 0
; COMPUTE_PGM_RSRC3_GFX90A:TG_SPLIT: 0
	.section	.text._ZN7rocprim17ROCPRIM_400000_NS6detail17trampoline_kernelINS0_14default_configENS1_27scan_by_key_config_selectorIiiEEZZNS1_16scan_by_key_implILNS1_25lookback_scan_determinismE0ELb1ES3_N6thrust23THRUST_200600_302600_NS6detail15normal_iteratorINS9_10device_ptrIiEEEESE_SE_iNS9_4plusIvEENS9_8equal_toIvEEiEE10hipError_tPvRmT2_T3_T4_T5_mT6_T7_P12ihipStream_tbENKUlT_T0_E_clISt17integral_constantIbLb0EESY_IbLb1EEEEDaSU_SV_EUlSU_E_NS1_11comp_targetILNS1_3genE5ELNS1_11target_archE942ELNS1_3gpuE9ELNS1_3repE0EEENS1_30default_config_static_selectorELNS0_4arch9wavefront6targetE1EEEvT1_,"axG",@progbits,_ZN7rocprim17ROCPRIM_400000_NS6detail17trampoline_kernelINS0_14default_configENS1_27scan_by_key_config_selectorIiiEEZZNS1_16scan_by_key_implILNS1_25lookback_scan_determinismE0ELb1ES3_N6thrust23THRUST_200600_302600_NS6detail15normal_iteratorINS9_10device_ptrIiEEEESE_SE_iNS9_4plusIvEENS9_8equal_toIvEEiEE10hipError_tPvRmT2_T3_T4_T5_mT6_T7_P12ihipStream_tbENKUlT_T0_E_clISt17integral_constantIbLb0EESY_IbLb1EEEEDaSU_SV_EUlSU_E_NS1_11comp_targetILNS1_3genE5ELNS1_11target_archE942ELNS1_3gpuE9ELNS1_3repE0EEENS1_30default_config_static_selectorELNS0_4arch9wavefront6targetE1EEEvT1_,comdat
	.protected	_ZN7rocprim17ROCPRIM_400000_NS6detail17trampoline_kernelINS0_14default_configENS1_27scan_by_key_config_selectorIiiEEZZNS1_16scan_by_key_implILNS1_25lookback_scan_determinismE0ELb1ES3_N6thrust23THRUST_200600_302600_NS6detail15normal_iteratorINS9_10device_ptrIiEEEESE_SE_iNS9_4plusIvEENS9_8equal_toIvEEiEE10hipError_tPvRmT2_T3_T4_T5_mT6_T7_P12ihipStream_tbENKUlT_T0_E_clISt17integral_constantIbLb0EESY_IbLb1EEEEDaSU_SV_EUlSU_E_NS1_11comp_targetILNS1_3genE5ELNS1_11target_archE942ELNS1_3gpuE9ELNS1_3repE0EEENS1_30default_config_static_selectorELNS0_4arch9wavefront6targetE1EEEvT1_ ; -- Begin function _ZN7rocprim17ROCPRIM_400000_NS6detail17trampoline_kernelINS0_14default_configENS1_27scan_by_key_config_selectorIiiEEZZNS1_16scan_by_key_implILNS1_25lookback_scan_determinismE0ELb1ES3_N6thrust23THRUST_200600_302600_NS6detail15normal_iteratorINS9_10device_ptrIiEEEESE_SE_iNS9_4plusIvEENS9_8equal_toIvEEiEE10hipError_tPvRmT2_T3_T4_T5_mT6_T7_P12ihipStream_tbENKUlT_T0_E_clISt17integral_constantIbLb0EESY_IbLb1EEEEDaSU_SV_EUlSU_E_NS1_11comp_targetILNS1_3genE5ELNS1_11target_archE942ELNS1_3gpuE9ELNS1_3repE0EEENS1_30default_config_static_selectorELNS0_4arch9wavefront6targetE1EEEvT1_
	.globl	_ZN7rocprim17ROCPRIM_400000_NS6detail17trampoline_kernelINS0_14default_configENS1_27scan_by_key_config_selectorIiiEEZZNS1_16scan_by_key_implILNS1_25lookback_scan_determinismE0ELb1ES3_N6thrust23THRUST_200600_302600_NS6detail15normal_iteratorINS9_10device_ptrIiEEEESE_SE_iNS9_4plusIvEENS9_8equal_toIvEEiEE10hipError_tPvRmT2_T3_T4_T5_mT6_T7_P12ihipStream_tbENKUlT_T0_E_clISt17integral_constantIbLb0EESY_IbLb1EEEEDaSU_SV_EUlSU_E_NS1_11comp_targetILNS1_3genE5ELNS1_11target_archE942ELNS1_3gpuE9ELNS1_3repE0EEENS1_30default_config_static_selectorELNS0_4arch9wavefront6targetE1EEEvT1_
	.p2align	8
	.type	_ZN7rocprim17ROCPRIM_400000_NS6detail17trampoline_kernelINS0_14default_configENS1_27scan_by_key_config_selectorIiiEEZZNS1_16scan_by_key_implILNS1_25lookback_scan_determinismE0ELb1ES3_N6thrust23THRUST_200600_302600_NS6detail15normal_iteratorINS9_10device_ptrIiEEEESE_SE_iNS9_4plusIvEENS9_8equal_toIvEEiEE10hipError_tPvRmT2_T3_T4_T5_mT6_T7_P12ihipStream_tbENKUlT_T0_E_clISt17integral_constantIbLb0EESY_IbLb1EEEEDaSU_SV_EUlSU_E_NS1_11comp_targetILNS1_3genE5ELNS1_11target_archE942ELNS1_3gpuE9ELNS1_3repE0EEENS1_30default_config_static_selectorELNS0_4arch9wavefront6targetE1EEEvT1_,@function
_ZN7rocprim17ROCPRIM_400000_NS6detail17trampoline_kernelINS0_14default_configENS1_27scan_by_key_config_selectorIiiEEZZNS1_16scan_by_key_implILNS1_25lookback_scan_determinismE0ELb1ES3_N6thrust23THRUST_200600_302600_NS6detail15normal_iteratorINS9_10device_ptrIiEEEESE_SE_iNS9_4plusIvEENS9_8equal_toIvEEiEE10hipError_tPvRmT2_T3_T4_T5_mT6_T7_P12ihipStream_tbENKUlT_T0_E_clISt17integral_constantIbLb0EESY_IbLb1EEEEDaSU_SV_EUlSU_E_NS1_11comp_targetILNS1_3genE5ELNS1_11target_archE942ELNS1_3gpuE9ELNS1_3repE0EEENS1_30default_config_static_selectorELNS0_4arch9wavefront6targetE1EEEvT1_: ; @_ZN7rocprim17ROCPRIM_400000_NS6detail17trampoline_kernelINS0_14default_configENS1_27scan_by_key_config_selectorIiiEEZZNS1_16scan_by_key_implILNS1_25lookback_scan_determinismE0ELb1ES3_N6thrust23THRUST_200600_302600_NS6detail15normal_iteratorINS9_10device_ptrIiEEEESE_SE_iNS9_4plusIvEENS9_8equal_toIvEEiEE10hipError_tPvRmT2_T3_T4_T5_mT6_T7_P12ihipStream_tbENKUlT_T0_E_clISt17integral_constantIbLb0EESY_IbLb1EEEEDaSU_SV_EUlSU_E_NS1_11comp_targetILNS1_3genE5ELNS1_11target_archE942ELNS1_3gpuE9ELNS1_3repE0EEENS1_30default_config_static_selectorELNS0_4arch9wavefront6targetE1EEEvT1_
; %bb.0:
	.section	.rodata,"a",@progbits
	.p2align	6, 0x0
	.amdhsa_kernel _ZN7rocprim17ROCPRIM_400000_NS6detail17trampoline_kernelINS0_14default_configENS1_27scan_by_key_config_selectorIiiEEZZNS1_16scan_by_key_implILNS1_25lookback_scan_determinismE0ELb1ES3_N6thrust23THRUST_200600_302600_NS6detail15normal_iteratorINS9_10device_ptrIiEEEESE_SE_iNS9_4plusIvEENS9_8equal_toIvEEiEE10hipError_tPvRmT2_T3_T4_T5_mT6_T7_P12ihipStream_tbENKUlT_T0_E_clISt17integral_constantIbLb0EESY_IbLb1EEEEDaSU_SV_EUlSU_E_NS1_11comp_targetILNS1_3genE5ELNS1_11target_archE942ELNS1_3gpuE9ELNS1_3repE0EEENS1_30default_config_static_selectorELNS0_4arch9wavefront6targetE1EEEvT1_
		.amdhsa_group_segment_fixed_size 0
		.amdhsa_private_segment_fixed_size 0
		.amdhsa_kernarg_size 112
		.amdhsa_user_sgpr_count 6
		.amdhsa_user_sgpr_private_segment_buffer 1
		.amdhsa_user_sgpr_dispatch_ptr 0
		.amdhsa_user_sgpr_queue_ptr 0
		.amdhsa_user_sgpr_kernarg_segment_ptr 1
		.amdhsa_user_sgpr_dispatch_id 0
		.amdhsa_user_sgpr_flat_scratch_init 0
		.amdhsa_user_sgpr_kernarg_preload_length 0
		.amdhsa_user_sgpr_kernarg_preload_offset 0
		.amdhsa_user_sgpr_private_segment_size 0
		.amdhsa_uses_dynamic_stack 0
		.amdhsa_system_sgpr_private_segment_wavefront_offset 0
		.amdhsa_system_sgpr_workgroup_id_x 1
		.amdhsa_system_sgpr_workgroup_id_y 0
		.amdhsa_system_sgpr_workgroup_id_z 0
		.amdhsa_system_sgpr_workgroup_info 0
		.amdhsa_system_vgpr_workitem_id 0
		.amdhsa_next_free_vgpr 1
		.amdhsa_next_free_sgpr 0
		.amdhsa_accum_offset 4
		.amdhsa_reserve_vcc 0
		.amdhsa_reserve_flat_scratch 0
		.amdhsa_float_round_mode_32 0
		.amdhsa_float_round_mode_16_64 0
		.amdhsa_float_denorm_mode_32 3
		.amdhsa_float_denorm_mode_16_64 3
		.amdhsa_dx10_clamp 1
		.amdhsa_ieee_mode 1
		.amdhsa_fp16_overflow 0
		.amdhsa_tg_split 0
		.amdhsa_exception_fp_ieee_invalid_op 0
		.amdhsa_exception_fp_denorm_src 0
		.amdhsa_exception_fp_ieee_div_zero 0
		.amdhsa_exception_fp_ieee_overflow 0
		.amdhsa_exception_fp_ieee_underflow 0
		.amdhsa_exception_fp_ieee_inexact 0
		.amdhsa_exception_int_div_zero 0
	.end_amdhsa_kernel
	.section	.text._ZN7rocprim17ROCPRIM_400000_NS6detail17trampoline_kernelINS0_14default_configENS1_27scan_by_key_config_selectorIiiEEZZNS1_16scan_by_key_implILNS1_25lookback_scan_determinismE0ELb1ES3_N6thrust23THRUST_200600_302600_NS6detail15normal_iteratorINS9_10device_ptrIiEEEESE_SE_iNS9_4plusIvEENS9_8equal_toIvEEiEE10hipError_tPvRmT2_T3_T4_T5_mT6_T7_P12ihipStream_tbENKUlT_T0_E_clISt17integral_constantIbLb0EESY_IbLb1EEEEDaSU_SV_EUlSU_E_NS1_11comp_targetILNS1_3genE5ELNS1_11target_archE942ELNS1_3gpuE9ELNS1_3repE0EEENS1_30default_config_static_selectorELNS0_4arch9wavefront6targetE1EEEvT1_,"axG",@progbits,_ZN7rocprim17ROCPRIM_400000_NS6detail17trampoline_kernelINS0_14default_configENS1_27scan_by_key_config_selectorIiiEEZZNS1_16scan_by_key_implILNS1_25lookback_scan_determinismE0ELb1ES3_N6thrust23THRUST_200600_302600_NS6detail15normal_iteratorINS9_10device_ptrIiEEEESE_SE_iNS9_4plusIvEENS9_8equal_toIvEEiEE10hipError_tPvRmT2_T3_T4_T5_mT6_T7_P12ihipStream_tbENKUlT_T0_E_clISt17integral_constantIbLb0EESY_IbLb1EEEEDaSU_SV_EUlSU_E_NS1_11comp_targetILNS1_3genE5ELNS1_11target_archE942ELNS1_3gpuE9ELNS1_3repE0EEENS1_30default_config_static_selectorELNS0_4arch9wavefront6targetE1EEEvT1_,comdat
.Lfunc_end110:
	.size	_ZN7rocprim17ROCPRIM_400000_NS6detail17trampoline_kernelINS0_14default_configENS1_27scan_by_key_config_selectorIiiEEZZNS1_16scan_by_key_implILNS1_25lookback_scan_determinismE0ELb1ES3_N6thrust23THRUST_200600_302600_NS6detail15normal_iteratorINS9_10device_ptrIiEEEESE_SE_iNS9_4plusIvEENS9_8equal_toIvEEiEE10hipError_tPvRmT2_T3_T4_T5_mT6_T7_P12ihipStream_tbENKUlT_T0_E_clISt17integral_constantIbLb0EESY_IbLb1EEEEDaSU_SV_EUlSU_E_NS1_11comp_targetILNS1_3genE5ELNS1_11target_archE942ELNS1_3gpuE9ELNS1_3repE0EEENS1_30default_config_static_selectorELNS0_4arch9wavefront6targetE1EEEvT1_, .Lfunc_end110-_ZN7rocprim17ROCPRIM_400000_NS6detail17trampoline_kernelINS0_14default_configENS1_27scan_by_key_config_selectorIiiEEZZNS1_16scan_by_key_implILNS1_25lookback_scan_determinismE0ELb1ES3_N6thrust23THRUST_200600_302600_NS6detail15normal_iteratorINS9_10device_ptrIiEEEESE_SE_iNS9_4plusIvEENS9_8equal_toIvEEiEE10hipError_tPvRmT2_T3_T4_T5_mT6_T7_P12ihipStream_tbENKUlT_T0_E_clISt17integral_constantIbLb0EESY_IbLb1EEEEDaSU_SV_EUlSU_E_NS1_11comp_targetILNS1_3genE5ELNS1_11target_archE942ELNS1_3gpuE9ELNS1_3repE0EEENS1_30default_config_static_selectorELNS0_4arch9wavefront6targetE1EEEvT1_
                                        ; -- End function
	.section	.AMDGPU.csdata,"",@progbits
; Kernel info:
; codeLenInByte = 0
; NumSgprs: 4
; NumVgprs: 0
; NumAgprs: 0
; TotalNumVgprs: 0
; ScratchSize: 0
; MemoryBound: 0
; FloatMode: 240
; IeeeMode: 1
; LDSByteSize: 0 bytes/workgroup (compile time only)
; SGPRBlocks: 0
; VGPRBlocks: 0
; NumSGPRsForWavesPerEU: 4
; NumVGPRsForWavesPerEU: 1
; AccumOffset: 4
; Occupancy: 8
; WaveLimiterHint : 0
; COMPUTE_PGM_RSRC2:SCRATCH_EN: 0
; COMPUTE_PGM_RSRC2:USER_SGPR: 6
; COMPUTE_PGM_RSRC2:TRAP_HANDLER: 0
; COMPUTE_PGM_RSRC2:TGID_X_EN: 1
; COMPUTE_PGM_RSRC2:TGID_Y_EN: 0
; COMPUTE_PGM_RSRC2:TGID_Z_EN: 0
; COMPUTE_PGM_RSRC2:TIDIG_COMP_CNT: 0
; COMPUTE_PGM_RSRC3_GFX90A:ACCUM_OFFSET: 0
; COMPUTE_PGM_RSRC3_GFX90A:TG_SPLIT: 0
	.section	.text._ZN7rocprim17ROCPRIM_400000_NS6detail17trampoline_kernelINS0_14default_configENS1_27scan_by_key_config_selectorIiiEEZZNS1_16scan_by_key_implILNS1_25lookback_scan_determinismE0ELb1ES3_N6thrust23THRUST_200600_302600_NS6detail15normal_iteratorINS9_10device_ptrIiEEEESE_SE_iNS9_4plusIvEENS9_8equal_toIvEEiEE10hipError_tPvRmT2_T3_T4_T5_mT6_T7_P12ihipStream_tbENKUlT_T0_E_clISt17integral_constantIbLb0EESY_IbLb1EEEEDaSU_SV_EUlSU_E_NS1_11comp_targetILNS1_3genE4ELNS1_11target_archE910ELNS1_3gpuE8ELNS1_3repE0EEENS1_30default_config_static_selectorELNS0_4arch9wavefront6targetE1EEEvT1_,"axG",@progbits,_ZN7rocprim17ROCPRIM_400000_NS6detail17trampoline_kernelINS0_14default_configENS1_27scan_by_key_config_selectorIiiEEZZNS1_16scan_by_key_implILNS1_25lookback_scan_determinismE0ELb1ES3_N6thrust23THRUST_200600_302600_NS6detail15normal_iteratorINS9_10device_ptrIiEEEESE_SE_iNS9_4plusIvEENS9_8equal_toIvEEiEE10hipError_tPvRmT2_T3_T4_T5_mT6_T7_P12ihipStream_tbENKUlT_T0_E_clISt17integral_constantIbLb0EESY_IbLb1EEEEDaSU_SV_EUlSU_E_NS1_11comp_targetILNS1_3genE4ELNS1_11target_archE910ELNS1_3gpuE8ELNS1_3repE0EEENS1_30default_config_static_selectorELNS0_4arch9wavefront6targetE1EEEvT1_,comdat
	.protected	_ZN7rocprim17ROCPRIM_400000_NS6detail17trampoline_kernelINS0_14default_configENS1_27scan_by_key_config_selectorIiiEEZZNS1_16scan_by_key_implILNS1_25lookback_scan_determinismE0ELb1ES3_N6thrust23THRUST_200600_302600_NS6detail15normal_iteratorINS9_10device_ptrIiEEEESE_SE_iNS9_4plusIvEENS9_8equal_toIvEEiEE10hipError_tPvRmT2_T3_T4_T5_mT6_T7_P12ihipStream_tbENKUlT_T0_E_clISt17integral_constantIbLb0EESY_IbLb1EEEEDaSU_SV_EUlSU_E_NS1_11comp_targetILNS1_3genE4ELNS1_11target_archE910ELNS1_3gpuE8ELNS1_3repE0EEENS1_30default_config_static_selectorELNS0_4arch9wavefront6targetE1EEEvT1_ ; -- Begin function _ZN7rocprim17ROCPRIM_400000_NS6detail17trampoline_kernelINS0_14default_configENS1_27scan_by_key_config_selectorIiiEEZZNS1_16scan_by_key_implILNS1_25lookback_scan_determinismE0ELb1ES3_N6thrust23THRUST_200600_302600_NS6detail15normal_iteratorINS9_10device_ptrIiEEEESE_SE_iNS9_4plusIvEENS9_8equal_toIvEEiEE10hipError_tPvRmT2_T3_T4_T5_mT6_T7_P12ihipStream_tbENKUlT_T0_E_clISt17integral_constantIbLb0EESY_IbLb1EEEEDaSU_SV_EUlSU_E_NS1_11comp_targetILNS1_3genE4ELNS1_11target_archE910ELNS1_3gpuE8ELNS1_3repE0EEENS1_30default_config_static_selectorELNS0_4arch9wavefront6targetE1EEEvT1_
	.globl	_ZN7rocprim17ROCPRIM_400000_NS6detail17trampoline_kernelINS0_14default_configENS1_27scan_by_key_config_selectorIiiEEZZNS1_16scan_by_key_implILNS1_25lookback_scan_determinismE0ELb1ES3_N6thrust23THRUST_200600_302600_NS6detail15normal_iteratorINS9_10device_ptrIiEEEESE_SE_iNS9_4plusIvEENS9_8equal_toIvEEiEE10hipError_tPvRmT2_T3_T4_T5_mT6_T7_P12ihipStream_tbENKUlT_T0_E_clISt17integral_constantIbLb0EESY_IbLb1EEEEDaSU_SV_EUlSU_E_NS1_11comp_targetILNS1_3genE4ELNS1_11target_archE910ELNS1_3gpuE8ELNS1_3repE0EEENS1_30default_config_static_selectorELNS0_4arch9wavefront6targetE1EEEvT1_
	.p2align	8
	.type	_ZN7rocprim17ROCPRIM_400000_NS6detail17trampoline_kernelINS0_14default_configENS1_27scan_by_key_config_selectorIiiEEZZNS1_16scan_by_key_implILNS1_25lookback_scan_determinismE0ELb1ES3_N6thrust23THRUST_200600_302600_NS6detail15normal_iteratorINS9_10device_ptrIiEEEESE_SE_iNS9_4plusIvEENS9_8equal_toIvEEiEE10hipError_tPvRmT2_T3_T4_T5_mT6_T7_P12ihipStream_tbENKUlT_T0_E_clISt17integral_constantIbLb0EESY_IbLb1EEEEDaSU_SV_EUlSU_E_NS1_11comp_targetILNS1_3genE4ELNS1_11target_archE910ELNS1_3gpuE8ELNS1_3repE0EEENS1_30default_config_static_selectorELNS0_4arch9wavefront6targetE1EEEvT1_,@function
_ZN7rocprim17ROCPRIM_400000_NS6detail17trampoline_kernelINS0_14default_configENS1_27scan_by_key_config_selectorIiiEEZZNS1_16scan_by_key_implILNS1_25lookback_scan_determinismE0ELb1ES3_N6thrust23THRUST_200600_302600_NS6detail15normal_iteratorINS9_10device_ptrIiEEEESE_SE_iNS9_4plusIvEENS9_8equal_toIvEEiEE10hipError_tPvRmT2_T3_T4_T5_mT6_T7_P12ihipStream_tbENKUlT_T0_E_clISt17integral_constantIbLb0EESY_IbLb1EEEEDaSU_SV_EUlSU_E_NS1_11comp_targetILNS1_3genE4ELNS1_11target_archE910ELNS1_3gpuE8ELNS1_3repE0EEENS1_30default_config_static_selectorELNS0_4arch9wavefront6targetE1EEEvT1_: ; @_ZN7rocprim17ROCPRIM_400000_NS6detail17trampoline_kernelINS0_14default_configENS1_27scan_by_key_config_selectorIiiEEZZNS1_16scan_by_key_implILNS1_25lookback_scan_determinismE0ELb1ES3_N6thrust23THRUST_200600_302600_NS6detail15normal_iteratorINS9_10device_ptrIiEEEESE_SE_iNS9_4plusIvEENS9_8equal_toIvEEiEE10hipError_tPvRmT2_T3_T4_T5_mT6_T7_P12ihipStream_tbENKUlT_T0_E_clISt17integral_constantIbLb0EESY_IbLb1EEEEDaSU_SV_EUlSU_E_NS1_11comp_targetILNS1_3genE4ELNS1_11target_archE910ELNS1_3gpuE8ELNS1_3repE0EEENS1_30default_config_static_selectorELNS0_4arch9wavefront6targetE1EEEvT1_
; %bb.0:
	s_load_dword s54, s[4:5], 0x20
	s_load_dwordx4 s[44:47], s[4:5], 0x28
	s_load_dwordx2 s[52:53], s[4:5], 0x38
	v_cmp_eq_u32_e64 s[0:1], 0, v0
	s_and_saveexec_b64 s[2:3], s[0:1]
	s_cbranch_execz .LBB111_4
; %bb.1:
	s_mov_b64 s[8:9], exec
	v_mbcnt_lo_u32_b32 v1, s8, 0
	v_mbcnt_hi_u32_b32 v1, s9, v1
	v_cmp_eq_u32_e32 vcc, 0, v1
                                        ; implicit-def: $vgpr2
	s_and_saveexec_b64 s[6:7], vcc
	s_cbranch_execz .LBB111_3
; %bb.2:
	s_load_dwordx2 s[10:11], s[4:5], 0x68
	s_bcnt1_i32_b64 s8, s[8:9]
	v_mov_b32_e32 v2, 0
	v_mov_b32_e32 v3, s8
	s_waitcnt lgkmcnt(0)
	global_atomic_add v2, v2, v3, s[10:11] glc
.LBB111_3:
	s_or_b64 exec, exec, s[6:7]
	s_waitcnt vmcnt(0)
	v_readfirstlane_b32 s6, v2
	v_add_u32_e32 v1, s6, v1
	v_mov_b32_e32 v2, 0
	ds_write_b32 v2, v1
.LBB111_4:
	s_or_b64 exec, exec, s[2:3]
	s_load_dwordx8 s[36:43], s[4:5], 0x0
	s_load_dword s2, s[4:5], 0x40
	s_load_dwordx4 s[48:51], s[4:5], 0x48
	v_mov_b32_e32 v3, 0
	s_waitcnt lgkmcnt(0)
	s_lshl_b64 s[34:35], s[38:39], 2
	s_barrier
	ds_read_b32 v4, v3
	s_add_u32 s3, s36, s34
	s_addc_u32 s4, s37, s35
	s_add_u32 s5, s40, s34
	s_mul_i32 s7, s53, s2
	s_mul_hi_u32 s8, s52, s2
	s_addc_u32 s6, s41, s35
	s_add_i32 s7, s8, s7
	s_movk_i32 s8, 0xe00
	s_waitcnt lgkmcnt(0)
	v_mul_lo_u32 v2, v4, s8
	v_lshlrev_b64 v[38:39], 2, v[2:3]
	v_mov_b32_e32 v1, s4
	v_add_co_u32_e32 v42, vcc, s3, v38
	v_addc_co_u32_e32 v43, vcc, v1, v39, vcc
	v_mov_b32_e32 v2, s6
	v_add_co_u32_e32 v1, vcc, s5, v38
	s_mul_i32 s2, s52, s2
	v_addc_co_u32_e32 v48, vcc, v2, v39, vcc
	v_mov_b32_e32 v3, s7
	v_add_co_u32_e32 v2, vcc, s2, v4
	s_add_u32 s4, s48, -1
	v_addc_co_u32_e32 v3, vcc, 0, v3, vcc
	s_addc_u32 s5, s49, -1
	v_cmp_le_u64_e64 s[2:3], s[4:5], v[2:3]
	v_readfirstlane_b32 s47, v4
	s_mov_b64 s[12:13], -1
	s_and_b64 vcc, exec, s[2:3]
	s_mul_i32 s33, s4, 0xfffff200
	s_barrier
	s_barrier
	s_cbranch_vccz .LBB111_80
; %bb.5:
	flat_load_dword v13, v[42:43]
	s_add_i32 s40, s33, s46
	v_cmp_gt_u32_e32 vcc, s40, v0
	s_waitcnt vmcnt(0) lgkmcnt(0)
	v_mov_b32_e32 v14, v13
	s_and_saveexec_b64 s[6:7], vcc
	s_cbranch_execz .LBB111_7
; %bb.6:
	v_lshlrev_b32_e32 v2, 2, v0
	v_add_co_u32_e64 v2, s[4:5], v42, v2
	v_addc_co_u32_e64 v3, s[4:5], 0, v43, s[4:5]
	flat_load_dword v14, v[2:3]
.LBB111_7:
	s_or_b64 exec, exec, s[6:7]
	v_or_b32_e32 v2, 0x100, v0
	v_cmp_gt_u32_e64 s[4:5], s40, v2
	v_mov_b32_e32 v15, v13
	s_and_saveexec_b64 s[8:9], s[4:5]
	s_cbranch_execz .LBB111_9
; %bb.8:
	v_lshlrev_b32_e32 v2, 2, v0
	v_add_co_u32_e64 v2, s[6:7], v42, v2
	v_addc_co_u32_e64 v3, s[6:7], 0, v43, s[6:7]
	flat_load_dword v15, v[2:3] offset:1024
.LBB111_9:
	s_or_b64 exec, exec, s[8:9]
	v_or_b32_e32 v2, 0x200, v0
	v_cmp_gt_u32_e64 s[6:7], s40, v2
	v_mov_b32_e32 v16, v13
	s_and_saveexec_b64 s[10:11], s[6:7]
	s_cbranch_execz .LBB111_11
; %bb.10:
	v_lshlrev_b32_e32 v2, 2, v0
	v_add_co_u32_e64 v2, s[8:9], v42, v2
	v_addc_co_u32_e64 v3, s[8:9], 0, v43, s[8:9]
	flat_load_dword v16, v[2:3] offset:2048
.LBB111_11:
	;; [unrolled: 12-line block ×3, first 2 shown]
	s_or_b64 exec, exec, s[12:13]
	v_or_b32_e32 v2, 0x400, v0
	v_cmp_gt_u32_e64 s[10:11], s40, v2
	v_lshlrev_b32_e32 v2, 2, v2
	v_mov_b32_e32 v18, v13
	s_and_saveexec_b64 s[14:15], s[10:11]
	s_cbranch_execz .LBB111_15
; %bb.14:
	v_add_co_u32_e64 v4, s[12:13], v42, v2
	v_addc_co_u32_e64 v5, s[12:13], 0, v43, s[12:13]
	flat_load_dword v18, v[4:5]
.LBB111_15:
	s_or_b64 exec, exec, s[14:15]
	v_or_b32_e32 v3, 0x500, v0
	v_cmp_gt_u32_e64 s[12:13], s40, v3
	v_lshlrev_b32_e32 v3, 2, v3
	v_mov_b32_e32 v19, v13
	s_and_saveexec_b64 s[16:17], s[12:13]
	s_cbranch_execz .LBB111_17
; %bb.16:
	v_add_co_u32_e64 v4, s[14:15], v42, v3
	v_addc_co_u32_e64 v5, s[14:15], 0, v43, s[14:15]
	flat_load_dword v19, v[4:5]
.LBB111_17:
	;; [unrolled: 12-line block ×9, first 2 shown]
	s_or_b64 exec, exec, s[30:31]
	v_or_b32_e32 v11, 0xd00, v0
	v_cmp_gt_u32_e64 s[28:29], s40, v11
	v_lshlrev_b32_e32 v11, 2, v11
	s_and_saveexec_b64 s[36:37], s[28:29]
	s_cbranch_execz .LBB111_33
; %bb.32:
	v_add_co_u32_e64 v12, s[30:31], v42, v11
	v_addc_co_u32_e64 v13, s[30:31], 0, v43, s[30:31]
	flat_load_dword v13, v[12:13]
.LBB111_33:
	s_or_b64 exec, exec, s[36:37]
	v_lshlrev_b32_e32 v12, 2, v0
	s_waitcnt vmcnt(0) lgkmcnt(0)
	ds_write2st64_b32 v12, v14, v15 offset1:4
	ds_write2st64_b32 v12, v16, v17 offset0:8 offset1:12
	ds_write2st64_b32 v12, v18, v19 offset0:16 offset1:20
	;; [unrolled: 1-line block ×6, first 2 shown]
	s_waitcnt lgkmcnt(0)
	s_barrier
	flat_load_dword v49, v[42:43]
	v_mad_u32_u24 v50, v0, 52, v12
	s_movk_i32 s30, 0xffcc
	ds_read2_b64 v[34:37], v50 offset1:1
	ds_read2_b64 v[30:33], v50 offset0:2 offset1:3
	ds_read2_b64 v[26:29], v50 offset0:4 offset1:5
	ds_read_b64 v[44:45], v50 offset:48
	v_mad_i32_i24 v13, v0, s30, v50
	s_movk_i32 s30, 0xff
	v_cmp_ne_u32_e64 s[30:31], s30, v0
	s_waitcnt lgkmcnt(0)
	ds_write_b32 v13, v34 offset:15360
	s_waitcnt lgkmcnt(0)
	s_barrier
	s_and_saveexec_b64 s[36:37], s[30:31]
	s_cbranch_execz .LBB111_35
; %bb.34:
	s_waitcnt vmcnt(0)
	ds_read_b32 v49, v12 offset:15364
.LBB111_35:
	s_or_b64 exec, exec, s[36:37]
	s_waitcnt lgkmcnt(0)
	s_barrier
	s_waitcnt lgkmcnt(0)
                                        ; implicit-def: $vgpr13
	s_and_saveexec_b64 s[30:31], vcc
	s_cbranch_execz .LBB111_117
; %bb.36:
	v_add_co_u32_e32 v14, vcc, v1, v12
	v_addc_co_u32_e32 v15, vcc, 0, v48, vcc
	flat_load_dword v13, v[14:15]
	s_or_b64 exec, exec, s[30:31]
                                        ; implicit-def: $vgpr14
	s_and_saveexec_b64 s[30:31], s[4:5]
	s_cbranch_execnz .LBB111_118
.LBB111_37:
	s_or_b64 exec, exec, s[30:31]
                                        ; implicit-def: $vgpr15
	s_and_saveexec_b64 s[4:5], s[6:7]
	s_cbranch_execz .LBB111_119
.LBB111_38:
	v_add_co_u32_e32 v16, vcc, v1, v12
	v_addc_co_u32_e32 v17, vcc, 0, v48, vcc
	flat_load_dword v15, v[16:17] offset:2048
	s_or_b64 exec, exec, s[4:5]
                                        ; implicit-def: $vgpr16
	s_and_saveexec_b64 s[4:5], s[8:9]
	s_cbranch_execnz .LBB111_120
.LBB111_39:
	s_or_b64 exec, exec, s[4:5]
                                        ; implicit-def: $vgpr17
	s_and_saveexec_b64 s[4:5], s[10:11]
	s_cbranch_execz .LBB111_121
.LBB111_40:
	v_add_co_u32_e32 v18, vcc, v1, v2
	v_addc_co_u32_e32 v19, vcc, 0, v48, vcc
	flat_load_dword v17, v[18:19]
	s_or_b64 exec, exec, s[4:5]
                                        ; implicit-def: $vgpr2
	s_and_saveexec_b64 s[4:5], s[12:13]
	s_cbranch_execnz .LBB111_122
.LBB111_41:
	s_or_b64 exec, exec, s[4:5]
                                        ; implicit-def: $vgpr3
	s_and_saveexec_b64 s[4:5], s[14:15]
	s_cbranch_execz .LBB111_123
.LBB111_42:
	v_add_co_u32_e32 v18, vcc, v1, v4
	v_addc_co_u32_e32 v19, vcc, 0, v48, vcc
	flat_load_dword v3, v[18:19]
	s_or_b64 exec, exec, s[4:5]
                                        ; implicit-def: $vgpr4
	s_and_saveexec_b64 s[4:5], s[16:17]
	s_cbranch_execnz .LBB111_124
.LBB111_43:
	s_or_b64 exec, exec, s[4:5]
                                        ; implicit-def: $vgpr5
	s_and_saveexec_b64 s[4:5], s[18:19]
	s_cbranch_execz .LBB111_125
.LBB111_44:
	v_add_co_u32_e32 v18, vcc, v1, v6
	v_addc_co_u32_e32 v19, vcc, 0, v48, vcc
	flat_load_dword v5, v[18:19]
	s_or_b64 exec, exec, s[4:5]
                                        ; implicit-def: $vgpr6
	s_and_saveexec_b64 s[4:5], s[20:21]
	s_cbranch_execnz .LBB111_126
.LBB111_45:
	s_or_b64 exec, exec, s[4:5]
                                        ; implicit-def: $vgpr7
	s_and_saveexec_b64 s[4:5], s[22:23]
	s_cbranch_execz .LBB111_127
.LBB111_46:
	v_add_co_u32_e32 v18, vcc, v1, v8
	v_addc_co_u32_e32 v19, vcc, 0, v48, vcc
	flat_load_dword v7, v[18:19]
	s_or_b64 exec, exec, s[4:5]
                                        ; implicit-def: $vgpr8
	s_and_saveexec_b64 s[4:5], s[24:25]
	s_cbranch_execnz .LBB111_128
.LBB111_47:
	s_or_b64 exec, exec, s[4:5]
                                        ; implicit-def: $vgpr9
	s_and_saveexec_b64 s[4:5], s[26:27]
	s_cbranch_execz .LBB111_49
.LBB111_48:
	v_add_co_u32_e32 v18, vcc, v1, v10
	v_addc_co_u32_e32 v19, vcc, 0, v48, vcc
	flat_load_dword v9, v[18:19]
.LBB111_49:
	s_or_b64 exec, exec, s[4:5]
	v_mul_u32_u24_e32 v51, 14, v0
                                        ; implicit-def: $vgpr10
	s_and_saveexec_b64 s[4:5], s[28:29]
	s_cbranch_execz .LBB111_51
; %bb.50:
	v_add_co_u32_e32 v10, vcc, v1, v11
	v_addc_co_u32_e32 v11, vcc, 0, v48, vcc
	flat_load_dword v10, v[10:11]
.LBB111_51:
	s_or_b64 exec, exec, s[4:5]
	s_mov_b32 s4, 0
	s_mov_b32 s5, s4
	s_waitcnt vmcnt(0) lgkmcnt(0)
	ds_write2st64_b32 v12, v13, v14 offset1:4
	ds_write2st64_b32 v12, v15, v16 offset0:8 offset1:12
	ds_write2st64_b32 v12, v17, v2 offset0:16 offset1:20
	;; [unrolled: 1-line block ×6, first 2 shown]
	s_mov_b32 s6, s4
	s_mov_b32 s7, s4
	;; [unrolled: 1-line block ×6, first 2 shown]
	v_pk_mov_b32 v[2:3], s[4:5], s[4:5] op_sel:[0,1]
	v_pk_mov_b32 v[8:9], s[10:11], s[10:11] op_sel:[0,1]
	;; [unrolled: 1-line block ×6, first 2 shown]
	v_cmp_gt_u32_e32 vcc, s40, v51
	s_mov_b64 s[12:13], 0
	v_pk_mov_b32 v[40:41], 0, 0
	s_mov_b64 s[18:19], 0
	v_pk_mov_b32 v[14:15], v[6:7], v[6:7] op_sel:[0,1]
	v_pk_mov_b32 v[12:13], v[4:5], v[4:5] op_sel:[0,1]
	;; [unrolled: 1-line block ×6, first 2 shown]
	s_waitcnt lgkmcnt(0)
	s_barrier
	s_waitcnt lgkmcnt(0)
                                        ; implicit-def: $sgpr16_sgpr17
                                        ; implicit-def: $vgpr46
	s_and_saveexec_b64 s[14:15], vcc
	s_cbranch_execz .LBB111_79
; %bb.52:
	ds_read_b32 v2, v50
	v_mov_b32_e32 v4, s54
	v_cmp_eq_u32_e32 vcc, v34, v35
	v_or_b32_e32 v3, 1, v51
                                        ; implicit-def: $vgpr46
	s_waitcnt lgkmcnt(0)
	v_cndmask_b32_e32 v40, v4, v2, vcc
	v_cmp_ne_u32_e32 vcc, v34, v35
	v_cndmask_b32_e64 v41, 0, 1, vcc
	v_cmp_gt_u32_e32 vcc, s40, v3
	v_pk_mov_b32 v[2:3], s[4:5], s[4:5] op_sel:[0,1]
	v_pk_mov_b32 v[8:9], s[10:11], s[10:11] op_sel:[0,1]
	;; [unrolled: 1-line block ×12, first 2 shown]
                                        ; implicit-def: $sgpr4_sgpr5
	s_and_saveexec_b64 s[16:17], vcc
	s_cbranch_execz .LBB111_78
; %bb.53:
	ds_read2_b32 v[46:47], v50 offset0:1 offset1:2
	s_mov_b32 s4, 0
	v_mov_b32_e32 v3, s54
	v_cmp_eq_u32_e32 vcc, v35, v36
	s_mov_b32 s10, s4
	s_mov_b32 s11, s4
	v_add_u32_e32 v2, 2, v51
	s_waitcnt lgkmcnt(0)
	v_cndmask_b32_e32 v8, v3, v46, vcc
	v_cmp_ne_u32_e32 vcc, v35, v36
	s_mov_b32 s5, s4
	s_mov_b32 s6, s4
	;; [unrolled: 1-line block ×5, first 2 shown]
	v_pk_mov_b32 v[16:17], s[10:11], s[10:11] op_sel:[0,1]
	v_cndmask_b32_e64 v9, 0, 1, vcc
	v_cmp_gt_u32_e32 vcc, s40, v2
	v_mov_b32_e32 v2, 0
	v_pk_mov_b32 v[14:15], s[8:9], s[8:9] op_sel:[0,1]
	v_pk_mov_b32 v[12:13], s[6:7], s[6:7] op_sel:[0,1]
	;; [unrolled: 1-line block ×4, first 2 shown]
	v_mov_b32_e32 v3, v2
	v_mov_b32_e32 v4, v2
	;; [unrolled: 1-line block ×5, first 2 shown]
	s_mov_b64 s[20:21], 0
	v_pk_mov_b32 v[22:23], v[14:15], v[14:15] op_sel:[0,1]
	v_pk_mov_b32 v[20:21], v[12:13], v[12:13] op_sel:[0,1]
	;; [unrolled: 1-line block ×3, first 2 shown]
                                        ; implicit-def: $sgpr24_sgpr25
                                        ; implicit-def: $vgpr46
	s_and_saveexec_b64 s[18:19], vcc
	s_cbranch_execz .LBB111_77
; %bb.54:
	v_mov_b32_e32 v4, s54
	v_cmp_eq_u32_e32 vcc, v36, v37
	v_pk_mov_b32 v[16:17], s[10:11], s[10:11] op_sel:[0,1]
	v_add_u32_e32 v3, 3, v51
	v_cndmask_b32_e32 v6, v4, v47, vcc
	v_cmp_ne_u32_e32 vcc, v36, v37
	v_pk_mov_b32 v[14:15], s[8:9], s[8:9] op_sel:[0,1]
	v_pk_mov_b32 v[12:13], s[6:7], s[6:7] op_sel:[0,1]
	;; [unrolled: 1-line block ×4, first 2 shown]
	v_cndmask_b32_e64 v7, 0, 1, vcc
	v_cmp_gt_u32_e32 vcc, s40, v3
	v_mov_b32_e32 v3, v2
	v_mov_b32_e32 v4, v2
	v_mov_b32_e32 v5, v2
	s_mov_b64 s[22:23], 0
	v_pk_mov_b32 v[22:23], v[14:15], v[14:15] op_sel:[0,1]
	v_pk_mov_b32 v[20:21], v[12:13], v[12:13] op_sel:[0,1]
	;; [unrolled: 1-line block ×3, first 2 shown]
                                        ; implicit-def: $sgpr4_sgpr5
                                        ; implicit-def: $vgpr46
	s_and_saveexec_b64 s[20:21], vcc
	s_cbranch_execz .LBB111_76
; %bb.55:
	ds_read2_b32 v[34:35], v50 offset0:3 offset1:4
	s_mov_b32 s4, 0
	s_mov_b32 s10, s4
	;; [unrolled: 1-line block ×3, first 2 shown]
	v_mov_b32_e32 v3, s54
	v_cmp_eq_u32_e32 vcc, v37, v30
	s_mov_b32 s5, s4
	s_mov_b32 s6, s4
	s_mov_b32 s7, s4
	s_mov_b32 s8, s4
	s_mov_b32 s9, s4
	v_pk_mov_b32 v[16:17], s[10:11], s[10:11] op_sel:[0,1]
	v_add_u32_e32 v2, 4, v51
	s_waitcnt lgkmcnt(0)
	v_cndmask_b32_e32 v4, v3, v34, vcc
	v_cmp_ne_u32_e32 vcc, v37, v30
	v_pk_mov_b32 v[14:15], s[8:9], s[8:9] op_sel:[0,1]
	v_pk_mov_b32 v[12:13], s[6:7], s[6:7] op_sel:[0,1]
	;; [unrolled: 1-line block ×4, first 2 shown]
	v_cndmask_b32_e64 v5, 0, 1, vcc
	v_cmp_gt_u32_e32 vcc, s40, v2
	v_mov_b32_e32 v2, s4
	v_mov_b32_e32 v3, s4
	s_mov_b64 s[24:25], 0
	v_pk_mov_b32 v[22:23], v[14:15], v[14:15] op_sel:[0,1]
	v_pk_mov_b32 v[20:21], v[12:13], v[12:13] op_sel:[0,1]
	v_pk_mov_b32 v[18:19], v[10:11], v[10:11] op_sel:[0,1]
                                        ; implicit-def: $sgpr26_sgpr27
                                        ; implicit-def: $vgpr46
	s_and_saveexec_b64 s[22:23], vcc
	s_cbranch_execz .LBB111_75
; %bb.56:
	v_mov_b32_e32 v2, s54
	v_cmp_eq_u32_e32 vcc, v30, v31
	v_add_u32_e32 v10, 5, v51
	v_cndmask_b32_e32 v2, v2, v35, vcc
	v_cmp_ne_u32_e32 vcc, v30, v31
	v_cndmask_b32_e64 v3, 0, 1, vcc
	v_cmp_gt_u32_e32 vcc, s40, v10
	v_pk_mov_b32 v[16:17], s[10:11], s[10:11] op_sel:[0,1]
	v_pk_mov_b32 v[14:15], s[8:9], s[8:9] op_sel:[0,1]
	v_pk_mov_b32 v[12:13], s[6:7], s[6:7] op_sel:[0,1]
	v_pk_mov_b32 v[10:11], s[4:5], s[4:5] op_sel:[0,1]
	v_pk_mov_b32 v[24:25], v[16:17], v[16:17] op_sel:[0,1]
	s_mov_b64 s[28:29], 0
	v_pk_mov_b32 v[22:23], v[14:15], v[14:15] op_sel:[0,1]
	v_pk_mov_b32 v[20:21], v[12:13], v[12:13] op_sel:[0,1]
	;; [unrolled: 1-line block ×3, first 2 shown]
                                        ; implicit-def: $sgpr4_sgpr5
                                        ; implicit-def: $vgpr46
	s_and_saveexec_b64 s[24:25], vcc
	s_cbranch_execz .LBB111_74
; %bb.57:
	ds_read2_b32 v[34:35], v50 offset0:5 offset1:6
	v_mov_b32_e32 v11, s54
	v_cmp_eq_u32_e32 vcc, v31, v32
	s_mov_b32 s4, 0
	v_add_u32_e32 v10, 6, v51
	s_waitcnt lgkmcnt(0)
	v_cndmask_b32_e32 v16, v11, v34, vcc
	v_cmp_ne_u32_e32 vcc, v31, v32
	s_mov_b32 s10, s4
	s_mov_b32 s11, s4
	v_cndmask_b32_e64 v17, 0, 1, vcc
	v_cmp_gt_u32_e32 vcc, s40, v10
	v_mov_b32_e32 v10, 0
	s_mov_b32 s5, s4
	s_mov_b32 s6, s4
	;; [unrolled: 1-line block ×5, first 2 shown]
	v_pk_mov_b32 v[24:25], s[10:11], s[10:11] op_sel:[0,1]
	v_mov_b32_e32 v11, v10
	v_mov_b32_e32 v12, v10
	;; [unrolled: 1-line block ×5, first 2 shown]
	v_pk_mov_b32 v[22:23], s[8:9], s[8:9] op_sel:[0,1]
	v_pk_mov_b32 v[20:21], s[6:7], s[6:7] op_sel:[0,1]
	v_pk_mov_b32 v[18:19], s[4:5], s[4:5] op_sel:[0,1]
                                        ; implicit-def: $sgpr36_sgpr37
                                        ; implicit-def: $vgpr46
	s_and_saveexec_b64 s[26:27], vcc
	s_cbranch_execz .LBB111_73
; %bb.58:
	v_mov_b32_e32 v12, s54
	v_cmp_eq_u32_e32 vcc, v32, v33
	v_add_u32_e32 v11, 7, v51
	v_cndmask_b32_e32 v14, v12, v35, vcc
	v_cmp_ne_u32_e32 vcc, v32, v33
	v_pk_mov_b32 v[24:25], s[10:11], s[10:11] op_sel:[0,1]
	v_cndmask_b32_e64 v15, 0, 1, vcc
	v_cmp_gt_u32_e32 vcc, s40, v11
	v_mov_b32_e32 v11, v10
	v_mov_b32_e32 v12, v10
	;; [unrolled: 1-line block ×3, first 2 shown]
	s_mov_b64 s[30:31], 0
	v_pk_mov_b32 v[22:23], s[8:9], s[8:9] op_sel:[0,1]
	v_pk_mov_b32 v[20:21], s[6:7], s[6:7] op_sel:[0,1]
	v_pk_mov_b32 v[18:19], s[4:5], s[4:5] op_sel:[0,1]
                                        ; implicit-def: $sgpr4_sgpr5
                                        ; implicit-def: $vgpr46
	s_and_saveexec_b64 s[28:29], vcc
	s_cbranch_execz .LBB111_72
; %bb.59:
	ds_read2_b32 v[30:31], v50 offset0:7 offset1:8
	s_mov_b32 s4, 0
	v_mov_b32_e32 v11, s54
	v_cmp_eq_u32_e32 vcc, v33, v26
	s_mov_b32 s10, s4
	s_mov_b32 s11, s4
	v_add_u32_e32 v10, 8, v51
	s_waitcnt lgkmcnt(0)
	v_cndmask_b32_e32 v12, v11, v30, vcc
	v_cmp_ne_u32_e32 vcc, v33, v26
	s_mov_b32 s5, s4
	s_mov_b32 s6, s4
	;; [unrolled: 1-line block ×5, first 2 shown]
	v_pk_mov_b32 v[24:25], s[10:11], s[10:11] op_sel:[0,1]
	v_cndmask_b32_e64 v13, 0, 1, vcc
	v_cmp_gt_u32_e32 vcc, s40, v10
	v_mov_b32_e32 v10, s4
	v_mov_b32_e32 v11, s4
	s_mov_b64 s[36:37], 0
	v_pk_mov_b32 v[22:23], s[8:9], s[8:9] op_sel:[0,1]
	v_pk_mov_b32 v[20:21], s[6:7], s[6:7] op_sel:[0,1]
	;; [unrolled: 1-line block ×3, first 2 shown]
                                        ; implicit-def: $sgpr38_sgpr39
                                        ; implicit-def: $vgpr46
	s_and_saveexec_b64 s[30:31], vcc
	s_cbranch_execz .LBB111_71
; %bb.60:
	v_mov_b32_e32 v10, s54
	v_cmp_eq_u32_e32 vcc, v26, v27
	v_add_u32_e32 v18, 9, v51
	v_cndmask_b32_e32 v10, v10, v31, vcc
	v_cmp_ne_u32_e32 vcc, v26, v27
	v_cndmask_b32_e64 v11, 0, 1, vcc
	v_cmp_gt_u32_e32 vcc, s40, v18
	v_pk_mov_b32 v[24:25], s[10:11], s[10:11] op_sel:[0,1]
	v_pk_mov_b32 v[22:23], s[8:9], s[8:9] op_sel:[0,1]
	;; [unrolled: 1-line block ×4, first 2 shown]
                                        ; implicit-def: $sgpr6_sgpr7
                                        ; implicit-def: $vgpr46
	s_and_saveexec_b64 s[4:5], vcc
	s_cbranch_execz .LBB111_70
; %bb.61:
	ds_read2_b32 v[30:31], v50 offset0:9 offset1:10
	v_mov_b32_e32 v18, s54
	v_cmp_eq_u32_e32 vcc, v27, v28
	v_add_u32_e32 v20, 10, v51
	v_mov_b32_e32 v22, 0
	s_waitcnt lgkmcnt(0)
	v_cndmask_b32_e32 v18, v18, v30, vcc
	v_cmp_ne_u32_e32 vcc, v27, v28
	v_cndmask_b32_e64 v19, 0, 1, vcc
	v_cmp_gt_u32_e32 vcc, s40, v20
	v_mov_b32_e32 v20, v22
	v_mov_b32_e32 v21, v22
	;; [unrolled: 1-line block ×5, first 2 shown]
	s_mov_b64 s[8:9], 0
                                        ; implicit-def: $sgpr36_sgpr37
                                        ; implicit-def: $vgpr46
	s_and_saveexec_b64 s[6:7], vcc
	s_cbranch_execz .LBB111_69
; %bb.62:
	v_mov_b32_e32 v20, s54
	v_cmp_eq_u32_e32 vcc, v28, v29
	v_add_u32_e32 v23, 11, v51
	v_cndmask_b32_e32 v20, v20, v31, vcc
	v_cmp_ne_u32_e32 vcc, v28, v29
	v_cndmask_b32_e64 v21, 0, 1, vcc
	v_cmp_gt_u32_e32 vcc, s40, v23
	s_mov_b32 s36, 0
	v_mov_b32_e32 v23, v22
	v_mov_b32_e32 v24, v22
	;; [unrolled: 1-line block ×3, first 2 shown]
	s_mov_b64 s[10:11], 0
                                        ; implicit-def: $sgpr38_sgpr39
                                        ; implicit-def: $vgpr46
	s_and_saveexec_b64 s[8:9], vcc
	s_cbranch_execz .LBB111_68
; %bb.63:
	ds_read2_b32 v[26:27], v50 offset0:11 offset1:12
	v_mov_b32_e32 v22, s54
	v_cmp_eq_u32_e32 vcc, v29, v44
	v_add_u32_e32 v24, 12, v51
	v_mov_b32_e32 v25, s36
	s_waitcnt lgkmcnt(0)
	v_cndmask_b32_e32 v22, v22, v26, vcc
	v_cmp_ne_u32_e32 vcc, v29, v44
	v_cndmask_b32_e64 v23, 0, 1, vcc
	v_cmp_gt_u32_e32 vcc, s40, v24
	v_mov_b32_e32 v24, s36
	s_mov_b64 s[36:37], 0
                                        ; implicit-def: $sgpr38_sgpr39
                                        ; implicit-def: $vgpr46
	s_and_saveexec_b64 s[10:11], vcc
	s_cbranch_execz .LBB111_67
; %bb.64:
	v_mov_b32_e32 v24, s54
	v_cmp_eq_u32_e32 vcc, v44, v45
	v_add_u32_e32 v26, 13, v51
	v_cndmask_b32_e32 v24, v24, v27, vcc
	v_cmp_ne_u32_e32 vcc, v44, v45
	v_cndmask_b32_e64 v25, 0, 1, vcc
	v_cmp_gt_u32_e32 vcc, s40, v26
                                        ; implicit-def: $sgpr38_sgpr39
                                        ; implicit-def: $vgpr46
	s_and_saveexec_b64 s[40:41], vcc
	s_xor_b64 s[40:41], exec, s[40:41]
	s_cbranch_execz .LBB111_66
; %bb.65:
	ds_read_b32 v26, v50 offset:52
	v_mov_b32_e32 v27, s54
	v_cmp_ne_u32_e32 vcc, v45, v49
	s_mov_b64 s[36:37], exec
	s_and_b64 s[38:39], vcc, exec
	s_waitcnt lgkmcnt(0)
	v_cndmask_b32_e32 v46, v26, v27, vcc
.LBB111_66:
	s_or_b64 exec, exec, s[40:41]
	s_and_b64 s[38:39], s[38:39], exec
	s_and_b64 s[36:37], s[36:37], exec
.LBB111_67:
	s_or_b64 exec, exec, s[10:11]
	s_and_b64 s[38:39], s[38:39], exec
	s_and_b64 s[10:11], s[36:37], exec
.LBB111_68:
	s_or_b64 exec, exec, s[8:9]
	s_and_b64 s[36:37], s[38:39], exec
	s_and_b64 s[8:9], s[10:11], exec
.LBB111_69:
	s_or_b64 exec, exec, s[6:7]
	s_and_b64 s[6:7], s[36:37], exec
	s_and_b64 s[36:37], s[8:9], exec
.LBB111_70:
	s_or_b64 exec, exec, s[4:5]
	s_and_b64 s[38:39], s[6:7], exec
	s_and_b64 s[36:37], s[36:37], exec
.LBB111_71:
	s_or_b64 exec, exec, s[30:31]
	s_and_b64 s[4:5], s[38:39], exec
	s_and_b64 s[30:31], s[36:37], exec
.LBB111_72:
	s_or_b64 exec, exec, s[28:29]
	s_and_b64 s[36:37], s[4:5], exec
	s_and_b64 s[28:29], s[30:31], exec
.LBB111_73:
	s_or_b64 exec, exec, s[26:27]
	s_and_b64 s[4:5], s[36:37], exec
	s_and_b64 s[28:29], s[28:29], exec
.LBB111_74:
	s_or_b64 exec, exec, s[24:25]
	s_and_b64 s[26:27], s[4:5], exec
	s_and_b64 s[24:25], s[28:29], exec
.LBB111_75:
	s_or_b64 exec, exec, s[22:23]
	s_and_b64 s[4:5], s[26:27], exec
	s_and_b64 s[22:23], s[24:25], exec
.LBB111_76:
	s_or_b64 exec, exec, s[20:21]
	s_and_b64 s[24:25], s[4:5], exec
	s_and_b64 s[20:21], s[22:23], exec
.LBB111_77:
	s_or_b64 exec, exec, s[18:19]
	s_and_b64 s[4:5], s[24:25], exec
	s_and_b64 s[18:19], s[20:21], exec
.LBB111_78:
	s_or_b64 exec, exec, s[16:17]
	s_and_b64 s[16:17], s[4:5], exec
	s_and_b64 s[18:19], s[18:19], exec
.LBB111_79:
	s_or_b64 exec, exec, s[14:15]
	s_and_b64 vcc, exec, s[12:13]
	v_lshlrev_b32_e32 v52, 2, v0
	s_cbranch_vccnz .LBB111_81
	s_branch .LBB111_86
.LBB111_80:
	s_mov_b64 s[18:19], 0
                                        ; implicit-def: $sgpr16_sgpr17
                                        ; implicit-def: $vgpr2_vgpr3_vgpr4_vgpr5_vgpr6_vgpr7_vgpr8_vgpr9
                                        ; implicit-def: $vgpr10_vgpr11_vgpr12_vgpr13_vgpr14_vgpr15_vgpr16_vgpr17
                                        ; implicit-def: $vgpr18_vgpr19_vgpr20_vgpr21_vgpr22_vgpr23_vgpr24_vgpr25
                                        ; implicit-def: $vgpr46
                                        ; implicit-def: $vgpr40_vgpr41
	s_and_b64 vcc, exec, s[12:13]
	v_lshlrev_b32_e32 v52, 2, v0
	s_cbranch_vccz .LBB111_86
.LBB111_81:
	v_add_co_u32_e32 v2, vcc, v42, v52
	v_addc_co_u32_e32 v3, vcc, 0, v43, vcc
	v_add_co_u32_e32 v4, vcc, 0x1000, v2
	v_addc_co_u32_e32 v5, vcc, 0, v3, vcc
	flat_load_dword v6, v[2:3]
	flat_load_dword v7, v[2:3] offset:1024
	flat_load_dword v8, v[2:3] offset:2048
	;; [unrolled: 1-line block ×3, first 2 shown]
	flat_load_dword v10, v[4:5]
	flat_load_dword v11, v[4:5] offset:1024
	flat_load_dword v12, v[4:5] offset:2048
	flat_load_dword v13, v[4:5] offset:3072
	v_add_co_u32_e32 v4, vcc, 0x2000, v2
	v_addc_co_u32_e32 v5, vcc, 0, v3, vcc
	v_add_co_u32_e32 v2, vcc, 0x3000, v2
	v_addc_co_u32_e32 v3, vcc, 0, v3, vcc
	flat_load_dword v14, v[4:5]
	flat_load_dword v15, v[4:5] offset:1024
	flat_load_dword v16, v[4:5] offset:2048
	;; [unrolled: 1-line block ×3, first 2 shown]
	flat_load_dword v18, v[2:3]
	flat_load_dword v19, v[2:3] offset:1024
	v_add_co_u32_e32 v2, vcc, 0x3000, v42
	v_addc_co_u32_e32 v3, vcc, 0, v43, vcc
	s_movk_i32 s6, 0xffcc
	s_movk_i32 s9, 0x1000
	s_mov_b32 s4, 0
	s_movk_i32 s8, 0x2000
	s_movk_i32 s5, 0x3000
	s_waitcnt vmcnt(0) lgkmcnt(0)
	ds_write2st64_b32 v52, v6, v7 offset1:4
	ds_write2st64_b32 v52, v8, v9 offset0:8 offset1:12
	ds_write2st64_b32 v52, v10, v11 offset0:16 offset1:20
	;; [unrolled: 1-line block ×6, first 2 shown]
	s_waitcnt lgkmcnt(0)
	s_barrier
	flat_load_dword v34, v[2:3] offset:2048
	v_mad_u32_u24 v6, v0, 52, v52
	v_mad_i32_i24 v2, v0, s6, v6
	s_movk_i32 s6, 0xff
	v_cmp_ne_u32_e32 vcc, s6, v0
	ds_read2_b32 v[26:27], v6 offset1:13
	ds_read2_b32 v[18:19], v6 offset0:7 offset1:8
	ds_read2_b32 v[20:21], v6 offset0:5 offset1:6
	;; [unrolled: 1-line block ×6, first 2 shown]
	s_waitcnt lgkmcnt(0)
	ds_write_b32 v2, v26 offset:15360
	s_waitcnt lgkmcnt(0)
	s_barrier
	s_and_saveexec_b64 s[6:7], vcc
	s_cbranch_execz .LBB111_83
; %bb.82:
	s_waitcnt vmcnt(0)
	ds_read_b32 v34, v52 offset:15364
.LBB111_83:
	s_or_b64 exec, exec, s[6:7]
	v_add_co_u32_e32 v2, vcc, v1, v52
	v_addc_co_u32_e32 v3, vcc, 0, v48, vcc
	v_add_co_u32_e32 v4, vcc, s9, v2
	v_addc_co_u32_e32 v5, vcc, 0, v3, vcc
	s_waitcnt lgkmcnt(0)
	s_barrier
	flat_load_dword v1, v[2:3]
	flat_load_dword v7, v[2:3] offset:1024
	flat_load_dword v8, v[2:3] offset:2048
	;; [unrolled: 1-line block ×3, first 2 shown]
	flat_load_dword v14, v[4:5]
	flat_load_dword v15, v[4:5] offset:1024
	flat_load_dword v16, v[4:5] offset:2048
	;; [unrolled: 1-line block ×3, first 2 shown]
	v_add_co_u32_e32 v4, vcc, s8, v2
	v_addc_co_u32_e32 v5, vcc, 0, v3, vcc
	v_add_co_u32_e32 v2, vcc, s5, v2
	v_addc_co_u32_e32 v3, vcc, 0, v3, vcc
	flat_load_dword v22, v[4:5]
	flat_load_dword v23, v[4:5] offset:1024
	flat_load_dword v24, v[4:5] offset:2048
	flat_load_dword v25, v[4:5] offset:3072
	flat_load_dword v32, v[2:3]
	flat_load_dword v33, v[2:3] offset:1024
	s_mov_b32 s5, 1
	v_cmp_eq_u32_e32 vcc, v26, v12
	v_pk_mov_b32 v[40:41], s[4:5], s[4:5] op_sel:[0,1]
	s_waitcnt vmcnt(0) lgkmcnt(0)
	ds_write2st64_b32 v52, v1, v7 offset1:4
	ds_write2st64_b32 v52, v8, v9 offset0:8 offset1:12
	ds_write2st64_b32 v52, v14, v15 offset0:16 offset1:20
	ds_write2st64_b32 v52, v16, v17 offset0:24 offset1:28
	ds_write2st64_b32 v52, v22, v23 offset0:32 offset1:36
	ds_write2st64_b32 v52, v24, v25 offset0:40 offset1:44
	ds_write2st64_b32 v52, v32, v33 offset0:48 offset1:52
	s_waitcnt lgkmcnt(0)
	s_barrier
	ds_read2_b32 v[24:25], v6 offset0:7 offset1:8
	ds_read2_b32 v[14:15], v6 offset0:5 offset1:6
	;; [unrolled: 1-line block ×4, first 2 shown]
	ds_read_b32 v1, v6 offset:52
	ds_read2_b32 v[22:23], v6 offset0:11 offset1:12
	ds_read2_b32 v[32:33], v6 offset0:9 offset1:10
	v_mov_b32_e32 v7, s54
	s_and_saveexec_b64 s[4:5], vcc
	s_cbranch_execz .LBB111_85
; %bb.84:
	ds_read_b32 v7, v6
	v_pk_mov_b32 v[40:41], 0, 0
.LBB111_85:
	s_or_b64 exec, exec, s[4:5]
	v_mov_b32_e32 v26, s54
	v_cmp_eq_u32_e32 vcc, v12, v13
	s_waitcnt lgkmcnt(3)
	v_cndmask_b32_e32 v8, v26, v4, vcc
	v_cmp_eq_u32_e32 vcc, v13, v10
	v_cndmask_b32_e32 v6, v26, v5, vcc
	v_cmp_eq_u32_e32 vcc, v10, v11
	;; [unrolled: 2-line block ×3, first 2 shown]
	v_cndmask_b32_e32 v2, v26, v3, vcc
	v_cmp_ne_u32_e32 vcc, v12, v13
	v_cndmask_b32_e64 v9, 0, 1, vcc
	v_cmp_ne_u32_e32 vcc, v13, v10
	s_waitcnt lgkmcnt(0)
	v_or_b32_e32 v40, v40, v7
	v_cndmask_b32_e64 v7, 0, 1, vcc
	v_cmp_ne_u32_e32 vcc, v10, v11
	v_cndmask_b32_e64 v5, 0, 1, vcc
	v_cmp_ne_u32_e32 vcc, v11, v20
	v_cndmask_b32_e64 v3, 0, 1, vcc
	v_cmp_eq_u32_e32 vcc, v20, v21
	v_cndmask_b32_e32 v16, v26, v14, vcc
	v_cmp_eq_u32_e32 vcc, v21, v18
	v_cndmask_b32_e32 v14, v26, v15, vcc
	;; [unrolled: 2-line block ×4, first 2 shown]
	v_cmp_ne_u32_e32 vcc, v20, v21
	v_cndmask_b32_e64 v17, 0, 1, vcc
	v_cmp_ne_u32_e32 vcc, v21, v18
	v_cndmask_b32_e64 v15, 0, 1, vcc
	;; [unrolled: 2-line block ×4, first 2 shown]
	v_cmp_eq_u32_e32 vcc, v31, v27
	v_cndmask_b32_e32 v24, v26, v23, vcc
	v_cmp_eq_u32_e32 vcc, v30, v31
	v_cndmask_b32_e32 v22, v26, v22, vcc
	;; [unrolled: 2-line block ×4, first 2 shown]
	v_cmp_ne_u32_e32 vcc, v31, v27
	v_cndmask_b32_e64 v25, 0, 1, vcc
	v_cmp_ne_u32_e32 vcc, v30, v31
	v_cndmask_b32_e64 v23, 0, 1, vcc
	;; [unrolled: 2-line block ×3, first 2 shown]
	v_cmp_ne_u32_e32 vcc, v28, v29
	v_cmp_ne_u32_e64 s[16:17], v27, v34
	v_cndmask_b32_e64 v19, 0, 1, vcc
	v_cndmask_b32_e64 v46, v1, v26, s[16:17]
	s_mov_b64 s[18:19], -1
                                        ; implicit-def: $sgpr12_sgpr13
.LBB111_86:
	v_pk_mov_b32 v[42:43], s[12:13], s[12:13] op_sel:[0,1]
	s_and_saveexec_b64 s[4:5], s[18:19]
; %bb.87:
	v_cndmask_b32_e64 v47, 0, 1, s[16:17]
	v_pk_mov_b32 v[42:43], v[46:47], v[46:47] op_sel:[0,1]
; %bb.88:
	s_or_b64 exec, exec, s[4:5]
	s_mov_b32 s28, 0
	s_cmp_lg_u32 s47, 0
	v_mbcnt_lo_u32_b32 v54, -1, 0
	v_lshrrev_b32_e32 v1, 6, v0
	v_or_b32_e32 v53, 63, v0
	s_barrier
	s_cbranch_scc0 .LBB111_129
; %bb.89:
	s_mov_b32 s29, 1
	v_cmp_gt_u64_e64 s[4:5], s[28:29], v[8:9]
	v_cndmask_b32_e64 v27, 0, v40, s[4:5]
	v_add_u32_e32 v27, v27, v8
	v_cmp_gt_u64_e64 s[6:7], s[28:29], v[6:7]
	v_cndmask_b32_e64 v27, 0, v27, s[6:7]
	v_add_u32_e32 v27, v27, v6
	;; [unrolled: 3-line block ×12, first 2 shown]
	v_cmp_gt_u64_e32 vcc, s[28:29], v[42:43]
	v_cndmask_b32_e32 v27, 0, v27, vcc
	v_add_u32_e32 v28, v27, v42
	v_or3_b32 v27, v43, v25, v23
	v_or3_b32 v27, v27, v21, v19
	;; [unrolled: 1-line block ×6, first 2 shown]
	v_mov_b32_e32 v26, 0
	v_and_b32_e32 v27, 1, v27
	v_cmp_eq_u64_e32 vcc, 0, v[26:27]
	v_cndmask_b32_e32 v27, 1, v41, vcc
	v_and_b32_e32 v29, 0xff, v27
	v_mov_b32_dpp v31, v28 row_shr:1 row_mask:0xf bank_mask:0xf
	v_cmp_eq_u16_e32 vcc, 0, v29
	v_mov_b32_dpp v32, v29 row_shr:1 row_mask:0xf bank_mask:0xf
	v_and_b32_e32 v33, 1, v27
	v_mbcnt_hi_u32_b32 v48, -1, v54
	v_cndmask_b32_e32 v31, 0, v31, vcc
	v_and_b32_e32 v32, 1, v32
	v_cmp_eq_u32_e32 vcc, 1, v33
	v_and_b32_e32 v30, 15, v48
	v_cndmask_b32_e64 v32, v32, 1, vcc
	v_and_b32_e32 v33, 0xffff, v32
	v_cmp_eq_u32_e32 vcc, 0, v30
	v_cndmask_b32_e32 v27, v32, v27, vcc
	v_cndmask_b32_e32 v29, v33, v29, vcc
	v_and_b32_e32 v33, 1, v27
	v_cndmask_b32_e64 v31, v31, 0, vcc
	v_mov_b32_dpp v32, v29 row_shr:2 row_mask:0xf bank_mask:0xf
	v_and_b32_e32 v32, 1, v32
	v_cmp_eq_u32_e32 vcc, 1, v33
	v_cndmask_b32_e64 v32, v32, 1, vcc
	v_and_b32_e32 v33, 0xffff, v32
	v_cmp_lt_u32_e32 vcc, 1, v30
	v_add_u32_e32 v28, v31, v28
	v_cmp_eq_u16_sdwa s[28:29], v27, v26 src0_sel:BYTE_0 src1_sel:DWORD
	v_cndmask_b32_e32 v27, v27, v32, vcc
	v_cndmask_b32_e32 v29, v29, v33, vcc
	v_mov_b32_dpp v31, v28 row_shr:2 row_mask:0xf bank_mask:0xf
	s_and_b64 vcc, vcc, s[28:29]
	v_mov_b32_dpp v32, v29 row_shr:4 row_mask:0xf bank_mask:0xf
	v_and_b32_e32 v33, 1, v27
	v_cndmask_b32_e32 v31, 0, v31, vcc
	v_and_b32_e32 v32, 1, v32
	v_cmp_eq_u32_e32 vcc, 1, v33
	v_cndmask_b32_e64 v32, v32, 1, vcc
	v_and_b32_e32 v33, 0xffff, v32
	v_cmp_lt_u32_e32 vcc, 3, v30
	v_add_u32_e32 v28, v31, v28
	v_cmp_eq_u16_sdwa s[28:29], v27, v26 src0_sel:BYTE_0 src1_sel:DWORD
	v_cndmask_b32_e32 v27, v27, v32, vcc
	v_cndmask_b32_e32 v29, v29, v33, vcc
	v_mov_b32_dpp v31, v28 row_shr:4 row_mask:0xf bank_mask:0xf
	s_and_b64 vcc, vcc, s[28:29]
	v_mov_b32_dpp v32, v29 row_shr:8 row_mask:0xf bank_mask:0xf
	v_and_b32_e32 v33, 1, v27
	v_cndmask_b32_e32 v31, 0, v31, vcc
	v_and_b32_e32 v32, 1, v32
	v_cmp_eq_u32_e32 vcc, 1, v33
	v_cndmask_b32_e64 v32, v32, 1, vcc
	v_add_u32_e32 v28, v31, v28
	v_cmp_eq_u16_sdwa s[28:29], v27, v26 src0_sel:BYTE_0 src1_sel:DWORD
	v_and_b32_e32 v33, 0xffff, v32
	v_cmp_lt_u32_e32 vcc, 7, v30
	v_mov_b32_dpp v31, v28 row_shr:8 row_mask:0xf bank_mask:0xf
	v_cndmask_b32_e32 v27, v27, v32, vcc
	v_cndmask_b32_e32 v29, v29, v33, vcc
	s_and_b64 vcc, vcc, s[28:29]
	v_cndmask_b32_e32 v30, 0, v31, vcc
	v_add_u32_e32 v28, v30, v28
	v_mov_b32_dpp v31, v29 row_bcast:15 row_mask:0xf bank_mask:0xf
	v_cmp_eq_u16_sdwa vcc, v27, v26 src0_sel:BYTE_0 src1_sel:DWORD
	v_mov_b32_dpp v30, v28 row_bcast:15 row_mask:0xf bank_mask:0xf
	v_and_b32_e32 v34, 1, v27
	v_cndmask_b32_e32 v30, 0, v30, vcc
	v_and_b32_e32 v31, 1, v31
	v_cmp_eq_u32_e32 vcc, 1, v34
	v_and_b32_e32 v33, 16, v48
	v_cndmask_b32_e64 v31, v31, 1, vcc
	v_and_b32_e32 v34, 0xffff, v31
	v_cmp_eq_u32_e32 vcc, 0, v33
	v_cndmask_b32_e32 v27, v31, v27, vcc
	v_cndmask_b32_e32 v29, v34, v29, vcc
	v_bfe_i32 v32, v48, 4, 1
	v_cmp_eq_u16_sdwa s[28:29], v27, v26 src0_sel:BYTE_0 src1_sel:DWORD
	v_mov_b32_dpp v29, v29 row_bcast:31 row_mask:0xf bank_mask:0xf
	v_and_b32_e32 v26, 1, v27
	v_and_b32_e32 v30, v32, v30
	;; [unrolled: 1-line block ×3, first 2 shown]
	v_cmp_eq_u32_e32 vcc, 1, v26
	v_add_u32_e32 v28, v30, v28
	v_cndmask_b32_e64 v26, v29, 1, vcc
	v_cmp_lt_u32_e32 vcc, 31, v48
	v_mov_b32_dpp v30, v28 row_bcast:31 row_mask:0xf bank_mask:0xf
	v_cndmask_b32_e32 v29, v27, v26, vcc
	s_and_b64 vcc, vcc, s[28:29]
	v_cndmask_b32_e32 v26, 0, v30, vcc
	v_add_u32_e32 v28, v26, v28
	v_cmp_eq_u32_e32 vcc, v53, v0
	s_and_saveexec_b64 s[28:29], vcc
	s_cbranch_execz .LBB111_91
; %bb.90:
	v_lshlrev_b32_e32 v26, 3, v1
	ds_write_b32 v26, v28
	ds_write_b8 v26, v29 offset:4
.LBB111_91:
	s_or_b64 exec, exec, s[28:29]
	v_cmp_gt_u32_e32 vcc, 4, v0
	s_waitcnt lgkmcnt(0)
	s_barrier
	s_and_saveexec_b64 s[28:29], vcc
	s_cbranch_execz .LBB111_95
; %bb.92:
	v_lshlrev_b32_e32 v30, 3, v0
	ds_read_b64 v[26:27], v30
	v_and_b32_e32 v31, 3, v48
	v_cmp_ne_u32_e32 vcc, 0, v31
	s_waitcnt lgkmcnt(0)
	v_mov_b32_dpp v32, v26 row_shr:1 row_mask:0xf bank_mask:0xf
	v_mov_b32_dpp v34, v27 row_shr:1 row_mask:0xf bank_mask:0xf
	v_mov_b32_e32 v33, v27
	s_and_saveexec_b64 s[30:31], vcc
	s_cbranch_execz .LBB111_94
; %bb.93:
	v_and_b32_e32 v33, 1, v27
	v_and_b32_e32 v34, 1, v34
	v_cmp_eq_u32_e32 vcc, 1, v33
	v_mov_b32_e32 v33, 0
	v_cndmask_b32_e64 v34, v34, 1, vcc
	v_cmp_eq_u16_sdwa vcc, v27, v33 src0_sel:BYTE_0 src1_sel:DWORD
	v_cndmask_b32_e32 v32, 0, v32, vcc
	v_add_u32_e32 v26, v32, v26
	v_and_b32_e32 v32, 0xffff, v34
	s_movk_i32 s36, 0xff00
	v_and_or_b32 v33, v27, s36, v32
	v_mov_b32_e32 v27, v34
.LBB111_94:
	s_or_b64 exec, exec, s[30:31]
	v_mov_b32_dpp v33, v33 row_shr:2 row_mask:0xf bank_mask:0xf
	v_and_b32_e32 v34, 1, v27
	v_and_b32_e32 v33, 1, v33
	v_cmp_eq_u32_e32 vcc, 1, v34
	v_mov_b32_e32 v34, 0
	v_cndmask_b32_e64 v33, v33, 1, vcc
	v_cmp_eq_u16_sdwa s[30:31], v27, v34 src0_sel:BYTE_0 src1_sel:DWORD
	v_cmp_lt_u32_e32 vcc, 1, v31
	v_mov_b32_dpp v32, v26 row_shr:2 row_mask:0xf bank_mask:0xf
	v_cndmask_b32_e32 v27, v27, v33, vcc
	s_and_b64 vcc, vcc, s[30:31]
	v_cndmask_b32_e32 v31, 0, v32, vcc
	v_add_u32_e32 v26, v31, v26
	ds_write_b32 v30, v26
	ds_write_b8 v30, v27 offset:4
.LBB111_95:
	s_or_b64 exec, exec, s[28:29]
	v_cmp_gt_u32_e32 vcc, 64, v0
	v_cmp_lt_u32_e64 s[28:29], 63, v0
	v_mov_b32_e32 v44, 0
	v_mov_b32_e32 v45, 0
	s_waitcnt lgkmcnt(0)
	s_barrier
	s_and_saveexec_b64 s[30:31], s[28:29]
	s_cbranch_execz .LBB111_97
; %bb.96:
	v_lshl_add_u32 v26, v1, 3, -8
	ds_read_b32 v44, v26
	ds_read_u8 v45, v26 offset:4
	v_mov_b32_e32 v27, 0
	v_and_b32_e32 v30, 1, v29
	v_cmp_eq_u16_sdwa s[28:29], v29, v27 src0_sel:BYTE_0 src1_sel:DWORD
	s_waitcnt lgkmcnt(1)
	v_cndmask_b32_e64 v26, 0, v44, s[28:29]
	v_cmp_eq_u32_e64 s[28:29], 1, v30
	v_add_u32_e32 v28, v26, v28
	s_waitcnt lgkmcnt(0)
	v_cndmask_b32_e64 v29, v45, 1, s[28:29]
.LBB111_97:
	s_or_b64 exec, exec, s[30:31]
	v_and_b32_e32 v26, 0xff, v29
	v_add_u32_e32 v27, -1, v48
	v_and_b32_e32 v29, 64, v48
	v_cmp_lt_i32_e64 s[28:29], v27, v29
	v_cndmask_b32_e64 v27, v27, v48, s[28:29]
	v_lshlrev_b32_e32 v27, 2, v27
	ds_bpermute_b32 v46, v27, v28
	ds_bpermute_b32 v47, v27, v26
	v_cmp_eq_u32_e64 s[28:29], 0, v48
	s_and_saveexec_b64 s[36:37], vcc
	s_cbranch_execz .LBB111_116
; %bb.98:
	v_mov_b32_e32 v29, 0
	ds_read_b64 v[26:27], v29 offset:24
	s_waitcnt lgkmcnt(0)
	v_readfirstlane_b32 s48, v27
	s_and_saveexec_b64 s[30:31], s[28:29]
	s_cbranch_execz .LBB111_100
; %bb.99:
	s_add_i32 s38, s47, 64
	s_mov_b32 s39, 0
	s_lshl_b64 s[40:41], s[38:39], 4
	s_add_u32 s40, s44, s40
	s_addc_u32 s41, s45, s41
	s_and_b32 s57, s48, 0xff000000
	s_mov_b32 s56, s39
	s_and_b32 s59, s48, 0xff0000
	s_mov_b32 s58, s39
	s_or_b64 s[56:57], s[58:59], s[56:57]
	s_and_b32 s59, s48, 0xff00
	s_or_b64 s[56:57], s[56:57], s[58:59]
	s_and_b32 s59, s48, 0xff
	s_or_b64 s[38:39], s[56:57], s[58:59]
	v_mov_b32_e32 v27, s39
	v_mov_b32_e32 v28, 1
	v_pk_mov_b32 v[30:31], s[40:41], s[40:41] op_sel:[0,1]
	;;#ASMSTART
	global_store_dwordx4 v[30:31], v[26:29] off	
s_waitcnt vmcnt(0)
	;;#ASMEND
.LBB111_100:
	s_or_b64 exec, exec, s[30:31]
	v_xad_u32 v34, v48, -1, s47
	v_add_u32_e32 v28, 64, v34
	v_lshlrev_b64 v[30:31], 4, v[28:29]
	v_mov_b32_e32 v27, s45
	v_add_co_u32_e32 v36, vcc, s44, v30
	v_addc_co_u32_e32 v37, vcc, v27, v31, vcc
	;;#ASMSTART
	global_load_dwordx4 v[30:33], v[36:37] off glc	
s_waitcnt vmcnt(0)
	;;#ASMEND
	v_and_b32_e32 v27, 0xff0000, v30
	v_or_b32_sdwa v27, v30, v27 dst_sel:DWORD dst_unused:UNUSED_PAD src0_sel:WORD_0 src1_sel:DWORD
	v_and_b32_e32 v28, 0xff000000, v30
	v_and_b32_e32 v30, 0xff, v31
	v_or3_b32 v31, 0, 0, v30
	v_or3_b32 v30, v27, v28, 0
	v_cmp_eq_u16_sdwa s[38:39], v32, v29 src0_sel:BYTE_0 src1_sel:DWORD
	s_and_saveexec_b64 s[30:31], s[38:39]
	s_cbranch_execz .LBB111_104
; %bb.101:
	s_mov_b64 s[38:39], 0
	v_mov_b32_e32 v27, 0
.LBB111_102:                            ; =>This Inner Loop Header: Depth=1
	;;#ASMSTART
	global_load_dwordx4 v[30:33], v[36:37] off glc	
s_waitcnt vmcnt(0)
	;;#ASMEND
	v_cmp_ne_u16_sdwa s[40:41], v32, v27 src0_sel:BYTE_0 src1_sel:DWORD
	s_or_b64 s[38:39], s[40:41], s[38:39]
	s_andn2_b64 exec, exec, s[38:39]
	s_cbranch_execnz .LBB111_102
; %bb.103:
	s_or_b64 exec, exec, s[38:39]
	v_and_b32_e32 v31, 0xff, v31
.LBB111_104:
	s_or_b64 exec, exec, s[30:31]
	v_mov_b32_e32 v27, 2
	v_cmp_eq_u16_sdwa s[30:31], v32, v27 src0_sel:BYTE_0 src1_sel:DWORD
	v_lshlrev_b64 v[28:29], v48, -1
	v_and_b32_e32 v33, s31, v29
	v_or_b32_e32 v33, 0x80000000, v33
	v_and_b32_e32 v35, s30, v28
	v_ffbl_b32_e32 v33, v33
	v_and_b32_e32 v49, 63, v48
	v_add_u32_e32 v33, 32, v33
	v_ffbl_b32_e32 v35, v35
	v_cmp_ne_u32_e32 vcc, 63, v49
	v_min_u32_e32 v33, v35, v33
	v_addc_co_u32_e32 v35, vcc, 0, v48, vcc
	v_lshlrev_b32_e32 v50, 2, v35
	ds_bpermute_b32 v35, v50, v31
	ds_bpermute_b32 v36, v50, v30
	s_mov_b32 s38, 0
	v_and_b32_e32 v37, 1, v31
	s_mov_b32 s39, 1
	s_waitcnt lgkmcnt(1)
	v_and_b32_e32 v35, 1, v35
	v_cmp_eq_u32_e32 vcc, 1, v37
	v_cndmask_b32_e64 v35, v35, 1, vcc
	v_cmp_gt_u64_e32 vcc, s[38:39], v[30:31]
	v_cmp_lt_u32_e64 s[30:31], v49, v33
	s_and_b64 vcc, s[30:31], vcc
	v_and_b32_e32 v37, 0xffff, v35
	v_cndmask_b32_e64 v56, v31, v35, s[30:31]
	s_waitcnt lgkmcnt(0)
	v_cndmask_b32_e32 v35, 0, v36, vcc
	v_cmp_gt_u32_e32 vcc, 62, v49
	v_cndmask_b32_e64 v36, 0, 1, vcc
	v_lshlrev_b32_e32 v36, 1, v36
	v_cndmask_b32_e64 v31, v31, v37, s[30:31]
	v_add_lshl_u32 v51, v36, v48, 2
	ds_bpermute_b32 v36, v51, v31
	v_add_u32_e32 v30, v35, v30
	ds_bpermute_b32 v37, v51, v30
	v_and_b32_e32 v35, 1, v56
	v_cmp_eq_u32_e32 vcc, 1, v35
	s_waitcnt lgkmcnt(1)
	v_and_b32_e32 v36, 1, v36
	v_mov_b32_e32 v35, 0
	v_add_u32_e32 v55, 2, v49
	v_cndmask_b32_e64 v36, v36, 1, vcc
	v_cmp_eq_u16_sdwa vcc, v56, v35 src0_sel:BYTE_0 src1_sel:DWORD
	v_and_b32_e32 v57, 0xffff, v36
	s_waitcnt lgkmcnt(0)
	v_cndmask_b32_e32 v37, 0, v37, vcc
	v_cmp_gt_u32_e32 vcc, v55, v33
	v_cndmask_b32_e32 v36, v36, v56, vcc
	v_cndmask_b32_e64 v37, v37, 0, vcc
	v_cndmask_b32_e32 v31, v57, v31, vcc
	v_cmp_gt_u32_e32 vcc, 60, v49
	v_cndmask_b32_e64 v56, 0, 1, vcc
	v_lshlrev_b32_e32 v56, 2, v56
	v_add_lshl_u32 v56, v56, v48, 2
	ds_bpermute_b32 v58, v56, v31
	v_add_u32_e32 v30, v37, v30
	ds_bpermute_b32 v37, v56, v30
	v_and_b32_e32 v59, 1, v36
	v_cmp_eq_u32_e32 vcc, 1, v59
	s_waitcnt lgkmcnt(1)
	v_and_b32_e32 v58, 1, v58
	v_add_u32_e32 v57, 4, v49
	v_cndmask_b32_e64 v58, v58, 1, vcc
	v_cmp_eq_u16_sdwa vcc, v36, v35 src0_sel:BYTE_0 src1_sel:DWORD
	v_and_b32_e32 v59, 0xffff, v58
	s_waitcnt lgkmcnt(0)
	v_cndmask_b32_e32 v37, 0, v37, vcc
	v_cmp_gt_u32_e32 vcc, v57, v33
	v_cndmask_b32_e32 v36, v58, v36, vcc
	v_cndmask_b32_e64 v37, v37, 0, vcc
	v_cndmask_b32_e32 v31, v59, v31, vcc
	v_cmp_gt_u32_e32 vcc, 56, v49
	v_cndmask_b32_e64 v58, 0, 1, vcc
	v_lshlrev_b32_e32 v58, 3, v58
	v_add_lshl_u32 v58, v58, v48, 2
	ds_bpermute_b32 v60, v58, v31
	v_add_u32_e32 v30, v37, v30
	ds_bpermute_b32 v37, v58, v30
	v_and_b32_e32 v61, 1, v36
	v_cmp_eq_u32_e32 vcc, 1, v61
	s_waitcnt lgkmcnt(1)
	v_and_b32_e32 v60, 1, v60
	;; [unrolled: 21-line block ×4, first 2 shown]
	v_add_u32_e32 v64, 32, v49
	v_cndmask_b32_e64 v31, v31, 1, vcc
	v_cmp_eq_u16_sdwa vcc, v36, v35 src0_sel:BYTE_0 src1_sel:DWORD
	s_waitcnt lgkmcnt(0)
	v_cndmask_b32_e32 v37, 0, v37, vcc
	v_cmp_gt_u32_e32 vcc, v64, v33
	v_cndmask_b32_e64 v33, v37, 0, vcc
	v_cndmask_b32_e32 v31, v31, v36, vcc
	v_add_u32_e32 v30, v33, v30
	s_branch .LBB111_106
.LBB111_105:                            ;   in Loop: Header=BB111_106 Depth=1
	s_or_b64 exec, exec, s[30:31]
	v_cmp_eq_u16_sdwa s[30:31], v32, v27 src0_sel:BYTE_0 src1_sel:DWORD
	v_and_b32_e32 v33, s31, v29
	ds_bpermute_b32 v37, v50, v31
	v_or_b32_e32 v33, 0x80000000, v33
	v_and_b32_e32 v36, s30, v28
	v_ffbl_b32_e32 v33, v33
	v_add_u32_e32 v33, 32, v33
	v_ffbl_b32_e32 v36, v36
	v_min_u32_e32 v33, v36, v33
	ds_bpermute_b32 v36, v50, v30
	v_and_b32_e32 v65, 1, v31
	s_waitcnt lgkmcnt(1)
	v_and_b32_e32 v37, 1, v37
	v_cmp_eq_u32_e32 vcc, 1, v65
	v_cndmask_b32_e64 v37, v37, 1, vcc
	v_cmp_gt_u64_e32 vcc, s[38:39], v[30:31]
	v_and_b32_e32 v65, 0xffff, v37
	v_cmp_lt_u32_e64 s[30:31], v49, v33
	v_cndmask_b32_e64 v37, v31, v37, s[30:31]
	v_cndmask_b32_e64 v31, v31, v65, s[30:31]
	s_and_b64 vcc, s[30:31], vcc
	ds_bpermute_b32 v65, v51, v31
	s_waitcnt lgkmcnt(1)
	v_cndmask_b32_e32 v36, 0, v36, vcc
	v_add_u32_e32 v30, v36, v30
	ds_bpermute_b32 v36, v51, v30
	v_and_b32_e32 v66, 1, v37
	s_waitcnt lgkmcnt(1)
	v_and_b32_e32 v65, 1, v65
	v_cmp_eq_u32_e32 vcc, 1, v66
	v_cndmask_b32_e64 v65, v65, 1, vcc
	v_cmp_eq_u16_sdwa vcc, v37, v35 src0_sel:BYTE_0 src1_sel:DWORD
	v_and_b32_e32 v66, 0xffff, v65
	s_waitcnt lgkmcnt(0)
	v_cndmask_b32_e32 v36, 0, v36, vcc
	v_cmp_gt_u32_e32 vcc, v55, v33
	v_cndmask_b32_e32 v31, v66, v31, vcc
	v_cndmask_b32_e32 v37, v65, v37, vcc
	ds_bpermute_b32 v65, v56, v31
	v_cndmask_b32_e64 v36, v36, 0, vcc
	v_add_u32_e32 v30, v36, v30
	ds_bpermute_b32 v36, v56, v30
	v_and_b32_e32 v66, 1, v37
	s_waitcnt lgkmcnt(1)
	v_and_b32_e32 v65, 1, v65
	v_cmp_eq_u32_e32 vcc, 1, v66
	v_cndmask_b32_e64 v65, v65, 1, vcc
	v_cmp_eq_u16_sdwa vcc, v37, v35 src0_sel:BYTE_0 src1_sel:DWORD
	v_and_b32_e32 v66, 0xffff, v65
	s_waitcnt lgkmcnt(0)
	v_cndmask_b32_e32 v36, 0, v36, vcc
	v_cmp_gt_u32_e32 vcc, v57, v33
	v_cndmask_b32_e32 v31, v66, v31, vcc
	v_cndmask_b32_e32 v37, v65, v37, vcc
	ds_bpermute_b32 v65, v58, v31
	v_cndmask_b32_e64 v36, v36, 0, vcc
	;; [unrolled: 16-line block ×3, first 2 shown]
	v_add_u32_e32 v30, v36, v30
	ds_bpermute_b32 v36, v60, v30
	v_and_b32_e32 v66, 1, v37
	s_waitcnt lgkmcnt(1)
	v_and_b32_e32 v65, 1, v65
	v_cmp_eq_u32_e32 vcc, 1, v66
	v_cndmask_b32_e64 v65, v65, 1, vcc
	v_cmp_eq_u16_sdwa vcc, v37, v35 src0_sel:BYTE_0 src1_sel:DWORD
	v_and_b32_e32 v66, 0xffff, v65
	s_waitcnt lgkmcnt(0)
	v_cndmask_b32_e32 v36, 0, v36, vcc
	v_cmp_gt_u32_e32 vcc, v61, v33
	v_cndmask_b32_e64 v36, v36, 0, vcc
	v_cndmask_b32_e32 v31, v66, v31, vcc
	ds_bpermute_b32 v31, v63, v31
	v_add_u32_e32 v30, v36, v30
	ds_bpermute_b32 v36, v63, v30
	v_cndmask_b32_e32 v37, v65, v37, vcc
	v_and_b32_e32 v65, 1, v37
	v_cmp_eq_u32_e32 vcc, 1, v65
	s_waitcnt lgkmcnt(1)
	v_cndmask_b32_e64 v31, v31, 1, vcc
	v_cmp_eq_u16_sdwa vcc, v37, v35 src0_sel:BYTE_0 src1_sel:DWORD
	s_waitcnt lgkmcnt(0)
	v_cndmask_b32_e32 v36, 0, v36, vcc
	v_cmp_gt_u32_e32 vcc, v64, v33
	v_cndmask_b32_e64 v33, v36, 0, vcc
	v_cndmask_b32_e32 v31, v31, v37, vcc
	v_add_u32_e32 v30, v33, v30
	v_cmp_eq_u16_sdwa vcc, v48, v35 src0_sel:BYTE_0 src1_sel:DWORD
	v_and_b32_e32 v33, 1, v48
	v_cndmask_b32_e32 v30, 0, v30, vcc
	v_and_b32_e32 v31, 1, v31
	v_cmp_eq_u32_e32 vcc, 1, v33
	v_subrev_u32_e32 v34, 64, v34
	v_add_u32_e32 v30, v30, v62
	v_cndmask_b32_e64 v31, v31, 1, vcc
.LBB111_106:                            ; =>This Loop Header: Depth=1
                                        ;     Child Loop BB111_109 Depth 2
	v_cmp_ne_u16_sdwa s[30:31], v32, v27 src0_sel:BYTE_0 src1_sel:DWORD
	v_mov_b32_e32 v48, v31
	v_cndmask_b32_e64 v31, 0, 1, s[30:31]
	;;#ASMSTART
	;;#ASMEND
	v_cmp_ne_u32_e32 vcc, 0, v31
	s_cmp_lg_u64 vcc, exec
	v_mov_b32_e32 v62, v30
	s_cbranch_scc1 .LBB111_111
; %bb.107:                              ;   in Loop: Header=BB111_106 Depth=1
	v_lshlrev_b64 v[30:31], 4, v[34:35]
	v_mov_b32_e32 v32, s45
	v_add_co_u32_e32 v36, vcc, s44, v30
	v_addc_co_u32_e32 v37, vcc, v32, v31, vcc
	;;#ASMSTART
	global_load_dwordx4 v[30:33], v[36:37] off glc	
s_waitcnt vmcnt(0)
	;;#ASMEND
	v_and_b32_e32 v33, 0xff0000, v30
	v_or_b32_sdwa v33, v30, v33 dst_sel:DWORD dst_unused:UNUSED_PAD src0_sel:WORD_0 src1_sel:DWORD
	v_and_b32_e32 v30, 0xff000000, v30
	v_and_b32_e32 v31, 0xff, v31
	v_or3_b32 v31, 0, 0, v31
	v_or3_b32 v30, v33, v30, 0
	v_cmp_eq_u16_sdwa s[40:41], v32, v35 src0_sel:BYTE_0 src1_sel:DWORD
	s_and_saveexec_b64 s[30:31], s[40:41]
	s_cbranch_execz .LBB111_105
; %bb.108:                              ;   in Loop: Header=BB111_106 Depth=1
	s_mov_b64 s[40:41], 0
.LBB111_109:                            ;   Parent Loop BB111_106 Depth=1
                                        ; =>  This Inner Loop Header: Depth=2
	;;#ASMSTART
	global_load_dwordx4 v[30:33], v[36:37] off glc	
s_waitcnt vmcnt(0)
	;;#ASMEND
	v_cmp_ne_u16_sdwa s[56:57], v32, v35 src0_sel:BYTE_0 src1_sel:DWORD
	s_or_b64 s[40:41], s[56:57], s[40:41]
	s_andn2_b64 exec, exec, s[40:41]
	s_cbranch_execnz .LBB111_109
; %bb.110:                              ;   in Loop: Header=BB111_106 Depth=1
	s_or_b64 exec, exec, s[40:41]
	v_and_b32_e32 v31, 0xff, v31
	s_branch .LBB111_105
.LBB111_111:                            ;   in Loop: Header=BB111_106 Depth=1
                                        ; implicit-def: $vgpr31
                                        ; implicit-def: $vgpr30
                                        ; implicit-def: $vgpr32
	s_cbranch_execz .LBB111_106
; %bb.112:
	s_and_saveexec_b64 s[30:31], s[28:29]
	s_cbranch_execz .LBB111_114
; %bb.113:
	s_and_b32 s38, s48, 0xff
	s_cmp_eq_u32 s38, 0
	s_cselect_b64 vcc, -1, 0
	s_bitcmp1_b32 s48, 0
	s_mov_b32 s39, 0
	s_cselect_b64 s[40:41], -1, 0
	s_add_i32 s38, s47, 64
	s_lshl_b64 s[38:39], s[38:39], 4
	v_cndmask_b32_e32 v27, 0, v62, vcc
	s_add_u32 s38, s44, s38
	v_add_u32_e32 v26, v27, v26
	v_and_b32_e32 v27, 1, v48
	s_addc_u32 s39, s45, s39
	v_mov_b32_e32 v29, 0
	v_cndmask_b32_e64 v27, v27, 1, s[40:41]
	v_mov_b32_e32 v28, 2
	v_pk_mov_b32 v[30:31], s[38:39], s[38:39] op_sel:[0,1]
	;;#ASMSTART
	global_store_dwordx4 v[30:31], v[26:29] off	
s_waitcnt vmcnt(0)
	;;#ASMEND
.LBB111_114:
	s_or_b64 exec, exec, s[30:31]
	s_and_b64 exec, exec, s[0:1]
	s_cbranch_execz .LBB111_116
; %bb.115:
	v_mov_b32_e32 v26, 0
	ds_write_b32 v26, v62 offset:24
	ds_write_b8 v26, v48 offset:28
.LBB111_116:
	s_or_b64 exec, exec, s[36:37]
	v_mov_b32_e32 v28, 0
	s_waitcnt lgkmcnt(0)
	s_barrier
	ds_read_b32 v26, v28 offset:24
	v_cndmask_b32_e64 v27, v47, v45, s[28:29]
	v_cmp_eq_u16_sdwa vcc, v27, v28 src0_sel:BYTE_0 src1_sel:DWORD
	v_cndmask_b32_e64 v29, v46, v44, s[28:29]
	s_waitcnt lgkmcnt(0)
	v_cndmask_b32_e32 v27, 0, v26, vcc
	v_add_u32_e32 v27, v27, v29
	v_and_b32_e32 v29, 0xff, v41
	v_cndmask_b32_e64 v26, v27, v26, s[0:1]
	v_cmp_eq_u64_e32 vcc, 0, v[28:29]
	v_cndmask_b32_e32 v27, 0, v26, vcc
	v_add_u32_e32 v27, v27, v40
	v_cndmask_b32_e64 v28, 0, v27, s[4:5]
	v_add_u32_e32 v44, v28, v8
	v_cndmask_b32_e64 v28, 0, v44, s[6:7]
	;; [unrolled: 2-line block ×12, first 2 shown]
	v_add_u32_e32 v51, v28, v24
	s_branch .LBB111_143
.LBB111_117:
	s_or_b64 exec, exec, s[30:31]
                                        ; implicit-def: $vgpr14
	s_and_saveexec_b64 s[30:31], s[4:5]
	s_cbranch_execz .LBB111_37
.LBB111_118:
	v_add_co_u32_e32 v14, vcc, v1, v12
	v_addc_co_u32_e32 v15, vcc, 0, v48, vcc
	flat_load_dword v14, v[14:15] offset:1024
	s_or_b64 exec, exec, s[30:31]
                                        ; implicit-def: $vgpr15
	s_and_saveexec_b64 s[4:5], s[6:7]
	s_cbranch_execnz .LBB111_38
.LBB111_119:
	s_or_b64 exec, exec, s[4:5]
                                        ; implicit-def: $vgpr16
	s_and_saveexec_b64 s[4:5], s[8:9]
	s_cbranch_execz .LBB111_39
.LBB111_120:
	v_add_co_u32_e32 v16, vcc, v1, v12
	v_addc_co_u32_e32 v17, vcc, 0, v48, vcc
	flat_load_dword v16, v[16:17] offset:3072
	s_or_b64 exec, exec, s[4:5]
                                        ; implicit-def: $vgpr17
	s_and_saveexec_b64 s[4:5], s[10:11]
	s_cbranch_execnz .LBB111_40
.LBB111_121:
	s_or_b64 exec, exec, s[4:5]
                                        ; implicit-def: $vgpr2
	s_and_saveexec_b64 s[4:5], s[12:13]
	s_cbranch_execz .LBB111_41
.LBB111_122:
	v_add_co_u32_e32 v2, vcc, v1, v3
	v_addc_co_u32_e32 v3, vcc, 0, v48, vcc
	flat_load_dword v2, v[2:3]
	s_or_b64 exec, exec, s[4:5]
                                        ; implicit-def: $vgpr3
	s_and_saveexec_b64 s[4:5], s[14:15]
	s_cbranch_execnz .LBB111_42
.LBB111_123:
	s_or_b64 exec, exec, s[4:5]
                                        ; implicit-def: $vgpr4
	s_and_saveexec_b64 s[4:5], s[16:17]
	s_cbranch_execz .LBB111_43
.LBB111_124:
	v_add_co_u32_e32 v4, vcc, v1, v5
	v_addc_co_u32_e32 v5, vcc, 0, v48, vcc
	flat_load_dword v4, v[4:5]
	s_or_b64 exec, exec, s[4:5]
                                        ; implicit-def: $vgpr5
	s_and_saveexec_b64 s[4:5], s[18:19]
	s_cbranch_execnz .LBB111_44
.LBB111_125:
	s_or_b64 exec, exec, s[4:5]
                                        ; implicit-def: $vgpr6
	s_and_saveexec_b64 s[4:5], s[20:21]
	s_cbranch_execz .LBB111_45
.LBB111_126:
	v_add_co_u32_e32 v6, vcc, v1, v7
	v_addc_co_u32_e32 v7, vcc, 0, v48, vcc
	flat_load_dword v6, v[6:7]
	s_or_b64 exec, exec, s[4:5]
                                        ; implicit-def: $vgpr7
	s_and_saveexec_b64 s[4:5], s[22:23]
	s_cbranch_execnz .LBB111_46
.LBB111_127:
	s_or_b64 exec, exec, s[4:5]
                                        ; implicit-def: $vgpr8
	s_and_saveexec_b64 s[4:5], s[24:25]
	s_cbranch_execz .LBB111_47
.LBB111_128:
	v_add_co_u32_e32 v8, vcc, v1, v9
	v_addc_co_u32_e32 v9, vcc, 0, v48, vcc
	flat_load_dword v8, v[8:9]
	s_or_b64 exec, exec, s[4:5]
                                        ; implicit-def: $vgpr9
	s_and_saveexec_b64 s[4:5], s[26:27]
	s_cbranch_execz .LBB111_49
	s_branch .LBB111_48
.LBB111_129:
                                        ; implicit-def: $vgpr51
                                        ; implicit-def: $vgpr49
                                        ; implicit-def: $vgpr47
                                        ; implicit-def: $vgpr45
                                        ; implicit-def: $vgpr34_vgpr35_vgpr36_vgpr37
                                        ; implicit-def: $vgpr30_vgpr31_vgpr32_vgpr33
                                        ; implicit-def: $vgpr26_vgpr27_vgpr28_vgpr29
	s_cbranch_execz .LBB111_143
; %bb.130:
	s_cmp_lg_u64 s[52:53], 0
	s_cselect_b32 s5, s51, 0
	s_cselect_b32 s4, s50, 0
	s_mov_b32 s26, 0
	s_cmp_eq_u64 s[4:5], 0
	v_mov_b32_e32 v32, s54
	s_cbranch_scc1 .LBB111_132
; %bb.131:
	v_mov_b32_e32 v26, 0
	global_load_dword v32, v26, s[4:5]
.LBB111_132:
	s_mov_b32 s27, 1
	v_cmp_gt_u64_e32 vcc, s[26:27], v[8:9]
	v_cndmask_b32_e32 v27, 0, v40, vcc
	v_add_u32_e32 v27, v27, v8
	v_cmp_gt_u64_e64 s[4:5], s[26:27], v[6:7]
	v_cndmask_b32_e64 v27, 0, v27, s[4:5]
	v_add_u32_e32 v27, v27, v6
	v_cmp_gt_u64_e64 s[6:7], s[26:27], v[4:5]
	v_cndmask_b32_e64 v27, 0, v27, s[6:7]
	;; [unrolled: 3-line block ×11, first 2 shown]
	v_mov_b32_e32 v26, 0
	v_add_u32_e32 v27, v27, v24
	v_cmp_gt_u64_e64 s[26:27], s[26:27], v[42:43]
	v_or3_b32 v7, v23, v15, v7
	v_cndmask_b32_e64 v27, 0, v27, s[26:27]
	v_or3_b32 v9, v25, v17, v9
	v_and_b32_e32 v35, 1, v7
	v_mov_b32_e32 v34, v26
	v_add_u32_e32 v33, v27, v42
	v_and_b32_e32 v27, 1, v43
	v_or3_b32 v3, v19, v11, v3
	v_and_b32_e32 v31, 1, v9
	v_mov_b32_e32 v30, v26
	v_cmp_ne_u64_e64 s[28:29], 0, v[34:35]
	v_cmp_eq_u32_e64 s[26:27], 1, v27
	v_or3_b32 v5, v21, v13, v5
	v_and_b32_e32 v27, 1, v3
	v_cndmask_b32_e64 v3, 0, 1, s[28:29]
	v_cmp_ne_u64_e64 s[28:29], 0, v[30:31]
	v_and_b32_e32 v29, 1, v5
	v_mov_b32_e32 v28, v26
	v_cndmask_b32_e64 v5, 0, 1, s[28:29]
	v_lshlrev_b16_e32 v3, 2, v3
	v_lshlrev_b16_e32 v5, 3, v5
	v_cmp_ne_u64_e64 s[28:29], 0, v[28:29]
	v_or_b32_e32 v3, v5, v3
	v_cndmask_b32_e64 v5, 0, 1, s[28:29]
	v_cmp_ne_u64_e64 s[28:29], 0, v[26:27]
	v_lshlrev_b16_e32 v5, 1, v5
	v_cndmask_b32_e64 v7, 0, 1, s[28:29]
	v_or_b32_e32 v5, v7, v5
	v_and_b32_e32 v5, 3, v5
	v_or_b32_e32 v3, v5, v3
	v_and_b32_e32 v3, 15, v3
	v_cmp_ne_u16_e64 s[28:29], 0, v3
	s_or_b64 s[26:27], s[26:27], s[28:29]
	v_cndmask_b32_e64 v5, v41, 1, s[26:27]
	v_and_b32_e32 v7, 0xff, v5
	v_mov_b32_dpp v11, v33 row_shr:1 row_mask:0xf bank_mask:0xf
	v_cmp_eq_u16_e64 s[26:27], 0, v7
	v_mov_b32_dpp v13, v7 row_shr:1 row_mask:0xf bank_mask:0xf
	v_and_b32_e32 v15, 1, v5
	v_mbcnt_hi_u32_b32 v3, -1, v54
	v_cndmask_b32_e64 v11, 0, v11, s[26:27]
	v_and_b32_e32 v13, 1, v13
	v_cmp_eq_u32_e64 s[26:27], 1, v15
	v_and_b32_e32 v9, 15, v3
	v_cndmask_b32_e64 v13, v13, 1, s[26:27]
	v_and_b32_e32 v15, 0xffff, v13
	v_cmp_eq_u32_e64 s[26:27], 0, v9
	v_cndmask_b32_e64 v5, v13, v5, s[26:27]
	v_cndmask_b32_e64 v7, v15, v7, s[26:27]
	v_and_b32_e32 v17, 1, v5
	v_cndmask_b32_e64 v11, v11, 0, s[26:27]
	v_mov_b32_dpp v15, v7 row_shr:2 row_mask:0xf bank_mask:0xf
	v_and_b32_e32 v15, 1, v15
	v_cmp_eq_u32_e64 s[26:27], 1, v17
	v_cndmask_b32_e64 v15, v15, 1, s[26:27]
	v_and_b32_e32 v17, 0xffff, v15
	v_cmp_lt_u32_e64 s[26:27], 1, v9
	v_add_u32_e32 v11, v11, v33
	v_cmp_eq_u16_sdwa s[28:29], v5, v26 src0_sel:BYTE_0 src1_sel:DWORD
	v_cndmask_b32_e64 v5, v5, v15, s[26:27]
	v_cndmask_b32_e64 v7, v7, v17, s[26:27]
	v_mov_b32_dpp v13, v11 row_shr:2 row_mask:0xf bank_mask:0xf
	s_and_b64 s[26:27], s[26:27], s[28:29]
	v_mov_b32_dpp v15, v7 row_shr:4 row_mask:0xf bank_mask:0xf
	v_and_b32_e32 v17, 1, v5
	v_cndmask_b32_e64 v13, 0, v13, s[26:27]
	v_and_b32_e32 v15, 1, v15
	v_cmp_eq_u32_e64 s[26:27], 1, v17
	v_cndmask_b32_e64 v15, v15, 1, s[26:27]
	v_and_b32_e32 v17, 0xffff, v15
	v_cmp_lt_u32_e64 s[26:27], 3, v9
	v_add_u32_e32 v11, v13, v11
	v_cmp_eq_u16_sdwa s[28:29], v5, v26 src0_sel:BYTE_0 src1_sel:DWORD
	v_cndmask_b32_e64 v5, v5, v15, s[26:27]
	v_cndmask_b32_e64 v7, v7, v17, s[26:27]
	v_mov_b32_dpp v13, v11 row_shr:4 row_mask:0xf bank_mask:0xf
	s_and_b64 s[26:27], s[26:27], s[28:29]
	v_mov_b32_dpp v15, v7 row_shr:8 row_mask:0xf bank_mask:0xf
	v_and_b32_e32 v17, 1, v5
	v_cndmask_b32_e64 v13, 0, v13, s[26:27]
	v_and_b32_e32 v15, 1, v15
	v_cmp_eq_u32_e64 s[26:27], 1, v17
	v_cndmask_b32_e64 v15, v15, 1, s[26:27]
	v_add_u32_e32 v11, v13, v11
	v_cmp_eq_u16_sdwa s[28:29], v5, v26 src0_sel:BYTE_0 src1_sel:DWORD
	v_and_b32_e32 v17, 0xffff, v15
	v_cmp_lt_u32_e64 s[26:27], 7, v9
	v_mov_b32_dpp v13, v11 row_shr:8 row_mask:0xf bank_mask:0xf
	v_cndmask_b32_e64 v5, v5, v15, s[26:27]
	v_cndmask_b32_e64 v7, v7, v17, s[26:27]
	s_and_b64 s[26:27], s[26:27], s[28:29]
	v_cndmask_b32_e64 v9, 0, v13, s[26:27]
	v_add_u32_e32 v9, v9, v11
	v_mov_b32_dpp v13, v7 row_bcast:15 row_mask:0xf bank_mask:0xf
	v_cmp_eq_u16_sdwa s[26:27], v5, v26 src0_sel:BYTE_0 src1_sel:DWORD
	v_mov_b32_dpp v11, v9 row_bcast:15 row_mask:0xf bank_mask:0xf
	v_and_b32_e32 v19, 1, v5
	v_cndmask_b32_e64 v11, 0, v11, s[26:27]
	v_and_b32_e32 v13, 1, v13
	v_cmp_eq_u32_e64 s[26:27], 1, v19
	v_and_b32_e32 v17, 16, v3
	v_cndmask_b32_e64 v13, v13, 1, s[26:27]
	v_and_b32_e32 v19, 0xffff, v13
	v_cmp_eq_u32_e64 s[26:27], 0, v17
	v_cndmask_b32_e64 v5, v13, v5, s[26:27]
	v_cndmask_b32_e64 v7, v19, v7, s[26:27]
	v_bfe_i32 v15, v3, 4, 1
	v_and_b32_e32 v13, 1, v5
	v_mov_b32_dpp v7, v7 row_bcast:31 row_mask:0xf bank_mask:0xf
	v_and_b32_e32 v11, v15, v11
	v_and_b32_e32 v7, 1, v7
	v_cmp_eq_u32_e64 s[26:27], 1, v13
	v_add_u32_e32 v9, v11, v9
	v_cmp_eq_u16_sdwa s[28:29], v5, v26 src0_sel:BYTE_0 src1_sel:DWORD
	v_cndmask_b32_e64 v7, v7, 1, s[26:27]
	v_cmp_lt_u32_e64 s[26:27], 31, v3
	v_mov_b32_dpp v11, v9 row_bcast:31 row_mask:0xf bank_mask:0xf
	v_cndmask_b32_e64 v5, v5, v7, s[26:27]
	s_and_b64 s[26:27], s[26:27], s[28:29]
	v_cndmask_b32_e64 v7, 0, v11, s[26:27]
	v_add_u32_e32 v7, v7, v9
	v_cmp_eq_u32_e64 s[26:27], v53, v0
	s_and_saveexec_b64 s[28:29], s[26:27]
	s_cbranch_execz .LBB111_134
; %bb.133:
	v_lshlrev_b32_e32 v9, 3, v1
	ds_write_b32 v9, v7
	ds_write_b8 v9, v5 offset:4
.LBB111_134:
	s_or_b64 exec, exec, s[28:29]
	v_cmp_gt_u32_e64 s[26:27], 4, v0
	s_waitcnt lgkmcnt(0)
	s_barrier
	s_and_saveexec_b64 s[28:29], s[26:27]
	s_cbranch_execz .LBB111_138
; %bb.135:
	v_lshlrev_b32_e32 v9, 3, v0
	ds_read_b64 v[26:27], v9
	v_and_b32_e32 v11, 3, v3
	v_cmp_ne_u32_e64 s[26:27], 0, v11
	s_waitcnt lgkmcnt(0)
	v_mov_b32_dpp v13, v26 row_shr:1 row_mask:0xf bank_mask:0xf
	v_mov_b32_dpp v17, v27 row_shr:1 row_mask:0xf bank_mask:0xf
	v_mov_b32_e32 v15, v27
	s_and_saveexec_b64 s[30:31], s[26:27]
	s_cbranch_execz .LBB111_137
; %bb.136:
	v_and_b32_e32 v15, 1, v27
	v_and_b32_e32 v17, 1, v17
	v_cmp_eq_u32_e64 s[26:27], 1, v15
	v_mov_b32_e32 v15, 0
	v_cndmask_b32_e64 v17, v17, 1, s[26:27]
	v_cmp_eq_u16_sdwa s[26:27], v27, v15 src0_sel:BYTE_0 src1_sel:DWORD
	v_cndmask_b32_e64 v13, 0, v13, s[26:27]
	v_add_u32_e32 v26, v13, v26
	v_and_b32_e32 v13, 0xffff, v17
	s_movk_i32 s26, 0xff00
	v_and_or_b32 v15, v27, s26, v13
	v_mov_b32_e32 v27, v17
.LBB111_137:
	s_or_b64 exec, exec, s[30:31]
	v_mov_b32_dpp v15, v15 row_shr:2 row_mask:0xf bank_mask:0xf
	v_and_b32_e32 v17, 1, v27
	v_and_b32_e32 v15, 1, v15
	v_cmp_eq_u32_e64 s[26:27], 1, v17
	v_mov_b32_e32 v17, 0
	v_cndmask_b32_e64 v15, v15, 1, s[26:27]
	v_cmp_eq_u16_sdwa s[30:31], v27, v17 src0_sel:BYTE_0 src1_sel:DWORD
	v_cmp_lt_u32_e64 s[26:27], 1, v11
	v_mov_b32_dpp v13, v26 row_shr:2 row_mask:0xf bank_mask:0xf
	v_cndmask_b32_e64 v11, v27, v15, s[26:27]
	s_and_b64 s[26:27], s[26:27], s[30:31]
	v_cndmask_b32_e64 v13, 0, v13, s[26:27]
	v_add_u32_e32 v13, v13, v26
	ds_write_b32 v9, v13
	ds_write_b8 v9, v11 offset:4
.LBB111_138:
	s_or_b64 exec, exec, s[28:29]
	v_cmp_lt_u32_e64 s[26:27], 63, v0
	s_waitcnt vmcnt(0)
	v_mov_b32_e32 v9, v32
	s_waitcnt lgkmcnt(0)
	s_barrier
	s_and_saveexec_b64 s[28:29], s[26:27]
	s_cbranch_execz .LBB111_140
; %bb.139:
	v_lshl_add_u32 v1, v1, 3, -8
	ds_read_u8 v9, v1 offset:4
	ds_read_b32 v1, v1
	s_waitcnt lgkmcnt(1)
	v_cmp_eq_u16_e64 s[26:27], 0, v9
	v_cndmask_b32_e64 v9, 0, v32, s[26:27]
	s_waitcnt lgkmcnt(0)
	v_add_u32_e32 v9, v9, v1
.LBB111_140:
	s_or_b64 exec, exec, s[28:29]
	v_mov_b32_e32 v28, 0
	v_cmp_eq_u16_sdwa s[26:27], v5, v28 src0_sel:BYTE_0 src1_sel:DWORD
	v_cndmask_b32_e64 v1, 0, v9, s[26:27]
	v_add_u32_e32 v1, v1, v7
	v_add_u32_e32 v5, -1, v3
	v_and_b32_e32 v7, 64, v3
	v_cmp_lt_i32_e64 s[26:27], v5, v7
	v_cndmask_b32_e64 v5, v5, v3, s[26:27]
	v_lshlrev_b32_e32 v5, 2, v5
	ds_bpermute_b32 v1, v5, v1
	v_cmp_eq_u32_e64 s[26:27], 0, v3
	v_and_b32_e32 v29, 0xff, v41
	s_waitcnt lgkmcnt(0)
	v_cndmask_b32_e64 v26, v1, v9, s[26:27]
	v_cndmask_b32_e64 v1, v26, v32, s[0:1]
	v_cmp_eq_u64_e64 s[26:27], 0, v[28:29]
	v_cndmask_b32_e64 v1, 0, v1, s[26:27]
	v_add_u32_e32 v27, v1, v40
	v_cndmask_b32_e32 v1, 0, v27, vcc
	v_add_u32_e32 v44, v1, v8
	v_cndmask_b32_e64 v1, 0, v44, s[4:5]
	v_add_u32_e32 v45, v1, v6
	v_cndmask_b32_e64 v1, 0, v45, s[6:7]
	;; [unrolled: 2-line block ×11, first 2 shown]
	s_and_saveexec_b64 s[4:5], s[0:1]
	s_cbranch_execz .LBB111_142
; %bb.141:
	ds_read_u8 v3, v28 offset:28
	ds_read_b32 v2, v28 offset:24
	s_add_u32 s0, s44, 0x400
	s_addc_u32 s1, s45, 0
	v_mov_b32_e32 v5, v28
	s_waitcnt lgkmcnt(1)
	v_cmp_eq_u16_e32 vcc, 0, v3
	v_cndmask_b32_e32 v4, 0, v32, vcc
	s_waitcnt lgkmcnt(0)
	v_add_u32_e32 v2, v4, v2
	v_and_b32_e32 v3, 0xffff, v3
	v_mov_b32_e32 v4, 2
	v_pk_mov_b32 v[6:7], s[0:1], s[0:1] op_sel:[0,1]
	;;#ASMSTART
	global_store_dwordx4 v[6:7], v[2:5] off	
s_waitcnt vmcnt(0)
	;;#ASMEND
	v_mov_b32_e32 v26, v32
.LBB111_142:
	s_or_b64 exec, exec, s[4:5]
	v_add_u32_e32 v51, v1, v24
.LBB111_143:
	s_add_u32 s0, s42, s34
	s_addc_u32 s1, s43, s35
	v_mov_b32_e32 v1, s1
	v_add_co_u32_e32 v18, vcc, s0, v38
	v_addc_co_u32_e32 v19, vcc, v1, v39, vcc
	v_mul_u32_u24_e32 v1, 14, v0
	s_and_b64 vcc, exec, s[2:3]
	v_lshlrev_b32_e32 v2, 2, v1
	s_cbranch_vccz .LBB111_171
; %bb.144:
	s_movk_i32 s0, 0xffcc
	v_mad_i32_i24 v3, v0, s0, v2
	s_barrier
	ds_write2_b64 v2, v[26:27], v[44:45] offset1:1
	ds_write2_b64 v2, v[30:31], v[46:47] offset0:2 offset1:3
	ds_write2_b64 v2, v[34:35], v[48:49] offset0:4 offset1:5
	ds_write_b64 v2, v[50:51] offset:48
	s_waitcnt lgkmcnt(0)
	s_barrier
	ds_read2st64_b32 v[16:17], v3 offset0:4 offset1:8
	ds_read2st64_b32 v[14:15], v3 offset0:12 offset1:16
	;; [unrolled: 1-line block ×6, first 2 shown]
	ds_read_b32 v3, v3 offset:13312
	v_add_co_u32_e32 v6, vcc, v18, v52
	s_add_i32 s33, s33, s46
	v_addc_co_u32_e32 v7, vcc, 0, v19, vcc
	v_mov_b32_e32 v1, 0
	v_cmp_gt_u32_e32 vcc, s33, v0
	s_and_saveexec_b64 s[0:1], vcc
	s_cbranch_execz .LBB111_146
; %bb.145:
	v_mul_i32_i24_e32 v20, 0xffffffcc, v0
	v_add_u32_e32 v20, v2, v20
	ds_read_b32 v20, v20
	s_waitcnt lgkmcnt(0)
	flat_store_dword v[6:7], v20
.LBB111_146:
	s_or_b64 exec, exec, s[0:1]
	v_or_b32_e32 v20, 0x100, v0
	v_cmp_gt_u32_e32 vcc, s33, v20
	s_and_saveexec_b64 s[0:1], vcc
	s_cbranch_execz .LBB111_148
; %bb.147:
	s_waitcnt lgkmcnt(0)
	flat_store_dword v[6:7], v16 offset:1024
.LBB111_148:
	s_or_b64 exec, exec, s[0:1]
	s_waitcnt lgkmcnt(0)
	v_or_b32_e32 v16, 0x200, v0
	v_cmp_gt_u32_e32 vcc, s33, v16
	s_and_saveexec_b64 s[0:1], vcc
	s_cbranch_execz .LBB111_150
; %bb.149:
	flat_store_dword v[6:7], v17 offset:2048
.LBB111_150:
	s_or_b64 exec, exec, s[0:1]
	v_or_b32_e32 v16, 0x300, v0
	v_cmp_gt_u32_e32 vcc, s33, v16
	s_and_saveexec_b64 s[0:1], vcc
	s_cbranch_execz .LBB111_152
; %bb.151:
	flat_store_dword v[6:7], v14 offset:3072
.LBB111_152:
	s_or_b64 exec, exec, s[0:1]
	v_or_b32_e32 v14, 0x400, v0
	v_cmp_gt_u32_e32 vcc, s33, v14
	s_and_saveexec_b64 s[0:1], vcc
	s_cbranch_execz .LBB111_154
; %bb.153:
	v_add_co_u32_e32 v16, vcc, 0x1000, v6
	v_addc_co_u32_e32 v17, vcc, 0, v7, vcc
	flat_store_dword v[16:17], v15
.LBB111_154:
	s_or_b64 exec, exec, s[0:1]
	v_or_b32_e32 v14, 0x500, v0
	v_cmp_gt_u32_e32 vcc, s33, v14
	s_and_saveexec_b64 s[0:1], vcc
	s_cbranch_execz .LBB111_156
; %bb.155:
	v_add_co_u32_e32 v14, vcc, 0x1000, v6
	v_addc_co_u32_e32 v15, vcc, 0, v7, vcc
	flat_store_dword v[14:15], v12 offset:1024
.LBB111_156:
	s_or_b64 exec, exec, s[0:1]
	v_or_b32_e32 v12, 0x600, v0
	v_cmp_gt_u32_e32 vcc, s33, v12
	s_and_saveexec_b64 s[0:1], vcc
	s_cbranch_execz .LBB111_158
; %bb.157:
	v_add_co_u32_e32 v14, vcc, 0x1000, v6
	v_addc_co_u32_e32 v15, vcc, 0, v7, vcc
	flat_store_dword v[14:15], v13 offset:2048
.LBB111_158:
	;; [unrolled: 10-line block ×3, first 2 shown]
	s_or_b64 exec, exec, s[0:1]
	v_or_b32_e32 v10, 0x800, v0
	v_cmp_gt_u32_e32 vcc, s33, v10
	s_and_saveexec_b64 s[0:1], vcc
	s_cbranch_execz .LBB111_162
; %bb.161:
	v_add_co_u32_e32 v12, vcc, 0x2000, v6
	v_addc_co_u32_e32 v13, vcc, 0, v7, vcc
	flat_store_dword v[12:13], v11
.LBB111_162:
	s_or_b64 exec, exec, s[0:1]
	v_or_b32_e32 v10, 0x900, v0
	v_cmp_gt_u32_e32 vcc, s33, v10
	s_and_saveexec_b64 s[0:1], vcc
	s_cbranch_execz .LBB111_164
; %bb.163:
	v_add_co_u32_e32 v10, vcc, 0x2000, v6
	v_addc_co_u32_e32 v11, vcc, 0, v7, vcc
	flat_store_dword v[10:11], v8 offset:1024
.LBB111_164:
	s_or_b64 exec, exec, s[0:1]
	v_or_b32_e32 v8, 0xa00, v0
	v_cmp_gt_u32_e32 vcc, s33, v8
	s_and_saveexec_b64 s[0:1], vcc
	s_cbranch_execz .LBB111_166
; %bb.165:
	v_add_co_u32_e32 v10, vcc, 0x2000, v6
	v_addc_co_u32_e32 v11, vcc, 0, v7, vcc
	flat_store_dword v[10:11], v9 offset:2048
.LBB111_166:
	s_or_b64 exec, exec, s[0:1]
	v_or_b32_e32 v8, 0xb00, v0
	v_cmp_gt_u32_e32 vcc, s33, v8
	s_and_saveexec_b64 s[0:1], vcc
	s_cbranch_execz .LBB111_168
; %bb.167:
	v_add_co_u32_e32 v8, vcc, 0x2000, v6
	v_addc_co_u32_e32 v9, vcc, 0, v7, vcc
	flat_store_dword v[8:9], v4 offset:3072
.LBB111_168:
	s_or_b64 exec, exec, s[0:1]
	v_or_b32_e32 v4, 0xc00, v0
	v_cmp_gt_u32_e32 vcc, s33, v4
	s_and_saveexec_b64 s[0:1], vcc
	s_cbranch_execz .LBB111_170
; %bb.169:
	v_add_co_u32_e32 v6, vcc, 0x3000, v6
	v_addc_co_u32_e32 v7, vcc, 0, v7, vcc
	flat_store_dword v[6:7], v5
.LBB111_170:
	s_or_b64 exec, exec, s[0:1]
	v_or_b32_e32 v4, 0xd00, v0
	v_cmp_gt_u32_e64 s[0:1], s33, v4
	s_branch .LBB111_173
.LBB111_171:
	s_mov_b64 s[0:1], 0
                                        ; implicit-def: $vgpr3
	s_cbranch_execz .LBB111_173
; %bb.172:
	s_movk_i32 s2, 0xffcc
	s_waitcnt lgkmcnt(0)
	s_barrier
	ds_write2_b64 v2, v[26:27], v[44:45] offset1:1
	ds_write2_b64 v2, v[30:31], v[46:47] offset0:2 offset1:3
	ds_write2_b64 v2, v[34:35], v[48:49] offset0:4 offset1:5
	ds_write_b64 v2, v[50:51] offset:48
	v_mad_i32_i24 v2, v0, s2, v2
	v_add_co_u32_e32 v16, vcc, v18, v52
	s_waitcnt lgkmcnt(0)
	s_barrier
	ds_read2st64_b32 v[4:5], v2 offset1:4
	ds_read2st64_b32 v[6:7], v2 offset0:8 offset1:12
	ds_read2st64_b32 v[8:9], v2 offset0:16 offset1:20
	;; [unrolled: 1-line block ×6, first 2 shown]
	v_addc_co_u32_e32 v17, vcc, 0, v19, vcc
	s_movk_i32 s2, 0x1000
	s_waitcnt lgkmcnt(0)
	flat_store_dword v[16:17], v4
	flat_store_dword v[16:17], v5 offset:1024
	flat_store_dword v[16:17], v6 offset:2048
	;; [unrolled: 1-line block ×3, first 2 shown]
	v_add_co_u32_e32 v4, vcc, s2, v16
	v_addc_co_u32_e32 v5, vcc, 0, v17, vcc
	flat_store_dword v[4:5], v8
	flat_store_dword v[4:5], v9 offset:1024
	flat_store_dword v[4:5], v10 offset:2048
	;; [unrolled: 1-line block ×3, first 2 shown]
	v_add_co_u32_e32 v4, vcc, 0x2000, v16
	v_addc_co_u32_e32 v5, vcc, 0, v17, vcc
	flat_store_dword v[4:5], v12
	flat_store_dword v[4:5], v13 offset:1024
	flat_store_dword v[4:5], v14 offset:2048
	;; [unrolled: 1-line block ×3, first 2 shown]
	v_add_co_u32_e32 v4, vcc, 0x3000, v16
	v_mov_b32_e32 v1, 0
	v_addc_co_u32_e32 v5, vcc, 0, v17, vcc
	s_or_b64 s[0:1], s[0:1], exec
	flat_store_dword v[4:5], v2
.LBB111_173:
	s_and_saveexec_b64 s[2:3], s[0:1]
	s_cbranch_execz .LBB111_175
; %bb.174:
	v_lshlrev_b64 v[0:1], 2, v[0:1]
	v_add_co_u32_e32 v0, vcc, v18, v0
	v_addc_co_u32_e32 v1, vcc, v19, v1, vcc
	v_add_co_u32_e32 v0, vcc, 0x3000, v0
	v_addc_co_u32_e32 v1, vcc, 0, v1, vcc
	flat_store_dword v[0:1], v3 offset:1024
	s_endpgm
.LBB111_175:
	s_endpgm
	.section	.rodata,"a",@progbits
	.p2align	6, 0x0
	.amdhsa_kernel _ZN7rocprim17ROCPRIM_400000_NS6detail17trampoline_kernelINS0_14default_configENS1_27scan_by_key_config_selectorIiiEEZZNS1_16scan_by_key_implILNS1_25lookback_scan_determinismE0ELb1ES3_N6thrust23THRUST_200600_302600_NS6detail15normal_iteratorINS9_10device_ptrIiEEEESE_SE_iNS9_4plusIvEENS9_8equal_toIvEEiEE10hipError_tPvRmT2_T3_T4_T5_mT6_T7_P12ihipStream_tbENKUlT_T0_E_clISt17integral_constantIbLb0EESY_IbLb1EEEEDaSU_SV_EUlSU_E_NS1_11comp_targetILNS1_3genE4ELNS1_11target_archE910ELNS1_3gpuE8ELNS1_3repE0EEENS1_30default_config_static_selectorELNS0_4arch9wavefront6targetE1EEEvT1_
		.amdhsa_group_segment_fixed_size 16384
		.amdhsa_private_segment_fixed_size 0
		.amdhsa_kernarg_size 112
		.amdhsa_user_sgpr_count 6
		.amdhsa_user_sgpr_private_segment_buffer 1
		.amdhsa_user_sgpr_dispatch_ptr 0
		.amdhsa_user_sgpr_queue_ptr 0
		.amdhsa_user_sgpr_kernarg_segment_ptr 1
		.amdhsa_user_sgpr_dispatch_id 0
		.amdhsa_user_sgpr_flat_scratch_init 0
		.amdhsa_user_sgpr_kernarg_preload_length 0
		.amdhsa_user_sgpr_kernarg_preload_offset 0
		.amdhsa_user_sgpr_private_segment_size 0
		.amdhsa_uses_dynamic_stack 0
		.amdhsa_system_sgpr_private_segment_wavefront_offset 0
		.amdhsa_system_sgpr_workgroup_id_x 1
		.amdhsa_system_sgpr_workgroup_id_y 0
		.amdhsa_system_sgpr_workgroup_id_z 0
		.amdhsa_system_sgpr_workgroup_info 0
		.amdhsa_system_vgpr_workitem_id 0
		.amdhsa_next_free_vgpr 67
		.amdhsa_next_free_sgpr 60
		.amdhsa_accum_offset 68
		.amdhsa_reserve_vcc 1
		.amdhsa_reserve_flat_scratch 0
		.amdhsa_float_round_mode_32 0
		.amdhsa_float_round_mode_16_64 0
		.amdhsa_float_denorm_mode_32 3
		.amdhsa_float_denorm_mode_16_64 3
		.amdhsa_dx10_clamp 1
		.amdhsa_ieee_mode 1
		.amdhsa_fp16_overflow 0
		.amdhsa_tg_split 0
		.amdhsa_exception_fp_ieee_invalid_op 0
		.amdhsa_exception_fp_denorm_src 0
		.amdhsa_exception_fp_ieee_div_zero 0
		.amdhsa_exception_fp_ieee_overflow 0
		.amdhsa_exception_fp_ieee_underflow 0
		.amdhsa_exception_fp_ieee_inexact 0
		.amdhsa_exception_int_div_zero 0
	.end_amdhsa_kernel
	.section	.text._ZN7rocprim17ROCPRIM_400000_NS6detail17trampoline_kernelINS0_14default_configENS1_27scan_by_key_config_selectorIiiEEZZNS1_16scan_by_key_implILNS1_25lookback_scan_determinismE0ELb1ES3_N6thrust23THRUST_200600_302600_NS6detail15normal_iteratorINS9_10device_ptrIiEEEESE_SE_iNS9_4plusIvEENS9_8equal_toIvEEiEE10hipError_tPvRmT2_T3_T4_T5_mT6_T7_P12ihipStream_tbENKUlT_T0_E_clISt17integral_constantIbLb0EESY_IbLb1EEEEDaSU_SV_EUlSU_E_NS1_11comp_targetILNS1_3genE4ELNS1_11target_archE910ELNS1_3gpuE8ELNS1_3repE0EEENS1_30default_config_static_selectorELNS0_4arch9wavefront6targetE1EEEvT1_,"axG",@progbits,_ZN7rocprim17ROCPRIM_400000_NS6detail17trampoline_kernelINS0_14default_configENS1_27scan_by_key_config_selectorIiiEEZZNS1_16scan_by_key_implILNS1_25lookback_scan_determinismE0ELb1ES3_N6thrust23THRUST_200600_302600_NS6detail15normal_iteratorINS9_10device_ptrIiEEEESE_SE_iNS9_4plusIvEENS9_8equal_toIvEEiEE10hipError_tPvRmT2_T3_T4_T5_mT6_T7_P12ihipStream_tbENKUlT_T0_E_clISt17integral_constantIbLb0EESY_IbLb1EEEEDaSU_SV_EUlSU_E_NS1_11comp_targetILNS1_3genE4ELNS1_11target_archE910ELNS1_3gpuE8ELNS1_3repE0EEENS1_30default_config_static_selectorELNS0_4arch9wavefront6targetE1EEEvT1_,comdat
.Lfunc_end111:
	.size	_ZN7rocprim17ROCPRIM_400000_NS6detail17trampoline_kernelINS0_14default_configENS1_27scan_by_key_config_selectorIiiEEZZNS1_16scan_by_key_implILNS1_25lookback_scan_determinismE0ELb1ES3_N6thrust23THRUST_200600_302600_NS6detail15normal_iteratorINS9_10device_ptrIiEEEESE_SE_iNS9_4plusIvEENS9_8equal_toIvEEiEE10hipError_tPvRmT2_T3_T4_T5_mT6_T7_P12ihipStream_tbENKUlT_T0_E_clISt17integral_constantIbLb0EESY_IbLb1EEEEDaSU_SV_EUlSU_E_NS1_11comp_targetILNS1_3genE4ELNS1_11target_archE910ELNS1_3gpuE8ELNS1_3repE0EEENS1_30default_config_static_selectorELNS0_4arch9wavefront6targetE1EEEvT1_, .Lfunc_end111-_ZN7rocprim17ROCPRIM_400000_NS6detail17trampoline_kernelINS0_14default_configENS1_27scan_by_key_config_selectorIiiEEZZNS1_16scan_by_key_implILNS1_25lookback_scan_determinismE0ELb1ES3_N6thrust23THRUST_200600_302600_NS6detail15normal_iteratorINS9_10device_ptrIiEEEESE_SE_iNS9_4plusIvEENS9_8equal_toIvEEiEE10hipError_tPvRmT2_T3_T4_T5_mT6_T7_P12ihipStream_tbENKUlT_T0_E_clISt17integral_constantIbLb0EESY_IbLb1EEEEDaSU_SV_EUlSU_E_NS1_11comp_targetILNS1_3genE4ELNS1_11target_archE910ELNS1_3gpuE8ELNS1_3repE0EEENS1_30default_config_static_selectorELNS0_4arch9wavefront6targetE1EEEvT1_
                                        ; -- End function
	.section	.AMDGPU.csdata,"",@progbits
; Kernel info:
; codeLenInByte = 11168
; NumSgprs: 64
; NumVgprs: 67
; NumAgprs: 0
; TotalNumVgprs: 67
; ScratchSize: 0
; MemoryBound: 0
; FloatMode: 240
; IeeeMode: 1
; LDSByteSize: 16384 bytes/workgroup (compile time only)
; SGPRBlocks: 7
; VGPRBlocks: 8
; NumSGPRsForWavesPerEU: 64
; NumVGPRsForWavesPerEU: 67
; AccumOffset: 68
; Occupancy: 4
; WaveLimiterHint : 1
; COMPUTE_PGM_RSRC2:SCRATCH_EN: 0
; COMPUTE_PGM_RSRC2:USER_SGPR: 6
; COMPUTE_PGM_RSRC2:TRAP_HANDLER: 0
; COMPUTE_PGM_RSRC2:TGID_X_EN: 1
; COMPUTE_PGM_RSRC2:TGID_Y_EN: 0
; COMPUTE_PGM_RSRC2:TGID_Z_EN: 0
; COMPUTE_PGM_RSRC2:TIDIG_COMP_CNT: 0
; COMPUTE_PGM_RSRC3_GFX90A:ACCUM_OFFSET: 16
; COMPUTE_PGM_RSRC3_GFX90A:TG_SPLIT: 0
	.section	.text._ZN7rocprim17ROCPRIM_400000_NS6detail17trampoline_kernelINS0_14default_configENS1_27scan_by_key_config_selectorIiiEEZZNS1_16scan_by_key_implILNS1_25lookback_scan_determinismE0ELb1ES3_N6thrust23THRUST_200600_302600_NS6detail15normal_iteratorINS9_10device_ptrIiEEEESE_SE_iNS9_4plusIvEENS9_8equal_toIvEEiEE10hipError_tPvRmT2_T3_T4_T5_mT6_T7_P12ihipStream_tbENKUlT_T0_E_clISt17integral_constantIbLb0EESY_IbLb1EEEEDaSU_SV_EUlSU_E_NS1_11comp_targetILNS1_3genE3ELNS1_11target_archE908ELNS1_3gpuE7ELNS1_3repE0EEENS1_30default_config_static_selectorELNS0_4arch9wavefront6targetE1EEEvT1_,"axG",@progbits,_ZN7rocprim17ROCPRIM_400000_NS6detail17trampoline_kernelINS0_14default_configENS1_27scan_by_key_config_selectorIiiEEZZNS1_16scan_by_key_implILNS1_25lookback_scan_determinismE0ELb1ES3_N6thrust23THRUST_200600_302600_NS6detail15normal_iteratorINS9_10device_ptrIiEEEESE_SE_iNS9_4plusIvEENS9_8equal_toIvEEiEE10hipError_tPvRmT2_T3_T4_T5_mT6_T7_P12ihipStream_tbENKUlT_T0_E_clISt17integral_constantIbLb0EESY_IbLb1EEEEDaSU_SV_EUlSU_E_NS1_11comp_targetILNS1_3genE3ELNS1_11target_archE908ELNS1_3gpuE7ELNS1_3repE0EEENS1_30default_config_static_selectorELNS0_4arch9wavefront6targetE1EEEvT1_,comdat
	.protected	_ZN7rocprim17ROCPRIM_400000_NS6detail17trampoline_kernelINS0_14default_configENS1_27scan_by_key_config_selectorIiiEEZZNS1_16scan_by_key_implILNS1_25lookback_scan_determinismE0ELb1ES3_N6thrust23THRUST_200600_302600_NS6detail15normal_iteratorINS9_10device_ptrIiEEEESE_SE_iNS9_4plusIvEENS9_8equal_toIvEEiEE10hipError_tPvRmT2_T3_T4_T5_mT6_T7_P12ihipStream_tbENKUlT_T0_E_clISt17integral_constantIbLb0EESY_IbLb1EEEEDaSU_SV_EUlSU_E_NS1_11comp_targetILNS1_3genE3ELNS1_11target_archE908ELNS1_3gpuE7ELNS1_3repE0EEENS1_30default_config_static_selectorELNS0_4arch9wavefront6targetE1EEEvT1_ ; -- Begin function _ZN7rocprim17ROCPRIM_400000_NS6detail17trampoline_kernelINS0_14default_configENS1_27scan_by_key_config_selectorIiiEEZZNS1_16scan_by_key_implILNS1_25lookback_scan_determinismE0ELb1ES3_N6thrust23THRUST_200600_302600_NS6detail15normal_iteratorINS9_10device_ptrIiEEEESE_SE_iNS9_4plusIvEENS9_8equal_toIvEEiEE10hipError_tPvRmT2_T3_T4_T5_mT6_T7_P12ihipStream_tbENKUlT_T0_E_clISt17integral_constantIbLb0EESY_IbLb1EEEEDaSU_SV_EUlSU_E_NS1_11comp_targetILNS1_3genE3ELNS1_11target_archE908ELNS1_3gpuE7ELNS1_3repE0EEENS1_30default_config_static_selectorELNS0_4arch9wavefront6targetE1EEEvT1_
	.globl	_ZN7rocprim17ROCPRIM_400000_NS6detail17trampoline_kernelINS0_14default_configENS1_27scan_by_key_config_selectorIiiEEZZNS1_16scan_by_key_implILNS1_25lookback_scan_determinismE0ELb1ES3_N6thrust23THRUST_200600_302600_NS6detail15normal_iteratorINS9_10device_ptrIiEEEESE_SE_iNS9_4plusIvEENS9_8equal_toIvEEiEE10hipError_tPvRmT2_T3_T4_T5_mT6_T7_P12ihipStream_tbENKUlT_T0_E_clISt17integral_constantIbLb0EESY_IbLb1EEEEDaSU_SV_EUlSU_E_NS1_11comp_targetILNS1_3genE3ELNS1_11target_archE908ELNS1_3gpuE7ELNS1_3repE0EEENS1_30default_config_static_selectorELNS0_4arch9wavefront6targetE1EEEvT1_
	.p2align	8
	.type	_ZN7rocprim17ROCPRIM_400000_NS6detail17trampoline_kernelINS0_14default_configENS1_27scan_by_key_config_selectorIiiEEZZNS1_16scan_by_key_implILNS1_25lookback_scan_determinismE0ELb1ES3_N6thrust23THRUST_200600_302600_NS6detail15normal_iteratorINS9_10device_ptrIiEEEESE_SE_iNS9_4plusIvEENS9_8equal_toIvEEiEE10hipError_tPvRmT2_T3_T4_T5_mT6_T7_P12ihipStream_tbENKUlT_T0_E_clISt17integral_constantIbLb0EESY_IbLb1EEEEDaSU_SV_EUlSU_E_NS1_11comp_targetILNS1_3genE3ELNS1_11target_archE908ELNS1_3gpuE7ELNS1_3repE0EEENS1_30default_config_static_selectorELNS0_4arch9wavefront6targetE1EEEvT1_,@function
_ZN7rocprim17ROCPRIM_400000_NS6detail17trampoline_kernelINS0_14default_configENS1_27scan_by_key_config_selectorIiiEEZZNS1_16scan_by_key_implILNS1_25lookback_scan_determinismE0ELb1ES3_N6thrust23THRUST_200600_302600_NS6detail15normal_iteratorINS9_10device_ptrIiEEEESE_SE_iNS9_4plusIvEENS9_8equal_toIvEEiEE10hipError_tPvRmT2_T3_T4_T5_mT6_T7_P12ihipStream_tbENKUlT_T0_E_clISt17integral_constantIbLb0EESY_IbLb1EEEEDaSU_SV_EUlSU_E_NS1_11comp_targetILNS1_3genE3ELNS1_11target_archE908ELNS1_3gpuE7ELNS1_3repE0EEENS1_30default_config_static_selectorELNS0_4arch9wavefront6targetE1EEEvT1_: ; @_ZN7rocprim17ROCPRIM_400000_NS6detail17trampoline_kernelINS0_14default_configENS1_27scan_by_key_config_selectorIiiEEZZNS1_16scan_by_key_implILNS1_25lookback_scan_determinismE0ELb1ES3_N6thrust23THRUST_200600_302600_NS6detail15normal_iteratorINS9_10device_ptrIiEEEESE_SE_iNS9_4plusIvEENS9_8equal_toIvEEiEE10hipError_tPvRmT2_T3_T4_T5_mT6_T7_P12ihipStream_tbENKUlT_T0_E_clISt17integral_constantIbLb0EESY_IbLb1EEEEDaSU_SV_EUlSU_E_NS1_11comp_targetILNS1_3genE3ELNS1_11target_archE908ELNS1_3gpuE7ELNS1_3repE0EEENS1_30default_config_static_selectorELNS0_4arch9wavefront6targetE1EEEvT1_
; %bb.0:
	.section	.rodata,"a",@progbits
	.p2align	6, 0x0
	.amdhsa_kernel _ZN7rocprim17ROCPRIM_400000_NS6detail17trampoline_kernelINS0_14default_configENS1_27scan_by_key_config_selectorIiiEEZZNS1_16scan_by_key_implILNS1_25lookback_scan_determinismE0ELb1ES3_N6thrust23THRUST_200600_302600_NS6detail15normal_iteratorINS9_10device_ptrIiEEEESE_SE_iNS9_4plusIvEENS9_8equal_toIvEEiEE10hipError_tPvRmT2_T3_T4_T5_mT6_T7_P12ihipStream_tbENKUlT_T0_E_clISt17integral_constantIbLb0EESY_IbLb1EEEEDaSU_SV_EUlSU_E_NS1_11comp_targetILNS1_3genE3ELNS1_11target_archE908ELNS1_3gpuE7ELNS1_3repE0EEENS1_30default_config_static_selectorELNS0_4arch9wavefront6targetE1EEEvT1_
		.amdhsa_group_segment_fixed_size 0
		.amdhsa_private_segment_fixed_size 0
		.amdhsa_kernarg_size 112
		.amdhsa_user_sgpr_count 6
		.amdhsa_user_sgpr_private_segment_buffer 1
		.amdhsa_user_sgpr_dispatch_ptr 0
		.amdhsa_user_sgpr_queue_ptr 0
		.amdhsa_user_sgpr_kernarg_segment_ptr 1
		.amdhsa_user_sgpr_dispatch_id 0
		.amdhsa_user_sgpr_flat_scratch_init 0
		.amdhsa_user_sgpr_kernarg_preload_length 0
		.amdhsa_user_sgpr_kernarg_preload_offset 0
		.amdhsa_user_sgpr_private_segment_size 0
		.amdhsa_uses_dynamic_stack 0
		.amdhsa_system_sgpr_private_segment_wavefront_offset 0
		.amdhsa_system_sgpr_workgroup_id_x 1
		.amdhsa_system_sgpr_workgroup_id_y 0
		.amdhsa_system_sgpr_workgroup_id_z 0
		.amdhsa_system_sgpr_workgroup_info 0
		.amdhsa_system_vgpr_workitem_id 0
		.amdhsa_next_free_vgpr 1
		.amdhsa_next_free_sgpr 0
		.amdhsa_accum_offset 4
		.amdhsa_reserve_vcc 0
		.amdhsa_reserve_flat_scratch 0
		.amdhsa_float_round_mode_32 0
		.amdhsa_float_round_mode_16_64 0
		.amdhsa_float_denorm_mode_32 3
		.amdhsa_float_denorm_mode_16_64 3
		.amdhsa_dx10_clamp 1
		.amdhsa_ieee_mode 1
		.amdhsa_fp16_overflow 0
		.amdhsa_tg_split 0
		.amdhsa_exception_fp_ieee_invalid_op 0
		.amdhsa_exception_fp_denorm_src 0
		.amdhsa_exception_fp_ieee_div_zero 0
		.amdhsa_exception_fp_ieee_overflow 0
		.amdhsa_exception_fp_ieee_underflow 0
		.amdhsa_exception_fp_ieee_inexact 0
		.amdhsa_exception_int_div_zero 0
	.end_amdhsa_kernel
	.section	.text._ZN7rocprim17ROCPRIM_400000_NS6detail17trampoline_kernelINS0_14default_configENS1_27scan_by_key_config_selectorIiiEEZZNS1_16scan_by_key_implILNS1_25lookback_scan_determinismE0ELb1ES3_N6thrust23THRUST_200600_302600_NS6detail15normal_iteratorINS9_10device_ptrIiEEEESE_SE_iNS9_4plusIvEENS9_8equal_toIvEEiEE10hipError_tPvRmT2_T3_T4_T5_mT6_T7_P12ihipStream_tbENKUlT_T0_E_clISt17integral_constantIbLb0EESY_IbLb1EEEEDaSU_SV_EUlSU_E_NS1_11comp_targetILNS1_3genE3ELNS1_11target_archE908ELNS1_3gpuE7ELNS1_3repE0EEENS1_30default_config_static_selectorELNS0_4arch9wavefront6targetE1EEEvT1_,"axG",@progbits,_ZN7rocprim17ROCPRIM_400000_NS6detail17trampoline_kernelINS0_14default_configENS1_27scan_by_key_config_selectorIiiEEZZNS1_16scan_by_key_implILNS1_25lookback_scan_determinismE0ELb1ES3_N6thrust23THRUST_200600_302600_NS6detail15normal_iteratorINS9_10device_ptrIiEEEESE_SE_iNS9_4plusIvEENS9_8equal_toIvEEiEE10hipError_tPvRmT2_T3_T4_T5_mT6_T7_P12ihipStream_tbENKUlT_T0_E_clISt17integral_constantIbLb0EESY_IbLb1EEEEDaSU_SV_EUlSU_E_NS1_11comp_targetILNS1_3genE3ELNS1_11target_archE908ELNS1_3gpuE7ELNS1_3repE0EEENS1_30default_config_static_selectorELNS0_4arch9wavefront6targetE1EEEvT1_,comdat
.Lfunc_end112:
	.size	_ZN7rocprim17ROCPRIM_400000_NS6detail17trampoline_kernelINS0_14default_configENS1_27scan_by_key_config_selectorIiiEEZZNS1_16scan_by_key_implILNS1_25lookback_scan_determinismE0ELb1ES3_N6thrust23THRUST_200600_302600_NS6detail15normal_iteratorINS9_10device_ptrIiEEEESE_SE_iNS9_4plusIvEENS9_8equal_toIvEEiEE10hipError_tPvRmT2_T3_T4_T5_mT6_T7_P12ihipStream_tbENKUlT_T0_E_clISt17integral_constantIbLb0EESY_IbLb1EEEEDaSU_SV_EUlSU_E_NS1_11comp_targetILNS1_3genE3ELNS1_11target_archE908ELNS1_3gpuE7ELNS1_3repE0EEENS1_30default_config_static_selectorELNS0_4arch9wavefront6targetE1EEEvT1_, .Lfunc_end112-_ZN7rocprim17ROCPRIM_400000_NS6detail17trampoline_kernelINS0_14default_configENS1_27scan_by_key_config_selectorIiiEEZZNS1_16scan_by_key_implILNS1_25lookback_scan_determinismE0ELb1ES3_N6thrust23THRUST_200600_302600_NS6detail15normal_iteratorINS9_10device_ptrIiEEEESE_SE_iNS9_4plusIvEENS9_8equal_toIvEEiEE10hipError_tPvRmT2_T3_T4_T5_mT6_T7_P12ihipStream_tbENKUlT_T0_E_clISt17integral_constantIbLb0EESY_IbLb1EEEEDaSU_SV_EUlSU_E_NS1_11comp_targetILNS1_3genE3ELNS1_11target_archE908ELNS1_3gpuE7ELNS1_3repE0EEENS1_30default_config_static_selectorELNS0_4arch9wavefront6targetE1EEEvT1_
                                        ; -- End function
	.section	.AMDGPU.csdata,"",@progbits
; Kernel info:
; codeLenInByte = 0
; NumSgprs: 4
; NumVgprs: 0
; NumAgprs: 0
; TotalNumVgprs: 0
; ScratchSize: 0
; MemoryBound: 0
; FloatMode: 240
; IeeeMode: 1
; LDSByteSize: 0 bytes/workgroup (compile time only)
; SGPRBlocks: 0
; VGPRBlocks: 0
; NumSGPRsForWavesPerEU: 4
; NumVGPRsForWavesPerEU: 1
; AccumOffset: 4
; Occupancy: 8
; WaveLimiterHint : 0
; COMPUTE_PGM_RSRC2:SCRATCH_EN: 0
; COMPUTE_PGM_RSRC2:USER_SGPR: 6
; COMPUTE_PGM_RSRC2:TRAP_HANDLER: 0
; COMPUTE_PGM_RSRC2:TGID_X_EN: 1
; COMPUTE_PGM_RSRC2:TGID_Y_EN: 0
; COMPUTE_PGM_RSRC2:TGID_Z_EN: 0
; COMPUTE_PGM_RSRC2:TIDIG_COMP_CNT: 0
; COMPUTE_PGM_RSRC3_GFX90A:ACCUM_OFFSET: 0
; COMPUTE_PGM_RSRC3_GFX90A:TG_SPLIT: 0
	.section	.text._ZN7rocprim17ROCPRIM_400000_NS6detail17trampoline_kernelINS0_14default_configENS1_27scan_by_key_config_selectorIiiEEZZNS1_16scan_by_key_implILNS1_25lookback_scan_determinismE0ELb1ES3_N6thrust23THRUST_200600_302600_NS6detail15normal_iteratorINS9_10device_ptrIiEEEESE_SE_iNS9_4plusIvEENS9_8equal_toIvEEiEE10hipError_tPvRmT2_T3_T4_T5_mT6_T7_P12ihipStream_tbENKUlT_T0_E_clISt17integral_constantIbLb0EESY_IbLb1EEEEDaSU_SV_EUlSU_E_NS1_11comp_targetILNS1_3genE2ELNS1_11target_archE906ELNS1_3gpuE6ELNS1_3repE0EEENS1_30default_config_static_selectorELNS0_4arch9wavefront6targetE1EEEvT1_,"axG",@progbits,_ZN7rocprim17ROCPRIM_400000_NS6detail17trampoline_kernelINS0_14default_configENS1_27scan_by_key_config_selectorIiiEEZZNS1_16scan_by_key_implILNS1_25lookback_scan_determinismE0ELb1ES3_N6thrust23THRUST_200600_302600_NS6detail15normal_iteratorINS9_10device_ptrIiEEEESE_SE_iNS9_4plusIvEENS9_8equal_toIvEEiEE10hipError_tPvRmT2_T3_T4_T5_mT6_T7_P12ihipStream_tbENKUlT_T0_E_clISt17integral_constantIbLb0EESY_IbLb1EEEEDaSU_SV_EUlSU_E_NS1_11comp_targetILNS1_3genE2ELNS1_11target_archE906ELNS1_3gpuE6ELNS1_3repE0EEENS1_30default_config_static_selectorELNS0_4arch9wavefront6targetE1EEEvT1_,comdat
	.protected	_ZN7rocprim17ROCPRIM_400000_NS6detail17trampoline_kernelINS0_14default_configENS1_27scan_by_key_config_selectorIiiEEZZNS1_16scan_by_key_implILNS1_25lookback_scan_determinismE0ELb1ES3_N6thrust23THRUST_200600_302600_NS6detail15normal_iteratorINS9_10device_ptrIiEEEESE_SE_iNS9_4plusIvEENS9_8equal_toIvEEiEE10hipError_tPvRmT2_T3_T4_T5_mT6_T7_P12ihipStream_tbENKUlT_T0_E_clISt17integral_constantIbLb0EESY_IbLb1EEEEDaSU_SV_EUlSU_E_NS1_11comp_targetILNS1_3genE2ELNS1_11target_archE906ELNS1_3gpuE6ELNS1_3repE0EEENS1_30default_config_static_selectorELNS0_4arch9wavefront6targetE1EEEvT1_ ; -- Begin function _ZN7rocprim17ROCPRIM_400000_NS6detail17trampoline_kernelINS0_14default_configENS1_27scan_by_key_config_selectorIiiEEZZNS1_16scan_by_key_implILNS1_25lookback_scan_determinismE0ELb1ES3_N6thrust23THRUST_200600_302600_NS6detail15normal_iteratorINS9_10device_ptrIiEEEESE_SE_iNS9_4plusIvEENS9_8equal_toIvEEiEE10hipError_tPvRmT2_T3_T4_T5_mT6_T7_P12ihipStream_tbENKUlT_T0_E_clISt17integral_constantIbLb0EESY_IbLb1EEEEDaSU_SV_EUlSU_E_NS1_11comp_targetILNS1_3genE2ELNS1_11target_archE906ELNS1_3gpuE6ELNS1_3repE0EEENS1_30default_config_static_selectorELNS0_4arch9wavefront6targetE1EEEvT1_
	.globl	_ZN7rocprim17ROCPRIM_400000_NS6detail17trampoline_kernelINS0_14default_configENS1_27scan_by_key_config_selectorIiiEEZZNS1_16scan_by_key_implILNS1_25lookback_scan_determinismE0ELb1ES3_N6thrust23THRUST_200600_302600_NS6detail15normal_iteratorINS9_10device_ptrIiEEEESE_SE_iNS9_4plusIvEENS9_8equal_toIvEEiEE10hipError_tPvRmT2_T3_T4_T5_mT6_T7_P12ihipStream_tbENKUlT_T0_E_clISt17integral_constantIbLb0EESY_IbLb1EEEEDaSU_SV_EUlSU_E_NS1_11comp_targetILNS1_3genE2ELNS1_11target_archE906ELNS1_3gpuE6ELNS1_3repE0EEENS1_30default_config_static_selectorELNS0_4arch9wavefront6targetE1EEEvT1_
	.p2align	8
	.type	_ZN7rocprim17ROCPRIM_400000_NS6detail17trampoline_kernelINS0_14default_configENS1_27scan_by_key_config_selectorIiiEEZZNS1_16scan_by_key_implILNS1_25lookback_scan_determinismE0ELb1ES3_N6thrust23THRUST_200600_302600_NS6detail15normal_iteratorINS9_10device_ptrIiEEEESE_SE_iNS9_4plusIvEENS9_8equal_toIvEEiEE10hipError_tPvRmT2_T3_T4_T5_mT6_T7_P12ihipStream_tbENKUlT_T0_E_clISt17integral_constantIbLb0EESY_IbLb1EEEEDaSU_SV_EUlSU_E_NS1_11comp_targetILNS1_3genE2ELNS1_11target_archE906ELNS1_3gpuE6ELNS1_3repE0EEENS1_30default_config_static_selectorELNS0_4arch9wavefront6targetE1EEEvT1_,@function
_ZN7rocprim17ROCPRIM_400000_NS6detail17trampoline_kernelINS0_14default_configENS1_27scan_by_key_config_selectorIiiEEZZNS1_16scan_by_key_implILNS1_25lookback_scan_determinismE0ELb1ES3_N6thrust23THRUST_200600_302600_NS6detail15normal_iteratorINS9_10device_ptrIiEEEESE_SE_iNS9_4plusIvEENS9_8equal_toIvEEiEE10hipError_tPvRmT2_T3_T4_T5_mT6_T7_P12ihipStream_tbENKUlT_T0_E_clISt17integral_constantIbLb0EESY_IbLb1EEEEDaSU_SV_EUlSU_E_NS1_11comp_targetILNS1_3genE2ELNS1_11target_archE906ELNS1_3gpuE6ELNS1_3repE0EEENS1_30default_config_static_selectorELNS0_4arch9wavefront6targetE1EEEvT1_: ; @_ZN7rocprim17ROCPRIM_400000_NS6detail17trampoline_kernelINS0_14default_configENS1_27scan_by_key_config_selectorIiiEEZZNS1_16scan_by_key_implILNS1_25lookback_scan_determinismE0ELb1ES3_N6thrust23THRUST_200600_302600_NS6detail15normal_iteratorINS9_10device_ptrIiEEEESE_SE_iNS9_4plusIvEENS9_8equal_toIvEEiEE10hipError_tPvRmT2_T3_T4_T5_mT6_T7_P12ihipStream_tbENKUlT_T0_E_clISt17integral_constantIbLb0EESY_IbLb1EEEEDaSU_SV_EUlSU_E_NS1_11comp_targetILNS1_3genE2ELNS1_11target_archE906ELNS1_3gpuE6ELNS1_3repE0EEENS1_30default_config_static_selectorELNS0_4arch9wavefront6targetE1EEEvT1_
; %bb.0:
	.section	.rodata,"a",@progbits
	.p2align	6, 0x0
	.amdhsa_kernel _ZN7rocprim17ROCPRIM_400000_NS6detail17trampoline_kernelINS0_14default_configENS1_27scan_by_key_config_selectorIiiEEZZNS1_16scan_by_key_implILNS1_25lookback_scan_determinismE0ELb1ES3_N6thrust23THRUST_200600_302600_NS6detail15normal_iteratorINS9_10device_ptrIiEEEESE_SE_iNS9_4plusIvEENS9_8equal_toIvEEiEE10hipError_tPvRmT2_T3_T4_T5_mT6_T7_P12ihipStream_tbENKUlT_T0_E_clISt17integral_constantIbLb0EESY_IbLb1EEEEDaSU_SV_EUlSU_E_NS1_11comp_targetILNS1_3genE2ELNS1_11target_archE906ELNS1_3gpuE6ELNS1_3repE0EEENS1_30default_config_static_selectorELNS0_4arch9wavefront6targetE1EEEvT1_
		.amdhsa_group_segment_fixed_size 0
		.amdhsa_private_segment_fixed_size 0
		.amdhsa_kernarg_size 112
		.amdhsa_user_sgpr_count 6
		.amdhsa_user_sgpr_private_segment_buffer 1
		.amdhsa_user_sgpr_dispatch_ptr 0
		.amdhsa_user_sgpr_queue_ptr 0
		.amdhsa_user_sgpr_kernarg_segment_ptr 1
		.amdhsa_user_sgpr_dispatch_id 0
		.amdhsa_user_sgpr_flat_scratch_init 0
		.amdhsa_user_sgpr_kernarg_preload_length 0
		.amdhsa_user_sgpr_kernarg_preload_offset 0
		.amdhsa_user_sgpr_private_segment_size 0
		.amdhsa_uses_dynamic_stack 0
		.amdhsa_system_sgpr_private_segment_wavefront_offset 0
		.amdhsa_system_sgpr_workgroup_id_x 1
		.amdhsa_system_sgpr_workgroup_id_y 0
		.amdhsa_system_sgpr_workgroup_id_z 0
		.amdhsa_system_sgpr_workgroup_info 0
		.amdhsa_system_vgpr_workitem_id 0
		.amdhsa_next_free_vgpr 1
		.amdhsa_next_free_sgpr 0
		.amdhsa_accum_offset 4
		.amdhsa_reserve_vcc 0
		.amdhsa_reserve_flat_scratch 0
		.amdhsa_float_round_mode_32 0
		.amdhsa_float_round_mode_16_64 0
		.amdhsa_float_denorm_mode_32 3
		.amdhsa_float_denorm_mode_16_64 3
		.amdhsa_dx10_clamp 1
		.amdhsa_ieee_mode 1
		.amdhsa_fp16_overflow 0
		.amdhsa_tg_split 0
		.amdhsa_exception_fp_ieee_invalid_op 0
		.amdhsa_exception_fp_denorm_src 0
		.amdhsa_exception_fp_ieee_div_zero 0
		.amdhsa_exception_fp_ieee_overflow 0
		.amdhsa_exception_fp_ieee_underflow 0
		.amdhsa_exception_fp_ieee_inexact 0
		.amdhsa_exception_int_div_zero 0
	.end_amdhsa_kernel
	.section	.text._ZN7rocprim17ROCPRIM_400000_NS6detail17trampoline_kernelINS0_14default_configENS1_27scan_by_key_config_selectorIiiEEZZNS1_16scan_by_key_implILNS1_25lookback_scan_determinismE0ELb1ES3_N6thrust23THRUST_200600_302600_NS6detail15normal_iteratorINS9_10device_ptrIiEEEESE_SE_iNS9_4plusIvEENS9_8equal_toIvEEiEE10hipError_tPvRmT2_T3_T4_T5_mT6_T7_P12ihipStream_tbENKUlT_T0_E_clISt17integral_constantIbLb0EESY_IbLb1EEEEDaSU_SV_EUlSU_E_NS1_11comp_targetILNS1_3genE2ELNS1_11target_archE906ELNS1_3gpuE6ELNS1_3repE0EEENS1_30default_config_static_selectorELNS0_4arch9wavefront6targetE1EEEvT1_,"axG",@progbits,_ZN7rocprim17ROCPRIM_400000_NS6detail17trampoline_kernelINS0_14default_configENS1_27scan_by_key_config_selectorIiiEEZZNS1_16scan_by_key_implILNS1_25lookback_scan_determinismE0ELb1ES3_N6thrust23THRUST_200600_302600_NS6detail15normal_iteratorINS9_10device_ptrIiEEEESE_SE_iNS9_4plusIvEENS9_8equal_toIvEEiEE10hipError_tPvRmT2_T3_T4_T5_mT6_T7_P12ihipStream_tbENKUlT_T0_E_clISt17integral_constantIbLb0EESY_IbLb1EEEEDaSU_SV_EUlSU_E_NS1_11comp_targetILNS1_3genE2ELNS1_11target_archE906ELNS1_3gpuE6ELNS1_3repE0EEENS1_30default_config_static_selectorELNS0_4arch9wavefront6targetE1EEEvT1_,comdat
.Lfunc_end113:
	.size	_ZN7rocprim17ROCPRIM_400000_NS6detail17trampoline_kernelINS0_14default_configENS1_27scan_by_key_config_selectorIiiEEZZNS1_16scan_by_key_implILNS1_25lookback_scan_determinismE0ELb1ES3_N6thrust23THRUST_200600_302600_NS6detail15normal_iteratorINS9_10device_ptrIiEEEESE_SE_iNS9_4plusIvEENS9_8equal_toIvEEiEE10hipError_tPvRmT2_T3_T4_T5_mT6_T7_P12ihipStream_tbENKUlT_T0_E_clISt17integral_constantIbLb0EESY_IbLb1EEEEDaSU_SV_EUlSU_E_NS1_11comp_targetILNS1_3genE2ELNS1_11target_archE906ELNS1_3gpuE6ELNS1_3repE0EEENS1_30default_config_static_selectorELNS0_4arch9wavefront6targetE1EEEvT1_, .Lfunc_end113-_ZN7rocprim17ROCPRIM_400000_NS6detail17trampoline_kernelINS0_14default_configENS1_27scan_by_key_config_selectorIiiEEZZNS1_16scan_by_key_implILNS1_25lookback_scan_determinismE0ELb1ES3_N6thrust23THRUST_200600_302600_NS6detail15normal_iteratorINS9_10device_ptrIiEEEESE_SE_iNS9_4plusIvEENS9_8equal_toIvEEiEE10hipError_tPvRmT2_T3_T4_T5_mT6_T7_P12ihipStream_tbENKUlT_T0_E_clISt17integral_constantIbLb0EESY_IbLb1EEEEDaSU_SV_EUlSU_E_NS1_11comp_targetILNS1_3genE2ELNS1_11target_archE906ELNS1_3gpuE6ELNS1_3repE0EEENS1_30default_config_static_selectorELNS0_4arch9wavefront6targetE1EEEvT1_
                                        ; -- End function
	.section	.AMDGPU.csdata,"",@progbits
; Kernel info:
; codeLenInByte = 0
; NumSgprs: 4
; NumVgprs: 0
; NumAgprs: 0
; TotalNumVgprs: 0
; ScratchSize: 0
; MemoryBound: 0
; FloatMode: 240
; IeeeMode: 1
; LDSByteSize: 0 bytes/workgroup (compile time only)
; SGPRBlocks: 0
; VGPRBlocks: 0
; NumSGPRsForWavesPerEU: 4
; NumVGPRsForWavesPerEU: 1
; AccumOffset: 4
; Occupancy: 8
; WaveLimiterHint : 0
; COMPUTE_PGM_RSRC2:SCRATCH_EN: 0
; COMPUTE_PGM_RSRC2:USER_SGPR: 6
; COMPUTE_PGM_RSRC2:TRAP_HANDLER: 0
; COMPUTE_PGM_RSRC2:TGID_X_EN: 1
; COMPUTE_PGM_RSRC2:TGID_Y_EN: 0
; COMPUTE_PGM_RSRC2:TGID_Z_EN: 0
; COMPUTE_PGM_RSRC2:TIDIG_COMP_CNT: 0
; COMPUTE_PGM_RSRC3_GFX90A:ACCUM_OFFSET: 0
; COMPUTE_PGM_RSRC3_GFX90A:TG_SPLIT: 0
	.section	.text._ZN7rocprim17ROCPRIM_400000_NS6detail17trampoline_kernelINS0_14default_configENS1_27scan_by_key_config_selectorIiiEEZZNS1_16scan_by_key_implILNS1_25lookback_scan_determinismE0ELb1ES3_N6thrust23THRUST_200600_302600_NS6detail15normal_iteratorINS9_10device_ptrIiEEEESE_SE_iNS9_4plusIvEENS9_8equal_toIvEEiEE10hipError_tPvRmT2_T3_T4_T5_mT6_T7_P12ihipStream_tbENKUlT_T0_E_clISt17integral_constantIbLb0EESY_IbLb1EEEEDaSU_SV_EUlSU_E_NS1_11comp_targetILNS1_3genE10ELNS1_11target_archE1200ELNS1_3gpuE4ELNS1_3repE0EEENS1_30default_config_static_selectorELNS0_4arch9wavefront6targetE1EEEvT1_,"axG",@progbits,_ZN7rocprim17ROCPRIM_400000_NS6detail17trampoline_kernelINS0_14default_configENS1_27scan_by_key_config_selectorIiiEEZZNS1_16scan_by_key_implILNS1_25lookback_scan_determinismE0ELb1ES3_N6thrust23THRUST_200600_302600_NS6detail15normal_iteratorINS9_10device_ptrIiEEEESE_SE_iNS9_4plusIvEENS9_8equal_toIvEEiEE10hipError_tPvRmT2_T3_T4_T5_mT6_T7_P12ihipStream_tbENKUlT_T0_E_clISt17integral_constantIbLb0EESY_IbLb1EEEEDaSU_SV_EUlSU_E_NS1_11comp_targetILNS1_3genE10ELNS1_11target_archE1200ELNS1_3gpuE4ELNS1_3repE0EEENS1_30default_config_static_selectorELNS0_4arch9wavefront6targetE1EEEvT1_,comdat
	.protected	_ZN7rocprim17ROCPRIM_400000_NS6detail17trampoline_kernelINS0_14default_configENS1_27scan_by_key_config_selectorIiiEEZZNS1_16scan_by_key_implILNS1_25lookback_scan_determinismE0ELb1ES3_N6thrust23THRUST_200600_302600_NS6detail15normal_iteratorINS9_10device_ptrIiEEEESE_SE_iNS9_4plusIvEENS9_8equal_toIvEEiEE10hipError_tPvRmT2_T3_T4_T5_mT6_T7_P12ihipStream_tbENKUlT_T0_E_clISt17integral_constantIbLb0EESY_IbLb1EEEEDaSU_SV_EUlSU_E_NS1_11comp_targetILNS1_3genE10ELNS1_11target_archE1200ELNS1_3gpuE4ELNS1_3repE0EEENS1_30default_config_static_selectorELNS0_4arch9wavefront6targetE1EEEvT1_ ; -- Begin function _ZN7rocprim17ROCPRIM_400000_NS6detail17trampoline_kernelINS0_14default_configENS1_27scan_by_key_config_selectorIiiEEZZNS1_16scan_by_key_implILNS1_25lookback_scan_determinismE0ELb1ES3_N6thrust23THRUST_200600_302600_NS6detail15normal_iteratorINS9_10device_ptrIiEEEESE_SE_iNS9_4plusIvEENS9_8equal_toIvEEiEE10hipError_tPvRmT2_T3_T4_T5_mT6_T7_P12ihipStream_tbENKUlT_T0_E_clISt17integral_constantIbLb0EESY_IbLb1EEEEDaSU_SV_EUlSU_E_NS1_11comp_targetILNS1_3genE10ELNS1_11target_archE1200ELNS1_3gpuE4ELNS1_3repE0EEENS1_30default_config_static_selectorELNS0_4arch9wavefront6targetE1EEEvT1_
	.globl	_ZN7rocprim17ROCPRIM_400000_NS6detail17trampoline_kernelINS0_14default_configENS1_27scan_by_key_config_selectorIiiEEZZNS1_16scan_by_key_implILNS1_25lookback_scan_determinismE0ELb1ES3_N6thrust23THRUST_200600_302600_NS6detail15normal_iteratorINS9_10device_ptrIiEEEESE_SE_iNS9_4plusIvEENS9_8equal_toIvEEiEE10hipError_tPvRmT2_T3_T4_T5_mT6_T7_P12ihipStream_tbENKUlT_T0_E_clISt17integral_constantIbLb0EESY_IbLb1EEEEDaSU_SV_EUlSU_E_NS1_11comp_targetILNS1_3genE10ELNS1_11target_archE1200ELNS1_3gpuE4ELNS1_3repE0EEENS1_30default_config_static_selectorELNS0_4arch9wavefront6targetE1EEEvT1_
	.p2align	8
	.type	_ZN7rocprim17ROCPRIM_400000_NS6detail17trampoline_kernelINS0_14default_configENS1_27scan_by_key_config_selectorIiiEEZZNS1_16scan_by_key_implILNS1_25lookback_scan_determinismE0ELb1ES3_N6thrust23THRUST_200600_302600_NS6detail15normal_iteratorINS9_10device_ptrIiEEEESE_SE_iNS9_4plusIvEENS9_8equal_toIvEEiEE10hipError_tPvRmT2_T3_T4_T5_mT6_T7_P12ihipStream_tbENKUlT_T0_E_clISt17integral_constantIbLb0EESY_IbLb1EEEEDaSU_SV_EUlSU_E_NS1_11comp_targetILNS1_3genE10ELNS1_11target_archE1200ELNS1_3gpuE4ELNS1_3repE0EEENS1_30default_config_static_selectorELNS0_4arch9wavefront6targetE1EEEvT1_,@function
_ZN7rocprim17ROCPRIM_400000_NS6detail17trampoline_kernelINS0_14default_configENS1_27scan_by_key_config_selectorIiiEEZZNS1_16scan_by_key_implILNS1_25lookback_scan_determinismE0ELb1ES3_N6thrust23THRUST_200600_302600_NS6detail15normal_iteratorINS9_10device_ptrIiEEEESE_SE_iNS9_4plusIvEENS9_8equal_toIvEEiEE10hipError_tPvRmT2_T3_T4_T5_mT6_T7_P12ihipStream_tbENKUlT_T0_E_clISt17integral_constantIbLb0EESY_IbLb1EEEEDaSU_SV_EUlSU_E_NS1_11comp_targetILNS1_3genE10ELNS1_11target_archE1200ELNS1_3gpuE4ELNS1_3repE0EEENS1_30default_config_static_selectorELNS0_4arch9wavefront6targetE1EEEvT1_: ; @_ZN7rocprim17ROCPRIM_400000_NS6detail17trampoline_kernelINS0_14default_configENS1_27scan_by_key_config_selectorIiiEEZZNS1_16scan_by_key_implILNS1_25lookback_scan_determinismE0ELb1ES3_N6thrust23THRUST_200600_302600_NS6detail15normal_iteratorINS9_10device_ptrIiEEEESE_SE_iNS9_4plusIvEENS9_8equal_toIvEEiEE10hipError_tPvRmT2_T3_T4_T5_mT6_T7_P12ihipStream_tbENKUlT_T0_E_clISt17integral_constantIbLb0EESY_IbLb1EEEEDaSU_SV_EUlSU_E_NS1_11comp_targetILNS1_3genE10ELNS1_11target_archE1200ELNS1_3gpuE4ELNS1_3repE0EEENS1_30default_config_static_selectorELNS0_4arch9wavefront6targetE1EEEvT1_
; %bb.0:
	.section	.rodata,"a",@progbits
	.p2align	6, 0x0
	.amdhsa_kernel _ZN7rocprim17ROCPRIM_400000_NS6detail17trampoline_kernelINS0_14default_configENS1_27scan_by_key_config_selectorIiiEEZZNS1_16scan_by_key_implILNS1_25lookback_scan_determinismE0ELb1ES3_N6thrust23THRUST_200600_302600_NS6detail15normal_iteratorINS9_10device_ptrIiEEEESE_SE_iNS9_4plusIvEENS9_8equal_toIvEEiEE10hipError_tPvRmT2_T3_T4_T5_mT6_T7_P12ihipStream_tbENKUlT_T0_E_clISt17integral_constantIbLb0EESY_IbLb1EEEEDaSU_SV_EUlSU_E_NS1_11comp_targetILNS1_3genE10ELNS1_11target_archE1200ELNS1_3gpuE4ELNS1_3repE0EEENS1_30default_config_static_selectorELNS0_4arch9wavefront6targetE1EEEvT1_
		.amdhsa_group_segment_fixed_size 0
		.amdhsa_private_segment_fixed_size 0
		.amdhsa_kernarg_size 112
		.amdhsa_user_sgpr_count 6
		.amdhsa_user_sgpr_private_segment_buffer 1
		.amdhsa_user_sgpr_dispatch_ptr 0
		.amdhsa_user_sgpr_queue_ptr 0
		.amdhsa_user_sgpr_kernarg_segment_ptr 1
		.amdhsa_user_sgpr_dispatch_id 0
		.amdhsa_user_sgpr_flat_scratch_init 0
		.amdhsa_user_sgpr_kernarg_preload_length 0
		.amdhsa_user_sgpr_kernarg_preload_offset 0
		.amdhsa_user_sgpr_private_segment_size 0
		.amdhsa_uses_dynamic_stack 0
		.amdhsa_system_sgpr_private_segment_wavefront_offset 0
		.amdhsa_system_sgpr_workgroup_id_x 1
		.amdhsa_system_sgpr_workgroup_id_y 0
		.amdhsa_system_sgpr_workgroup_id_z 0
		.amdhsa_system_sgpr_workgroup_info 0
		.amdhsa_system_vgpr_workitem_id 0
		.amdhsa_next_free_vgpr 1
		.amdhsa_next_free_sgpr 0
		.amdhsa_accum_offset 4
		.amdhsa_reserve_vcc 0
		.amdhsa_reserve_flat_scratch 0
		.amdhsa_float_round_mode_32 0
		.amdhsa_float_round_mode_16_64 0
		.amdhsa_float_denorm_mode_32 3
		.amdhsa_float_denorm_mode_16_64 3
		.amdhsa_dx10_clamp 1
		.amdhsa_ieee_mode 1
		.amdhsa_fp16_overflow 0
		.amdhsa_tg_split 0
		.amdhsa_exception_fp_ieee_invalid_op 0
		.amdhsa_exception_fp_denorm_src 0
		.amdhsa_exception_fp_ieee_div_zero 0
		.amdhsa_exception_fp_ieee_overflow 0
		.amdhsa_exception_fp_ieee_underflow 0
		.amdhsa_exception_fp_ieee_inexact 0
		.amdhsa_exception_int_div_zero 0
	.end_amdhsa_kernel
	.section	.text._ZN7rocprim17ROCPRIM_400000_NS6detail17trampoline_kernelINS0_14default_configENS1_27scan_by_key_config_selectorIiiEEZZNS1_16scan_by_key_implILNS1_25lookback_scan_determinismE0ELb1ES3_N6thrust23THRUST_200600_302600_NS6detail15normal_iteratorINS9_10device_ptrIiEEEESE_SE_iNS9_4plusIvEENS9_8equal_toIvEEiEE10hipError_tPvRmT2_T3_T4_T5_mT6_T7_P12ihipStream_tbENKUlT_T0_E_clISt17integral_constantIbLb0EESY_IbLb1EEEEDaSU_SV_EUlSU_E_NS1_11comp_targetILNS1_3genE10ELNS1_11target_archE1200ELNS1_3gpuE4ELNS1_3repE0EEENS1_30default_config_static_selectorELNS0_4arch9wavefront6targetE1EEEvT1_,"axG",@progbits,_ZN7rocprim17ROCPRIM_400000_NS6detail17trampoline_kernelINS0_14default_configENS1_27scan_by_key_config_selectorIiiEEZZNS1_16scan_by_key_implILNS1_25lookback_scan_determinismE0ELb1ES3_N6thrust23THRUST_200600_302600_NS6detail15normal_iteratorINS9_10device_ptrIiEEEESE_SE_iNS9_4plusIvEENS9_8equal_toIvEEiEE10hipError_tPvRmT2_T3_T4_T5_mT6_T7_P12ihipStream_tbENKUlT_T0_E_clISt17integral_constantIbLb0EESY_IbLb1EEEEDaSU_SV_EUlSU_E_NS1_11comp_targetILNS1_3genE10ELNS1_11target_archE1200ELNS1_3gpuE4ELNS1_3repE0EEENS1_30default_config_static_selectorELNS0_4arch9wavefront6targetE1EEEvT1_,comdat
.Lfunc_end114:
	.size	_ZN7rocprim17ROCPRIM_400000_NS6detail17trampoline_kernelINS0_14default_configENS1_27scan_by_key_config_selectorIiiEEZZNS1_16scan_by_key_implILNS1_25lookback_scan_determinismE0ELb1ES3_N6thrust23THRUST_200600_302600_NS6detail15normal_iteratorINS9_10device_ptrIiEEEESE_SE_iNS9_4plusIvEENS9_8equal_toIvEEiEE10hipError_tPvRmT2_T3_T4_T5_mT6_T7_P12ihipStream_tbENKUlT_T0_E_clISt17integral_constantIbLb0EESY_IbLb1EEEEDaSU_SV_EUlSU_E_NS1_11comp_targetILNS1_3genE10ELNS1_11target_archE1200ELNS1_3gpuE4ELNS1_3repE0EEENS1_30default_config_static_selectorELNS0_4arch9wavefront6targetE1EEEvT1_, .Lfunc_end114-_ZN7rocprim17ROCPRIM_400000_NS6detail17trampoline_kernelINS0_14default_configENS1_27scan_by_key_config_selectorIiiEEZZNS1_16scan_by_key_implILNS1_25lookback_scan_determinismE0ELb1ES3_N6thrust23THRUST_200600_302600_NS6detail15normal_iteratorINS9_10device_ptrIiEEEESE_SE_iNS9_4plusIvEENS9_8equal_toIvEEiEE10hipError_tPvRmT2_T3_T4_T5_mT6_T7_P12ihipStream_tbENKUlT_T0_E_clISt17integral_constantIbLb0EESY_IbLb1EEEEDaSU_SV_EUlSU_E_NS1_11comp_targetILNS1_3genE10ELNS1_11target_archE1200ELNS1_3gpuE4ELNS1_3repE0EEENS1_30default_config_static_selectorELNS0_4arch9wavefront6targetE1EEEvT1_
                                        ; -- End function
	.section	.AMDGPU.csdata,"",@progbits
; Kernel info:
; codeLenInByte = 0
; NumSgprs: 4
; NumVgprs: 0
; NumAgprs: 0
; TotalNumVgprs: 0
; ScratchSize: 0
; MemoryBound: 0
; FloatMode: 240
; IeeeMode: 1
; LDSByteSize: 0 bytes/workgroup (compile time only)
; SGPRBlocks: 0
; VGPRBlocks: 0
; NumSGPRsForWavesPerEU: 4
; NumVGPRsForWavesPerEU: 1
; AccumOffset: 4
; Occupancy: 8
; WaveLimiterHint : 0
; COMPUTE_PGM_RSRC2:SCRATCH_EN: 0
; COMPUTE_PGM_RSRC2:USER_SGPR: 6
; COMPUTE_PGM_RSRC2:TRAP_HANDLER: 0
; COMPUTE_PGM_RSRC2:TGID_X_EN: 1
; COMPUTE_PGM_RSRC2:TGID_Y_EN: 0
; COMPUTE_PGM_RSRC2:TGID_Z_EN: 0
; COMPUTE_PGM_RSRC2:TIDIG_COMP_CNT: 0
; COMPUTE_PGM_RSRC3_GFX90A:ACCUM_OFFSET: 0
; COMPUTE_PGM_RSRC3_GFX90A:TG_SPLIT: 0
	.section	.text._ZN7rocprim17ROCPRIM_400000_NS6detail17trampoline_kernelINS0_14default_configENS1_27scan_by_key_config_selectorIiiEEZZNS1_16scan_by_key_implILNS1_25lookback_scan_determinismE0ELb1ES3_N6thrust23THRUST_200600_302600_NS6detail15normal_iteratorINS9_10device_ptrIiEEEESE_SE_iNS9_4plusIvEENS9_8equal_toIvEEiEE10hipError_tPvRmT2_T3_T4_T5_mT6_T7_P12ihipStream_tbENKUlT_T0_E_clISt17integral_constantIbLb0EESY_IbLb1EEEEDaSU_SV_EUlSU_E_NS1_11comp_targetILNS1_3genE9ELNS1_11target_archE1100ELNS1_3gpuE3ELNS1_3repE0EEENS1_30default_config_static_selectorELNS0_4arch9wavefront6targetE1EEEvT1_,"axG",@progbits,_ZN7rocprim17ROCPRIM_400000_NS6detail17trampoline_kernelINS0_14default_configENS1_27scan_by_key_config_selectorIiiEEZZNS1_16scan_by_key_implILNS1_25lookback_scan_determinismE0ELb1ES3_N6thrust23THRUST_200600_302600_NS6detail15normal_iteratorINS9_10device_ptrIiEEEESE_SE_iNS9_4plusIvEENS9_8equal_toIvEEiEE10hipError_tPvRmT2_T3_T4_T5_mT6_T7_P12ihipStream_tbENKUlT_T0_E_clISt17integral_constantIbLb0EESY_IbLb1EEEEDaSU_SV_EUlSU_E_NS1_11comp_targetILNS1_3genE9ELNS1_11target_archE1100ELNS1_3gpuE3ELNS1_3repE0EEENS1_30default_config_static_selectorELNS0_4arch9wavefront6targetE1EEEvT1_,comdat
	.protected	_ZN7rocprim17ROCPRIM_400000_NS6detail17trampoline_kernelINS0_14default_configENS1_27scan_by_key_config_selectorIiiEEZZNS1_16scan_by_key_implILNS1_25lookback_scan_determinismE0ELb1ES3_N6thrust23THRUST_200600_302600_NS6detail15normal_iteratorINS9_10device_ptrIiEEEESE_SE_iNS9_4plusIvEENS9_8equal_toIvEEiEE10hipError_tPvRmT2_T3_T4_T5_mT6_T7_P12ihipStream_tbENKUlT_T0_E_clISt17integral_constantIbLb0EESY_IbLb1EEEEDaSU_SV_EUlSU_E_NS1_11comp_targetILNS1_3genE9ELNS1_11target_archE1100ELNS1_3gpuE3ELNS1_3repE0EEENS1_30default_config_static_selectorELNS0_4arch9wavefront6targetE1EEEvT1_ ; -- Begin function _ZN7rocprim17ROCPRIM_400000_NS6detail17trampoline_kernelINS0_14default_configENS1_27scan_by_key_config_selectorIiiEEZZNS1_16scan_by_key_implILNS1_25lookback_scan_determinismE0ELb1ES3_N6thrust23THRUST_200600_302600_NS6detail15normal_iteratorINS9_10device_ptrIiEEEESE_SE_iNS9_4plusIvEENS9_8equal_toIvEEiEE10hipError_tPvRmT2_T3_T4_T5_mT6_T7_P12ihipStream_tbENKUlT_T0_E_clISt17integral_constantIbLb0EESY_IbLb1EEEEDaSU_SV_EUlSU_E_NS1_11comp_targetILNS1_3genE9ELNS1_11target_archE1100ELNS1_3gpuE3ELNS1_3repE0EEENS1_30default_config_static_selectorELNS0_4arch9wavefront6targetE1EEEvT1_
	.globl	_ZN7rocprim17ROCPRIM_400000_NS6detail17trampoline_kernelINS0_14default_configENS1_27scan_by_key_config_selectorIiiEEZZNS1_16scan_by_key_implILNS1_25lookback_scan_determinismE0ELb1ES3_N6thrust23THRUST_200600_302600_NS6detail15normal_iteratorINS9_10device_ptrIiEEEESE_SE_iNS9_4plusIvEENS9_8equal_toIvEEiEE10hipError_tPvRmT2_T3_T4_T5_mT6_T7_P12ihipStream_tbENKUlT_T0_E_clISt17integral_constantIbLb0EESY_IbLb1EEEEDaSU_SV_EUlSU_E_NS1_11comp_targetILNS1_3genE9ELNS1_11target_archE1100ELNS1_3gpuE3ELNS1_3repE0EEENS1_30default_config_static_selectorELNS0_4arch9wavefront6targetE1EEEvT1_
	.p2align	8
	.type	_ZN7rocprim17ROCPRIM_400000_NS6detail17trampoline_kernelINS0_14default_configENS1_27scan_by_key_config_selectorIiiEEZZNS1_16scan_by_key_implILNS1_25lookback_scan_determinismE0ELb1ES3_N6thrust23THRUST_200600_302600_NS6detail15normal_iteratorINS9_10device_ptrIiEEEESE_SE_iNS9_4plusIvEENS9_8equal_toIvEEiEE10hipError_tPvRmT2_T3_T4_T5_mT6_T7_P12ihipStream_tbENKUlT_T0_E_clISt17integral_constantIbLb0EESY_IbLb1EEEEDaSU_SV_EUlSU_E_NS1_11comp_targetILNS1_3genE9ELNS1_11target_archE1100ELNS1_3gpuE3ELNS1_3repE0EEENS1_30default_config_static_selectorELNS0_4arch9wavefront6targetE1EEEvT1_,@function
_ZN7rocprim17ROCPRIM_400000_NS6detail17trampoline_kernelINS0_14default_configENS1_27scan_by_key_config_selectorIiiEEZZNS1_16scan_by_key_implILNS1_25lookback_scan_determinismE0ELb1ES3_N6thrust23THRUST_200600_302600_NS6detail15normal_iteratorINS9_10device_ptrIiEEEESE_SE_iNS9_4plusIvEENS9_8equal_toIvEEiEE10hipError_tPvRmT2_T3_T4_T5_mT6_T7_P12ihipStream_tbENKUlT_T0_E_clISt17integral_constantIbLb0EESY_IbLb1EEEEDaSU_SV_EUlSU_E_NS1_11comp_targetILNS1_3genE9ELNS1_11target_archE1100ELNS1_3gpuE3ELNS1_3repE0EEENS1_30default_config_static_selectorELNS0_4arch9wavefront6targetE1EEEvT1_: ; @_ZN7rocprim17ROCPRIM_400000_NS6detail17trampoline_kernelINS0_14default_configENS1_27scan_by_key_config_selectorIiiEEZZNS1_16scan_by_key_implILNS1_25lookback_scan_determinismE0ELb1ES3_N6thrust23THRUST_200600_302600_NS6detail15normal_iteratorINS9_10device_ptrIiEEEESE_SE_iNS9_4plusIvEENS9_8equal_toIvEEiEE10hipError_tPvRmT2_T3_T4_T5_mT6_T7_P12ihipStream_tbENKUlT_T0_E_clISt17integral_constantIbLb0EESY_IbLb1EEEEDaSU_SV_EUlSU_E_NS1_11comp_targetILNS1_3genE9ELNS1_11target_archE1100ELNS1_3gpuE3ELNS1_3repE0EEENS1_30default_config_static_selectorELNS0_4arch9wavefront6targetE1EEEvT1_
; %bb.0:
	.section	.rodata,"a",@progbits
	.p2align	6, 0x0
	.amdhsa_kernel _ZN7rocprim17ROCPRIM_400000_NS6detail17trampoline_kernelINS0_14default_configENS1_27scan_by_key_config_selectorIiiEEZZNS1_16scan_by_key_implILNS1_25lookback_scan_determinismE0ELb1ES3_N6thrust23THRUST_200600_302600_NS6detail15normal_iteratorINS9_10device_ptrIiEEEESE_SE_iNS9_4plusIvEENS9_8equal_toIvEEiEE10hipError_tPvRmT2_T3_T4_T5_mT6_T7_P12ihipStream_tbENKUlT_T0_E_clISt17integral_constantIbLb0EESY_IbLb1EEEEDaSU_SV_EUlSU_E_NS1_11comp_targetILNS1_3genE9ELNS1_11target_archE1100ELNS1_3gpuE3ELNS1_3repE0EEENS1_30default_config_static_selectorELNS0_4arch9wavefront6targetE1EEEvT1_
		.amdhsa_group_segment_fixed_size 0
		.amdhsa_private_segment_fixed_size 0
		.amdhsa_kernarg_size 112
		.amdhsa_user_sgpr_count 6
		.amdhsa_user_sgpr_private_segment_buffer 1
		.amdhsa_user_sgpr_dispatch_ptr 0
		.amdhsa_user_sgpr_queue_ptr 0
		.amdhsa_user_sgpr_kernarg_segment_ptr 1
		.amdhsa_user_sgpr_dispatch_id 0
		.amdhsa_user_sgpr_flat_scratch_init 0
		.amdhsa_user_sgpr_kernarg_preload_length 0
		.amdhsa_user_sgpr_kernarg_preload_offset 0
		.amdhsa_user_sgpr_private_segment_size 0
		.amdhsa_uses_dynamic_stack 0
		.amdhsa_system_sgpr_private_segment_wavefront_offset 0
		.amdhsa_system_sgpr_workgroup_id_x 1
		.amdhsa_system_sgpr_workgroup_id_y 0
		.amdhsa_system_sgpr_workgroup_id_z 0
		.amdhsa_system_sgpr_workgroup_info 0
		.amdhsa_system_vgpr_workitem_id 0
		.amdhsa_next_free_vgpr 1
		.amdhsa_next_free_sgpr 0
		.amdhsa_accum_offset 4
		.amdhsa_reserve_vcc 0
		.amdhsa_reserve_flat_scratch 0
		.amdhsa_float_round_mode_32 0
		.amdhsa_float_round_mode_16_64 0
		.amdhsa_float_denorm_mode_32 3
		.amdhsa_float_denorm_mode_16_64 3
		.amdhsa_dx10_clamp 1
		.amdhsa_ieee_mode 1
		.amdhsa_fp16_overflow 0
		.amdhsa_tg_split 0
		.amdhsa_exception_fp_ieee_invalid_op 0
		.amdhsa_exception_fp_denorm_src 0
		.amdhsa_exception_fp_ieee_div_zero 0
		.amdhsa_exception_fp_ieee_overflow 0
		.amdhsa_exception_fp_ieee_underflow 0
		.amdhsa_exception_fp_ieee_inexact 0
		.amdhsa_exception_int_div_zero 0
	.end_amdhsa_kernel
	.section	.text._ZN7rocprim17ROCPRIM_400000_NS6detail17trampoline_kernelINS0_14default_configENS1_27scan_by_key_config_selectorIiiEEZZNS1_16scan_by_key_implILNS1_25lookback_scan_determinismE0ELb1ES3_N6thrust23THRUST_200600_302600_NS6detail15normal_iteratorINS9_10device_ptrIiEEEESE_SE_iNS9_4plusIvEENS9_8equal_toIvEEiEE10hipError_tPvRmT2_T3_T4_T5_mT6_T7_P12ihipStream_tbENKUlT_T0_E_clISt17integral_constantIbLb0EESY_IbLb1EEEEDaSU_SV_EUlSU_E_NS1_11comp_targetILNS1_3genE9ELNS1_11target_archE1100ELNS1_3gpuE3ELNS1_3repE0EEENS1_30default_config_static_selectorELNS0_4arch9wavefront6targetE1EEEvT1_,"axG",@progbits,_ZN7rocprim17ROCPRIM_400000_NS6detail17trampoline_kernelINS0_14default_configENS1_27scan_by_key_config_selectorIiiEEZZNS1_16scan_by_key_implILNS1_25lookback_scan_determinismE0ELb1ES3_N6thrust23THRUST_200600_302600_NS6detail15normal_iteratorINS9_10device_ptrIiEEEESE_SE_iNS9_4plusIvEENS9_8equal_toIvEEiEE10hipError_tPvRmT2_T3_T4_T5_mT6_T7_P12ihipStream_tbENKUlT_T0_E_clISt17integral_constantIbLb0EESY_IbLb1EEEEDaSU_SV_EUlSU_E_NS1_11comp_targetILNS1_3genE9ELNS1_11target_archE1100ELNS1_3gpuE3ELNS1_3repE0EEENS1_30default_config_static_selectorELNS0_4arch9wavefront6targetE1EEEvT1_,comdat
.Lfunc_end115:
	.size	_ZN7rocprim17ROCPRIM_400000_NS6detail17trampoline_kernelINS0_14default_configENS1_27scan_by_key_config_selectorIiiEEZZNS1_16scan_by_key_implILNS1_25lookback_scan_determinismE0ELb1ES3_N6thrust23THRUST_200600_302600_NS6detail15normal_iteratorINS9_10device_ptrIiEEEESE_SE_iNS9_4plusIvEENS9_8equal_toIvEEiEE10hipError_tPvRmT2_T3_T4_T5_mT6_T7_P12ihipStream_tbENKUlT_T0_E_clISt17integral_constantIbLb0EESY_IbLb1EEEEDaSU_SV_EUlSU_E_NS1_11comp_targetILNS1_3genE9ELNS1_11target_archE1100ELNS1_3gpuE3ELNS1_3repE0EEENS1_30default_config_static_selectorELNS0_4arch9wavefront6targetE1EEEvT1_, .Lfunc_end115-_ZN7rocprim17ROCPRIM_400000_NS6detail17trampoline_kernelINS0_14default_configENS1_27scan_by_key_config_selectorIiiEEZZNS1_16scan_by_key_implILNS1_25lookback_scan_determinismE0ELb1ES3_N6thrust23THRUST_200600_302600_NS6detail15normal_iteratorINS9_10device_ptrIiEEEESE_SE_iNS9_4plusIvEENS9_8equal_toIvEEiEE10hipError_tPvRmT2_T3_T4_T5_mT6_T7_P12ihipStream_tbENKUlT_T0_E_clISt17integral_constantIbLb0EESY_IbLb1EEEEDaSU_SV_EUlSU_E_NS1_11comp_targetILNS1_3genE9ELNS1_11target_archE1100ELNS1_3gpuE3ELNS1_3repE0EEENS1_30default_config_static_selectorELNS0_4arch9wavefront6targetE1EEEvT1_
                                        ; -- End function
	.section	.AMDGPU.csdata,"",@progbits
; Kernel info:
; codeLenInByte = 0
; NumSgprs: 4
; NumVgprs: 0
; NumAgprs: 0
; TotalNumVgprs: 0
; ScratchSize: 0
; MemoryBound: 0
; FloatMode: 240
; IeeeMode: 1
; LDSByteSize: 0 bytes/workgroup (compile time only)
; SGPRBlocks: 0
; VGPRBlocks: 0
; NumSGPRsForWavesPerEU: 4
; NumVGPRsForWavesPerEU: 1
; AccumOffset: 4
; Occupancy: 8
; WaveLimiterHint : 0
; COMPUTE_PGM_RSRC2:SCRATCH_EN: 0
; COMPUTE_PGM_RSRC2:USER_SGPR: 6
; COMPUTE_PGM_RSRC2:TRAP_HANDLER: 0
; COMPUTE_PGM_RSRC2:TGID_X_EN: 1
; COMPUTE_PGM_RSRC2:TGID_Y_EN: 0
; COMPUTE_PGM_RSRC2:TGID_Z_EN: 0
; COMPUTE_PGM_RSRC2:TIDIG_COMP_CNT: 0
; COMPUTE_PGM_RSRC3_GFX90A:ACCUM_OFFSET: 0
; COMPUTE_PGM_RSRC3_GFX90A:TG_SPLIT: 0
	.section	.text._ZN7rocprim17ROCPRIM_400000_NS6detail17trampoline_kernelINS0_14default_configENS1_27scan_by_key_config_selectorIiiEEZZNS1_16scan_by_key_implILNS1_25lookback_scan_determinismE0ELb1ES3_N6thrust23THRUST_200600_302600_NS6detail15normal_iteratorINS9_10device_ptrIiEEEESE_SE_iNS9_4plusIvEENS9_8equal_toIvEEiEE10hipError_tPvRmT2_T3_T4_T5_mT6_T7_P12ihipStream_tbENKUlT_T0_E_clISt17integral_constantIbLb0EESY_IbLb1EEEEDaSU_SV_EUlSU_E_NS1_11comp_targetILNS1_3genE8ELNS1_11target_archE1030ELNS1_3gpuE2ELNS1_3repE0EEENS1_30default_config_static_selectorELNS0_4arch9wavefront6targetE1EEEvT1_,"axG",@progbits,_ZN7rocprim17ROCPRIM_400000_NS6detail17trampoline_kernelINS0_14default_configENS1_27scan_by_key_config_selectorIiiEEZZNS1_16scan_by_key_implILNS1_25lookback_scan_determinismE0ELb1ES3_N6thrust23THRUST_200600_302600_NS6detail15normal_iteratorINS9_10device_ptrIiEEEESE_SE_iNS9_4plusIvEENS9_8equal_toIvEEiEE10hipError_tPvRmT2_T3_T4_T5_mT6_T7_P12ihipStream_tbENKUlT_T0_E_clISt17integral_constantIbLb0EESY_IbLb1EEEEDaSU_SV_EUlSU_E_NS1_11comp_targetILNS1_3genE8ELNS1_11target_archE1030ELNS1_3gpuE2ELNS1_3repE0EEENS1_30default_config_static_selectorELNS0_4arch9wavefront6targetE1EEEvT1_,comdat
	.protected	_ZN7rocprim17ROCPRIM_400000_NS6detail17trampoline_kernelINS0_14default_configENS1_27scan_by_key_config_selectorIiiEEZZNS1_16scan_by_key_implILNS1_25lookback_scan_determinismE0ELb1ES3_N6thrust23THRUST_200600_302600_NS6detail15normal_iteratorINS9_10device_ptrIiEEEESE_SE_iNS9_4plusIvEENS9_8equal_toIvEEiEE10hipError_tPvRmT2_T3_T4_T5_mT6_T7_P12ihipStream_tbENKUlT_T0_E_clISt17integral_constantIbLb0EESY_IbLb1EEEEDaSU_SV_EUlSU_E_NS1_11comp_targetILNS1_3genE8ELNS1_11target_archE1030ELNS1_3gpuE2ELNS1_3repE0EEENS1_30default_config_static_selectorELNS0_4arch9wavefront6targetE1EEEvT1_ ; -- Begin function _ZN7rocprim17ROCPRIM_400000_NS6detail17trampoline_kernelINS0_14default_configENS1_27scan_by_key_config_selectorIiiEEZZNS1_16scan_by_key_implILNS1_25lookback_scan_determinismE0ELb1ES3_N6thrust23THRUST_200600_302600_NS6detail15normal_iteratorINS9_10device_ptrIiEEEESE_SE_iNS9_4plusIvEENS9_8equal_toIvEEiEE10hipError_tPvRmT2_T3_T4_T5_mT6_T7_P12ihipStream_tbENKUlT_T0_E_clISt17integral_constantIbLb0EESY_IbLb1EEEEDaSU_SV_EUlSU_E_NS1_11comp_targetILNS1_3genE8ELNS1_11target_archE1030ELNS1_3gpuE2ELNS1_3repE0EEENS1_30default_config_static_selectorELNS0_4arch9wavefront6targetE1EEEvT1_
	.globl	_ZN7rocprim17ROCPRIM_400000_NS6detail17trampoline_kernelINS0_14default_configENS1_27scan_by_key_config_selectorIiiEEZZNS1_16scan_by_key_implILNS1_25lookback_scan_determinismE0ELb1ES3_N6thrust23THRUST_200600_302600_NS6detail15normal_iteratorINS9_10device_ptrIiEEEESE_SE_iNS9_4plusIvEENS9_8equal_toIvEEiEE10hipError_tPvRmT2_T3_T4_T5_mT6_T7_P12ihipStream_tbENKUlT_T0_E_clISt17integral_constantIbLb0EESY_IbLb1EEEEDaSU_SV_EUlSU_E_NS1_11comp_targetILNS1_3genE8ELNS1_11target_archE1030ELNS1_3gpuE2ELNS1_3repE0EEENS1_30default_config_static_selectorELNS0_4arch9wavefront6targetE1EEEvT1_
	.p2align	8
	.type	_ZN7rocprim17ROCPRIM_400000_NS6detail17trampoline_kernelINS0_14default_configENS1_27scan_by_key_config_selectorIiiEEZZNS1_16scan_by_key_implILNS1_25lookback_scan_determinismE0ELb1ES3_N6thrust23THRUST_200600_302600_NS6detail15normal_iteratorINS9_10device_ptrIiEEEESE_SE_iNS9_4plusIvEENS9_8equal_toIvEEiEE10hipError_tPvRmT2_T3_T4_T5_mT6_T7_P12ihipStream_tbENKUlT_T0_E_clISt17integral_constantIbLb0EESY_IbLb1EEEEDaSU_SV_EUlSU_E_NS1_11comp_targetILNS1_3genE8ELNS1_11target_archE1030ELNS1_3gpuE2ELNS1_3repE0EEENS1_30default_config_static_selectorELNS0_4arch9wavefront6targetE1EEEvT1_,@function
_ZN7rocprim17ROCPRIM_400000_NS6detail17trampoline_kernelINS0_14default_configENS1_27scan_by_key_config_selectorIiiEEZZNS1_16scan_by_key_implILNS1_25lookback_scan_determinismE0ELb1ES3_N6thrust23THRUST_200600_302600_NS6detail15normal_iteratorINS9_10device_ptrIiEEEESE_SE_iNS9_4plusIvEENS9_8equal_toIvEEiEE10hipError_tPvRmT2_T3_T4_T5_mT6_T7_P12ihipStream_tbENKUlT_T0_E_clISt17integral_constantIbLb0EESY_IbLb1EEEEDaSU_SV_EUlSU_E_NS1_11comp_targetILNS1_3genE8ELNS1_11target_archE1030ELNS1_3gpuE2ELNS1_3repE0EEENS1_30default_config_static_selectorELNS0_4arch9wavefront6targetE1EEEvT1_: ; @_ZN7rocprim17ROCPRIM_400000_NS6detail17trampoline_kernelINS0_14default_configENS1_27scan_by_key_config_selectorIiiEEZZNS1_16scan_by_key_implILNS1_25lookback_scan_determinismE0ELb1ES3_N6thrust23THRUST_200600_302600_NS6detail15normal_iteratorINS9_10device_ptrIiEEEESE_SE_iNS9_4plusIvEENS9_8equal_toIvEEiEE10hipError_tPvRmT2_T3_T4_T5_mT6_T7_P12ihipStream_tbENKUlT_T0_E_clISt17integral_constantIbLb0EESY_IbLb1EEEEDaSU_SV_EUlSU_E_NS1_11comp_targetILNS1_3genE8ELNS1_11target_archE1030ELNS1_3gpuE2ELNS1_3repE0EEENS1_30default_config_static_selectorELNS0_4arch9wavefront6targetE1EEEvT1_
; %bb.0:
	.section	.rodata,"a",@progbits
	.p2align	6, 0x0
	.amdhsa_kernel _ZN7rocprim17ROCPRIM_400000_NS6detail17trampoline_kernelINS0_14default_configENS1_27scan_by_key_config_selectorIiiEEZZNS1_16scan_by_key_implILNS1_25lookback_scan_determinismE0ELb1ES3_N6thrust23THRUST_200600_302600_NS6detail15normal_iteratorINS9_10device_ptrIiEEEESE_SE_iNS9_4plusIvEENS9_8equal_toIvEEiEE10hipError_tPvRmT2_T3_T4_T5_mT6_T7_P12ihipStream_tbENKUlT_T0_E_clISt17integral_constantIbLb0EESY_IbLb1EEEEDaSU_SV_EUlSU_E_NS1_11comp_targetILNS1_3genE8ELNS1_11target_archE1030ELNS1_3gpuE2ELNS1_3repE0EEENS1_30default_config_static_selectorELNS0_4arch9wavefront6targetE1EEEvT1_
		.amdhsa_group_segment_fixed_size 0
		.amdhsa_private_segment_fixed_size 0
		.amdhsa_kernarg_size 112
		.amdhsa_user_sgpr_count 6
		.amdhsa_user_sgpr_private_segment_buffer 1
		.amdhsa_user_sgpr_dispatch_ptr 0
		.amdhsa_user_sgpr_queue_ptr 0
		.amdhsa_user_sgpr_kernarg_segment_ptr 1
		.amdhsa_user_sgpr_dispatch_id 0
		.amdhsa_user_sgpr_flat_scratch_init 0
		.amdhsa_user_sgpr_kernarg_preload_length 0
		.amdhsa_user_sgpr_kernarg_preload_offset 0
		.amdhsa_user_sgpr_private_segment_size 0
		.amdhsa_uses_dynamic_stack 0
		.amdhsa_system_sgpr_private_segment_wavefront_offset 0
		.amdhsa_system_sgpr_workgroup_id_x 1
		.amdhsa_system_sgpr_workgroup_id_y 0
		.amdhsa_system_sgpr_workgroup_id_z 0
		.amdhsa_system_sgpr_workgroup_info 0
		.amdhsa_system_vgpr_workitem_id 0
		.amdhsa_next_free_vgpr 1
		.amdhsa_next_free_sgpr 0
		.amdhsa_accum_offset 4
		.amdhsa_reserve_vcc 0
		.amdhsa_reserve_flat_scratch 0
		.amdhsa_float_round_mode_32 0
		.amdhsa_float_round_mode_16_64 0
		.amdhsa_float_denorm_mode_32 3
		.amdhsa_float_denorm_mode_16_64 3
		.amdhsa_dx10_clamp 1
		.amdhsa_ieee_mode 1
		.amdhsa_fp16_overflow 0
		.amdhsa_tg_split 0
		.amdhsa_exception_fp_ieee_invalid_op 0
		.amdhsa_exception_fp_denorm_src 0
		.amdhsa_exception_fp_ieee_div_zero 0
		.amdhsa_exception_fp_ieee_overflow 0
		.amdhsa_exception_fp_ieee_underflow 0
		.amdhsa_exception_fp_ieee_inexact 0
		.amdhsa_exception_int_div_zero 0
	.end_amdhsa_kernel
	.section	.text._ZN7rocprim17ROCPRIM_400000_NS6detail17trampoline_kernelINS0_14default_configENS1_27scan_by_key_config_selectorIiiEEZZNS1_16scan_by_key_implILNS1_25lookback_scan_determinismE0ELb1ES3_N6thrust23THRUST_200600_302600_NS6detail15normal_iteratorINS9_10device_ptrIiEEEESE_SE_iNS9_4plusIvEENS9_8equal_toIvEEiEE10hipError_tPvRmT2_T3_T4_T5_mT6_T7_P12ihipStream_tbENKUlT_T0_E_clISt17integral_constantIbLb0EESY_IbLb1EEEEDaSU_SV_EUlSU_E_NS1_11comp_targetILNS1_3genE8ELNS1_11target_archE1030ELNS1_3gpuE2ELNS1_3repE0EEENS1_30default_config_static_selectorELNS0_4arch9wavefront6targetE1EEEvT1_,"axG",@progbits,_ZN7rocprim17ROCPRIM_400000_NS6detail17trampoline_kernelINS0_14default_configENS1_27scan_by_key_config_selectorIiiEEZZNS1_16scan_by_key_implILNS1_25lookback_scan_determinismE0ELb1ES3_N6thrust23THRUST_200600_302600_NS6detail15normal_iteratorINS9_10device_ptrIiEEEESE_SE_iNS9_4plusIvEENS9_8equal_toIvEEiEE10hipError_tPvRmT2_T3_T4_T5_mT6_T7_P12ihipStream_tbENKUlT_T0_E_clISt17integral_constantIbLb0EESY_IbLb1EEEEDaSU_SV_EUlSU_E_NS1_11comp_targetILNS1_3genE8ELNS1_11target_archE1030ELNS1_3gpuE2ELNS1_3repE0EEENS1_30default_config_static_selectorELNS0_4arch9wavefront6targetE1EEEvT1_,comdat
.Lfunc_end116:
	.size	_ZN7rocprim17ROCPRIM_400000_NS6detail17trampoline_kernelINS0_14default_configENS1_27scan_by_key_config_selectorIiiEEZZNS1_16scan_by_key_implILNS1_25lookback_scan_determinismE0ELb1ES3_N6thrust23THRUST_200600_302600_NS6detail15normal_iteratorINS9_10device_ptrIiEEEESE_SE_iNS9_4plusIvEENS9_8equal_toIvEEiEE10hipError_tPvRmT2_T3_T4_T5_mT6_T7_P12ihipStream_tbENKUlT_T0_E_clISt17integral_constantIbLb0EESY_IbLb1EEEEDaSU_SV_EUlSU_E_NS1_11comp_targetILNS1_3genE8ELNS1_11target_archE1030ELNS1_3gpuE2ELNS1_3repE0EEENS1_30default_config_static_selectorELNS0_4arch9wavefront6targetE1EEEvT1_, .Lfunc_end116-_ZN7rocprim17ROCPRIM_400000_NS6detail17trampoline_kernelINS0_14default_configENS1_27scan_by_key_config_selectorIiiEEZZNS1_16scan_by_key_implILNS1_25lookback_scan_determinismE0ELb1ES3_N6thrust23THRUST_200600_302600_NS6detail15normal_iteratorINS9_10device_ptrIiEEEESE_SE_iNS9_4plusIvEENS9_8equal_toIvEEiEE10hipError_tPvRmT2_T3_T4_T5_mT6_T7_P12ihipStream_tbENKUlT_T0_E_clISt17integral_constantIbLb0EESY_IbLb1EEEEDaSU_SV_EUlSU_E_NS1_11comp_targetILNS1_3genE8ELNS1_11target_archE1030ELNS1_3gpuE2ELNS1_3repE0EEENS1_30default_config_static_selectorELNS0_4arch9wavefront6targetE1EEEvT1_
                                        ; -- End function
	.section	.AMDGPU.csdata,"",@progbits
; Kernel info:
; codeLenInByte = 0
; NumSgprs: 4
; NumVgprs: 0
; NumAgprs: 0
; TotalNumVgprs: 0
; ScratchSize: 0
; MemoryBound: 0
; FloatMode: 240
; IeeeMode: 1
; LDSByteSize: 0 bytes/workgroup (compile time only)
; SGPRBlocks: 0
; VGPRBlocks: 0
; NumSGPRsForWavesPerEU: 4
; NumVGPRsForWavesPerEU: 1
; AccumOffset: 4
; Occupancy: 8
; WaveLimiterHint : 0
; COMPUTE_PGM_RSRC2:SCRATCH_EN: 0
; COMPUTE_PGM_RSRC2:USER_SGPR: 6
; COMPUTE_PGM_RSRC2:TRAP_HANDLER: 0
; COMPUTE_PGM_RSRC2:TGID_X_EN: 1
; COMPUTE_PGM_RSRC2:TGID_Y_EN: 0
; COMPUTE_PGM_RSRC2:TGID_Z_EN: 0
; COMPUTE_PGM_RSRC2:TIDIG_COMP_CNT: 0
; COMPUTE_PGM_RSRC3_GFX90A:ACCUM_OFFSET: 0
; COMPUTE_PGM_RSRC3_GFX90A:TG_SPLIT: 0
	.section	.text._ZN7rocprim17ROCPRIM_400000_NS6detail17trampoline_kernelINS0_14default_configENS1_27scan_by_key_config_selectorIiiEEZZNS1_16scan_by_key_implILNS1_25lookback_scan_determinismE0ELb1ES3_N6thrust23THRUST_200600_302600_NS6detail15normal_iteratorINS9_10device_ptrIiEEEESE_SE_iNS9_4plusIvEE19head_flag_predicateIiEiEE10hipError_tPvRmT2_T3_T4_T5_mT6_T7_P12ihipStream_tbENKUlT_T0_E_clISt17integral_constantIbLb0EESZ_EEDaSU_SV_EUlSU_E_NS1_11comp_targetILNS1_3genE0ELNS1_11target_archE4294967295ELNS1_3gpuE0ELNS1_3repE0EEENS1_30default_config_static_selectorELNS0_4arch9wavefront6targetE1EEEvT1_,"axG",@progbits,_ZN7rocprim17ROCPRIM_400000_NS6detail17trampoline_kernelINS0_14default_configENS1_27scan_by_key_config_selectorIiiEEZZNS1_16scan_by_key_implILNS1_25lookback_scan_determinismE0ELb1ES3_N6thrust23THRUST_200600_302600_NS6detail15normal_iteratorINS9_10device_ptrIiEEEESE_SE_iNS9_4plusIvEE19head_flag_predicateIiEiEE10hipError_tPvRmT2_T3_T4_T5_mT6_T7_P12ihipStream_tbENKUlT_T0_E_clISt17integral_constantIbLb0EESZ_EEDaSU_SV_EUlSU_E_NS1_11comp_targetILNS1_3genE0ELNS1_11target_archE4294967295ELNS1_3gpuE0ELNS1_3repE0EEENS1_30default_config_static_selectorELNS0_4arch9wavefront6targetE1EEEvT1_,comdat
	.protected	_ZN7rocprim17ROCPRIM_400000_NS6detail17trampoline_kernelINS0_14default_configENS1_27scan_by_key_config_selectorIiiEEZZNS1_16scan_by_key_implILNS1_25lookback_scan_determinismE0ELb1ES3_N6thrust23THRUST_200600_302600_NS6detail15normal_iteratorINS9_10device_ptrIiEEEESE_SE_iNS9_4plusIvEE19head_flag_predicateIiEiEE10hipError_tPvRmT2_T3_T4_T5_mT6_T7_P12ihipStream_tbENKUlT_T0_E_clISt17integral_constantIbLb0EESZ_EEDaSU_SV_EUlSU_E_NS1_11comp_targetILNS1_3genE0ELNS1_11target_archE4294967295ELNS1_3gpuE0ELNS1_3repE0EEENS1_30default_config_static_selectorELNS0_4arch9wavefront6targetE1EEEvT1_ ; -- Begin function _ZN7rocprim17ROCPRIM_400000_NS6detail17trampoline_kernelINS0_14default_configENS1_27scan_by_key_config_selectorIiiEEZZNS1_16scan_by_key_implILNS1_25lookback_scan_determinismE0ELb1ES3_N6thrust23THRUST_200600_302600_NS6detail15normal_iteratorINS9_10device_ptrIiEEEESE_SE_iNS9_4plusIvEE19head_flag_predicateIiEiEE10hipError_tPvRmT2_T3_T4_T5_mT6_T7_P12ihipStream_tbENKUlT_T0_E_clISt17integral_constantIbLb0EESZ_EEDaSU_SV_EUlSU_E_NS1_11comp_targetILNS1_3genE0ELNS1_11target_archE4294967295ELNS1_3gpuE0ELNS1_3repE0EEENS1_30default_config_static_selectorELNS0_4arch9wavefront6targetE1EEEvT1_
	.globl	_ZN7rocprim17ROCPRIM_400000_NS6detail17trampoline_kernelINS0_14default_configENS1_27scan_by_key_config_selectorIiiEEZZNS1_16scan_by_key_implILNS1_25lookback_scan_determinismE0ELb1ES3_N6thrust23THRUST_200600_302600_NS6detail15normal_iteratorINS9_10device_ptrIiEEEESE_SE_iNS9_4plusIvEE19head_flag_predicateIiEiEE10hipError_tPvRmT2_T3_T4_T5_mT6_T7_P12ihipStream_tbENKUlT_T0_E_clISt17integral_constantIbLb0EESZ_EEDaSU_SV_EUlSU_E_NS1_11comp_targetILNS1_3genE0ELNS1_11target_archE4294967295ELNS1_3gpuE0ELNS1_3repE0EEENS1_30default_config_static_selectorELNS0_4arch9wavefront6targetE1EEEvT1_
	.p2align	8
	.type	_ZN7rocprim17ROCPRIM_400000_NS6detail17trampoline_kernelINS0_14default_configENS1_27scan_by_key_config_selectorIiiEEZZNS1_16scan_by_key_implILNS1_25lookback_scan_determinismE0ELb1ES3_N6thrust23THRUST_200600_302600_NS6detail15normal_iteratorINS9_10device_ptrIiEEEESE_SE_iNS9_4plusIvEE19head_flag_predicateIiEiEE10hipError_tPvRmT2_T3_T4_T5_mT6_T7_P12ihipStream_tbENKUlT_T0_E_clISt17integral_constantIbLb0EESZ_EEDaSU_SV_EUlSU_E_NS1_11comp_targetILNS1_3genE0ELNS1_11target_archE4294967295ELNS1_3gpuE0ELNS1_3repE0EEENS1_30default_config_static_selectorELNS0_4arch9wavefront6targetE1EEEvT1_,@function
_ZN7rocprim17ROCPRIM_400000_NS6detail17trampoline_kernelINS0_14default_configENS1_27scan_by_key_config_selectorIiiEEZZNS1_16scan_by_key_implILNS1_25lookback_scan_determinismE0ELb1ES3_N6thrust23THRUST_200600_302600_NS6detail15normal_iteratorINS9_10device_ptrIiEEEESE_SE_iNS9_4plusIvEE19head_flag_predicateIiEiEE10hipError_tPvRmT2_T3_T4_T5_mT6_T7_P12ihipStream_tbENKUlT_T0_E_clISt17integral_constantIbLb0EESZ_EEDaSU_SV_EUlSU_E_NS1_11comp_targetILNS1_3genE0ELNS1_11target_archE4294967295ELNS1_3gpuE0ELNS1_3repE0EEENS1_30default_config_static_selectorELNS0_4arch9wavefront6targetE1EEEvT1_: ; @_ZN7rocprim17ROCPRIM_400000_NS6detail17trampoline_kernelINS0_14default_configENS1_27scan_by_key_config_selectorIiiEEZZNS1_16scan_by_key_implILNS1_25lookback_scan_determinismE0ELb1ES3_N6thrust23THRUST_200600_302600_NS6detail15normal_iteratorINS9_10device_ptrIiEEEESE_SE_iNS9_4plusIvEE19head_flag_predicateIiEiEE10hipError_tPvRmT2_T3_T4_T5_mT6_T7_P12ihipStream_tbENKUlT_T0_E_clISt17integral_constantIbLb0EESZ_EEDaSU_SV_EUlSU_E_NS1_11comp_targetILNS1_3genE0ELNS1_11target_archE4294967295ELNS1_3gpuE0ELNS1_3repE0EEENS1_30default_config_static_selectorELNS0_4arch9wavefront6targetE1EEEvT1_
; %bb.0:
	.section	.rodata,"a",@progbits
	.p2align	6, 0x0
	.amdhsa_kernel _ZN7rocprim17ROCPRIM_400000_NS6detail17trampoline_kernelINS0_14default_configENS1_27scan_by_key_config_selectorIiiEEZZNS1_16scan_by_key_implILNS1_25lookback_scan_determinismE0ELb1ES3_N6thrust23THRUST_200600_302600_NS6detail15normal_iteratorINS9_10device_ptrIiEEEESE_SE_iNS9_4plusIvEE19head_flag_predicateIiEiEE10hipError_tPvRmT2_T3_T4_T5_mT6_T7_P12ihipStream_tbENKUlT_T0_E_clISt17integral_constantIbLb0EESZ_EEDaSU_SV_EUlSU_E_NS1_11comp_targetILNS1_3genE0ELNS1_11target_archE4294967295ELNS1_3gpuE0ELNS1_3repE0EEENS1_30default_config_static_selectorELNS0_4arch9wavefront6targetE1EEEvT1_
		.amdhsa_group_segment_fixed_size 0
		.amdhsa_private_segment_fixed_size 0
		.amdhsa_kernarg_size 112
		.amdhsa_user_sgpr_count 6
		.amdhsa_user_sgpr_private_segment_buffer 1
		.amdhsa_user_sgpr_dispatch_ptr 0
		.amdhsa_user_sgpr_queue_ptr 0
		.amdhsa_user_sgpr_kernarg_segment_ptr 1
		.amdhsa_user_sgpr_dispatch_id 0
		.amdhsa_user_sgpr_flat_scratch_init 0
		.amdhsa_user_sgpr_kernarg_preload_length 0
		.amdhsa_user_sgpr_kernarg_preload_offset 0
		.amdhsa_user_sgpr_private_segment_size 0
		.amdhsa_uses_dynamic_stack 0
		.amdhsa_system_sgpr_private_segment_wavefront_offset 0
		.amdhsa_system_sgpr_workgroup_id_x 1
		.amdhsa_system_sgpr_workgroup_id_y 0
		.amdhsa_system_sgpr_workgroup_id_z 0
		.amdhsa_system_sgpr_workgroup_info 0
		.amdhsa_system_vgpr_workitem_id 0
		.amdhsa_next_free_vgpr 1
		.amdhsa_next_free_sgpr 0
		.amdhsa_accum_offset 4
		.amdhsa_reserve_vcc 0
		.amdhsa_reserve_flat_scratch 0
		.amdhsa_float_round_mode_32 0
		.amdhsa_float_round_mode_16_64 0
		.amdhsa_float_denorm_mode_32 3
		.amdhsa_float_denorm_mode_16_64 3
		.amdhsa_dx10_clamp 1
		.amdhsa_ieee_mode 1
		.amdhsa_fp16_overflow 0
		.amdhsa_tg_split 0
		.amdhsa_exception_fp_ieee_invalid_op 0
		.amdhsa_exception_fp_denorm_src 0
		.amdhsa_exception_fp_ieee_div_zero 0
		.amdhsa_exception_fp_ieee_overflow 0
		.amdhsa_exception_fp_ieee_underflow 0
		.amdhsa_exception_fp_ieee_inexact 0
		.amdhsa_exception_int_div_zero 0
	.end_amdhsa_kernel
	.section	.text._ZN7rocprim17ROCPRIM_400000_NS6detail17trampoline_kernelINS0_14default_configENS1_27scan_by_key_config_selectorIiiEEZZNS1_16scan_by_key_implILNS1_25lookback_scan_determinismE0ELb1ES3_N6thrust23THRUST_200600_302600_NS6detail15normal_iteratorINS9_10device_ptrIiEEEESE_SE_iNS9_4plusIvEE19head_flag_predicateIiEiEE10hipError_tPvRmT2_T3_T4_T5_mT6_T7_P12ihipStream_tbENKUlT_T0_E_clISt17integral_constantIbLb0EESZ_EEDaSU_SV_EUlSU_E_NS1_11comp_targetILNS1_3genE0ELNS1_11target_archE4294967295ELNS1_3gpuE0ELNS1_3repE0EEENS1_30default_config_static_selectorELNS0_4arch9wavefront6targetE1EEEvT1_,"axG",@progbits,_ZN7rocprim17ROCPRIM_400000_NS6detail17trampoline_kernelINS0_14default_configENS1_27scan_by_key_config_selectorIiiEEZZNS1_16scan_by_key_implILNS1_25lookback_scan_determinismE0ELb1ES3_N6thrust23THRUST_200600_302600_NS6detail15normal_iteratorINS9_10device_ptrIiEEEESE_SE_iNS9_4plusIvEE19head_flag_predicateIiEiEE10hipError_tPvRmT2_T3_T4_T5_mT6_T7_P12ihipStream_tbENKUlT_T0_E_clISt17integral_constantIbLb0EESZ_EEDaSU_SV_EUlSU_E_NS1_11comp_targetILNS1_3genE0ELNS1_11target_archE4294967295ELNS1_3gpuE0ELNS1_3repE0EEENS1_30default_config_static_selectorELNS0_4arch9wavefront6targetE1EEEvT1_,comdat
.Lfunc_end117:
	.size	_ZN7rocprim17ROCPRIM_400000_NS6detail17trampoline_kernelINS0_14default_configENS1_27scan_by_key_config_selectorIiiEEZZNS1_16scan_by_key_implILNS1_25lookback_scan_determinismE0ELb1ES3_N6thrust23THRUST_200600_302600_NS6detail15normal_iteratorINS9_10device_ptrIiEEEESE_SE_iNS9_4plusIvEE19head_flag_predicateIiEiEE10hipError_tPvRmT2_T3_T4_T5_mT6_T7_P12ihipStream_tbENKUlT_T0_E_clISt17integral_constantIbLb0EESZ_EEDaSU_SV_EUlSU_E_NS1_11comp_targetILNS1_3genE0ELNS1_11target_archE4294967295ELNS1_3gpuE0ELNS1_3repE0EEENS1_30default_config_static_selectorELNS0_4arch9wavefront6targetE1EEEvT1_, .Lfunc_end117-_ZN7rocprim17ROCPRIM_400000_NS6detail17trampoline_kernelINS0_14default_configENS1_27scan_by_key_config_selectorIiiEEZZNS1_16scan_by_key_implILNS1_25lookback_scan_determinismE0ELb1ES3_N6thrust23THRUST_200600_302600_NS6detail15normal_iteratorINS9_10device_ptrIiEEEESE_SE_iNS9_4plusIvEE19head_flag_predicateIiEiEE10hipError_tPvRmT2_T3_T4_T5_mT6_T7_P12ihipStream_tbENKUlT_T0_E_clISt17integral_constantIbLb0EESZ_EEDaSU_SV_EUlSU_E_NS1_11comp_targetILNS1_3genE0ELNS1_11target_archE4294967295ELNS1_3gpuE0ELNS1_3repE0EEENS1_30default_config_static_selectorELNS0_4arch9wavefront6targetE1EEEvT1_
                                        ; -- End function
	.section	.AMDGPU.csdata,"",@progbits
; Kernel info:
; codeLenInByte = 0
; NumSgprs: 4
; NumVgprs: 0
; NumAgprs: 0
; TotalNumVgprs: 0
; ScratchSize: 0
; MemoryBound: 0
; FloatMode: 240
; IeeeMode: 1
; LDSByteSize: 0 bytes/workgroup (compile time only)
; SGPRBlocks: 0
; VGPRBlocks: 0
; NumSGPRsForWavesPerEU: 4
; NumVGPRsForWavesPerEU: 1
; AccumOffset: 4
; Occupancy: 8
; WaveLimiterHint : 0
; COMPUTE_PGM_RSRC2:SCRATCH_EN: 0
; COMPUTE_PGM_RSRC2:USER_SGPR: 6
; COMPUTE_PGM_RSRC2:TRAP_HANDLER: 0
; COMPUTE_PGM_RSRC2:TGID_X_EN: 1
; COMPUTE_PGM_RSRC2:TGID_Y_EN: 0
; COMPUTE_PGM_RSRC2:TGID_Z_EN: 0
; COMPUTE_PGM_RSRC2:TIDIG_COMP_CNT: 0
; COMPUTE_PGM_RSRC3_GFX90A:ACCUM_OFFSET: 0
; COMPUTE_PGM_RSRC3_GFX90A:TG_SPLIT: 0
	.section	.text._ZN7rocprim17ROCPRIM_400000_NS6detail17trampoline_kernelINS0_14default_configENS1_27scan_by_key_config_selectorIiiEEZZNS1_16scan_by_key_implILNS1_25lookback_scan_determinismE0ELb1ES3_N6thrust23THRUST_200600_302600_NS6detail15normal_iteratorINS9_10device_ptrIiEEEESE_SE_iNS9_4plusIvEE19head_flag_predicateIiEiEE10hipError_tPvRmT2_T3_T4_T5_mT6_T7_P12ihipStream_tbENKUlT_T0_E_clISt17integral_constantIbLb0EESZ_EEDaSU_SV_EUlSU_E_NS1_11comp_targetILNS1_3genE10ELNS1_11target_archE1201ELNS1_3gpuE5ELNS1_3repE0EEENS1_30default_config_static_selectorELNS0_4arch9wavefront6targetE1EEEvT1_,"axG",@progbits,_ZN7rocprim17ROCPRIM_400000_NS6detail17trampoline_kernelINS0_14default_configENS1_27scan_by_key_config_selectorIiiEEZZNS1_16scan_by_key_implILNS1_25lookback_scan_determinismE0ELb1ES3_N6thrust23THRUST_200600_302600_NS6detail15normal_iteratorINS9_10device_ptrIiEEEESE_SE_iNS9_4plusIvEE19head_flag_predicateIiEiEE10hipError_tPvRmT2_T3_T4_T5_mT6_T7_P12ihipStream_tbENKUlT_T0_E_clISt17integral_constantIbLb0EESZ_EEDaSU_SV_EUlSU_E_NS1_11comp_targetILNS1_3genE10ELNS1_11target_archE1201ELNS1_3gpuE5ELNS1_3repE0EEENS1_30default_config_static_selectorELNS0_4arch9wavefront6targetE1EEEvT1_,comdat
	.protected	_ZN7rocprim17ROCPRIM_400000_NS6detail17trampoline_kernelINS0_14default_configENS1_27scan_by_key_config_selectorIiiEEZZNS1_16scan_by_key_implILNS1_25lookback_scan_determinismE0ELb1ES3_N6thrust23THRUST_200600_302600_NS6detail15normal_iteratorINS9_10device_ptrIiEEEESE_SE_iNS9_4plusIvEE19head_flag_predicateIiEiEE10hipError_tPvRmT2_T3_T4_T5_mT6_T7_P12ihipStream_tbENKUlT_T0_E_clISt17integral_constantIbLb0EESZ_EEDaSU_SV_EUlSU_E_NS1_11comp_targetILNS1_3genE10ELNS1_11target_archE1201ELNS1_3gpuE5ELNS1_3repE0EEENS1_30default_config_static_selectorELNS0_4arch9wavefront6targetE1EEEvT1_ ; -- Begin function _ZN7rocprim17ROCPRIM_400000_NS6detail17trampoline_kernelINS0_14default_configENS1_27scan_by_key_config_selectorIiiEEZZNS1_16scan_by_key_implILNS1_25lookback_scan_determinismE0ELb1ES3_N6thrust23THRUST_200600_302600_NS6detail15normal_iteratorINS9_10device_ptrIiEEEESE_SE_iNS9_4plusIvEE19head_flag_predicateIiEiEE10hipError_tPvRmT2_T3_T4_T5_mT6_T7_P12ihipStream_tbENKUlT_T0_E_clISt17integral_constantIbLb0EESZ_EEDaSU_SV_EUlSU_E_NS1_11comp_targetILNS1_3genE10ELNS1_11target_archE1201ELNS1_3gpuE5ELNS1_3repE0EEENS1_30default_config_static_selectorELNS0_4arch9wavefront6targetE1EEEvT1_
	.globl	_ZN7rocprim17ROCPRIM_400000_NS6detail17trampoline_kernelINS0_14default_configENS1_27scan_by_key_config_selectorIiiEEZZNS1_16scan_by_key_implILNS1_25lookback_scan_determinismE0ELb1ES3_N6thrust23THRUST_200600_302600_NS6detail15normal_iteratorINS9_10device_ptrIiEEEESE_SE_iNS9_4plusIvEE19head_flag_predicateIiEiEE10hipError_tPvRmT2_T3_T4_T5_mT6_T7_P12ihipStream_tbENKUlT_T0_E_clISt17integral_constantIbLb0EESZ_EEDaSU_SV_EUlSU_E_NS1_11comp_targetILNS1_3genE10ELNS1_11target_archE1201ELNS1_3gpuE5ELNS1_3repE0EEENS1_30default_config_static_selectorELNS0_4arch9wavefront6targetE1EEEvT1_
	.p2align	8
	.type	_ZN7rocprim17ROCPRIM_400000_NS6detail17trampoline_kernelINS0_14default_configENS1_27scan_by_key_config_selectorIiiEEZZNS1_16scan_by_key_implILNS1_25lookback_scan_determinismE0ELb1ES3_N6thrust23THRUST_200600_302600_NS6detail15normal_iteratorINS9_10device_ptrIiEEEESE_SE_iNS9_4plusIvEE19head_flag_predicateIiEiEE10hipError_tPvRmT2_T3_T4_T5_mT6_T7_P12ihipStream_tbENKUlT_T0_E_clISt17integral_constantIbLb0EESZ_EEDaSU_SV_EUlSU_E_NS1_11comp_targetILNS1_3genE10ELNS1_11target_archE1201ELNS1_3gpuE5ELNS1_3repE0EEENS1_30default_config_static_selectorELNS0_4arch9wavefront6targetE1EEEvT1_,@function
_ZN7rocprim17ROCPRIM_400000_NS6detail17trampoline_kernelINS0_14default_configENS1_27scan_by_key_config_selectorIiiEEZZNS1_16scan_by_key_implILNS1_25lookback_scan_determinismE0ELb1ES3_N6thrust23THRUST_200600_302600_NS6detail15normal_iteratorINS9_10device_ptrIiEEEESE_SE_iNS9_4plusIvEE19head_flag_predicateIiEiEE10hipError_tPvRmT2_T3_T4_T5_mT6_T7_P12ihipStream_tbENKUlT_T0_E_clISt17integral_constantIbLb0EESZ_EEDaSU_SV_EUlSU_E_NS1_11comp_targetILNS1_3genE10ELNS1_11target_archE1201ELNS1_3gpuE5ELNS1_3repE0EEENS1_30default_config_static_selectorELNS0_4arch9wavefront6targetE1EEEvT1_: ; @_ZN7rocprim17ROCPRIM_400000_NS6detail17trampoline_kernelINS0_14default_configENS1_27scan_by_key_config_selectorIiiEEZZNS1_16scan_by_key_implILNS1_25lookback_scan_determinismE0ELb1ES3_N6thrust23THRUST_200600_302600_NS6detail15normal_iteratorINS9_10device_ptrIiEEEESE_SE_iNS9_4plusIvEE19head_flag_predicateIiEiEE10hipError_tPvRmT2_T3_T4_T5_mT6_T7_P12ihipStream_tbENKUlT_T0_E_clISt17integral_constantIbLb0EESZ_EEDaSU_SV_EUlSU_E_NS1_11comp_targetILNS1_3genE10ELNS1_11target_archE1201ELNS1_3gpuE5ELNS1_3repE0EEENS1_30default_config_static_selectorELNS0_4arch9wavefront6targetE1EEEvT1_
; %bb.0:
	.section	.rodata,"a",@progbits
	.p2align	6, 0x0
	.amdhsa_kernel _ZN7rocprim17ROCPRIM_400000_NS6detail17trampoline_kernelINS0_14default_configENS1_27scan_by_key_config_selectorIiiEEZZNS1_16scan_by_key_implILNS1_25lookback_scan_determinismE0ELb1ES3_N6thrust23THRUST_200600_302600_NS6detail15normal_iteratorINS9_10device_ptrIiEEEESE_SE_iNS9_4plusIvEE19head_flag_predicateIiEiEE10hipError_tPvRmT2_T3_T4_T5_mT6_T7_P12ihipStream_tbENKUlT_T0_E_clISt17integral_constantIbLb0EESZ_EEDaSU_SV_EUlSU_E_NS1_11comp_targetILNS1_3genE10ELNS1_11target_archE1201ELNS1_3gpuE5ELNS1_3repE0EEENS1_30default_config_static_selectorELNS0_4arch9wavefront6targetE1EEEvT1_
		.amdhsa_group_segment_fixed_size 0
		.amdhsa_private_segment_fixed_size 0
		.amdhsa_kernarg_size 112
		.amdhsa_user_sgpr_count 6
		.amdhsa_user_sgpr_private_segment_buffer 1
		.amdhsa_user_sgpr_dispatch_ptr 0
		.amdhsa_user_sgpr_queue_ptr 0
		.amdhsa_user_sgpr_kernarg_segment_ptr 1
		.amdhsa_user_sgpr_dispatch_id 0
		.amdhsa_user_sgpr_flat_scratch_init 0
		.amdhsa_user_sgpr_kernarg_preload_length 0
		.amdhsa_user_sgpr_kernarg_preload_offset 0
		.amdhsa_user_sgpr_private_segment_size 0
		.amdhsa_uses_dynamic_stack 0
		.amdhsa_system_sgpr_private_segment_wavefront_offset 0
		.amdhsa_system_sgpr_workgroup_id_x 1
		.amdhsa_system_sgpr_workgroup_id_y 0
		.amdhsa_system_sgpr_workgroup_id_z 0
		.amdhsa_system_sgpr_workgroup_info 0
		.amdhsa_system_vgpr_workitem_id 0
		.amdhsa_next_free_vgpr 1
		.amdhsa_next_free_sgpr 0
		.amdhsa_accum_offset 4
		.amdhsa_reserve_vcc 0
		.amdhsa_reserve_flat_scratch 0
		.amdhsa_float_round_mode_32 0
		.amdhsa_float_round_mode_16_64 0
		.amdhsa_float_denorm_mode_32 3
		.amdhsa_float_denorm_mode_16_64 3
		.amdhsa_dx10_clamp 1
		.amdhsa_ieee_mode 1
		.amdhsa_fp16_overflow 0
		.amdhsa_tg_split 0
		.amdhsa_exception_fp_ieee_invalid_op 0
		.amdhsa_exception_fp_denorm_src 0
		.amdhsa_exception_fp_ieee_div_zero 0
		.amdhsa_exception_fp_ieee_overflow 0
		.amdhsa_exception_fp_ieee_underflow 0
		.amdhsa_exception_fp_ieee_inexact 0
		.amdhsa_exception_int_div_zero 0
	.end_amdhsa_kernel
	.section	.text._ZN7rocprim17ROCPRIM_400000_NS6detail17trampoline_kernelINS0_14default_configENS1_27scan_by_key_config_selectorIiiEEZZNS1_16scan_by_key_implILNS1_25lookback_scan_determinismE0ELb1ES3_N6thrust23THRUST_200600_302600_NS6detail15normal_iteratorINS9_10device_ptrIiEEEESE_SE_iNS9_4plusIvEE19head_flag_predicateIiEiEE10hipError_tPvRmT2_T3_T4_T5_mT6_T7_P12ihipStream_tbENKUlT_T0_E_clISt17integral_constantIbLb0EESZ_EEDaSU_SV_EUlSU_E_NS1_11comp_targetILNS1_3genE10ELNS1_11target_archE1201ELNS1_3gpuE5ELNS1_3repE0EEENS1_30default_config_static_selectorELNS0_4arch9wavefront6targetE1EEEvT1_,"axG",@progbits,_ZN7rocprim17ROCPRIM_400000_NS6detail17trampoline_kernelINS0_14default_configENS1_27scan_by_key_config_selectorIiiEEZZNS1_16scan_by_key_implILNS1_25lookback_scan_determinismE0ELb1ES3_N6thrust23THRUST_200600_302600_NS6detail15normal_iteratorINS9_10device_ptrIiEEEESE_SE_iNS9_4plusIvEE19head_flag_predicateIiEiEE10hipError_tPvRmT2_T3_T4_T5_mT6_T7_P12ihipStream_tbENKUlT_T0_E_clISt17integral_constantIbLb0EESZ_EEDaSU_SV_EUlSU_E_NS1_11comp_targetILNS1_3genE10ELNS1_11target_archE1201ELNS1_3gpuE5ELNS1_3repE0EEENS1_30default_config_static_selectorELNS0_4arch9wavefront6targetE1EEEvT1_,comdat
.Lfunc_end118:
	.size	_ZN7rocprim17ROCPRIM_400000_NS6detail17trampoline_kernelINS0_14default_configENS1_27scan_by_key_config_selectorIiiEEZZNS1_16scan_by_key_implILNS1_25lookback_scan_determinismE0ELb1ES3_N6thrust23THRUST_200600_302600_NS6detail15normal_iteratorINS9_10device_ptrIiEEEESE_SE_iNS9_4plusIvEE19head_flag_predicateIiEiEE10hipError_tPvRmT2_T3_T4_T5_mT6_T7_P12ihipStream_tbENKUlT_T0_E_clISt17integral_constantIbLb0EESZ_EEDaSU_SV_EUlSU_E_NS1_11comp_targetILNS1_3genE10ELNS1_11target_archE1201ELNS1_3gpuE5ELNS1_3repE0EEENS1_30default_config_static_selectorELNS0_4arch9wavefront6targetE1EEEvT1_, .Lfunc_end118-_ZN7rocprim17ROCPRIM_400000_NS6detail17trampoline_kernelINS0_14default_configENS1_27scan_by_key_config_selectorIiiEEZZNS1_16scan_by_key_implILNS1_25lookback_scan_determinismE0ELb1ES3_N6thrust23THRUST_200600_302600_NS6detail15normal_iteratorINS9_10device_ptrIiEEEESE_SE_iNS9_4plusIvEE19head_flag_predicateIiEiEE10hipError_tPvRmT2_T3_T4_T5_mT6_T7_P12ihipStream_tbENKUlT_T0_E_clISt17integral_constantIbLb0EESZ_EEDaSU_SV_EUlSU_E_NS1_11comp_targetILNS1_3genE10ELNS1_11target_archE1201ELNS1_3gpuE5ELNS1_3repE0EEENS1_30default_config_static_selectorELNS0_4arch9wavefront6targetE1EEEvT1_
                                        ; -- End function
	.section	.AMDGPU.csdata,"",@progbits
; Kernel info:
; codeLenInByte = 0
; NumSgprs: 4
; NumVgprs: 0
; NumAgprs: 0
; TotalNumVgprs: 0
; ScratchSize: 0
; MemoryBound: 0
; FloatMode: 240
; IeeeMode: 1
; LDSByteSize: 0 bytes/workgroup (compile time only)
; SGPRBlocks: 0
; VGPRBlocks: 0
; NumSGPRsForWavesPerEU: 4
; NumVGPRsForWavesPerEU: 1
; AccumOffset: 4
; Occupancy: 8
; WaveLimiterHint : 0
; COMPUTE_PGM_RSRC2:SCRATCH_EN: 0
; COMPUTE_PGM_RSRC2:USER_SGPR: 6
; COMPUTE_PGM_RSRC2:TRAP_HANDLER: 0
; COMPUTE_PGM_RSRC2:TGID_X_EN: 1
; COMPUTE_PGM_RSRC2:TGID_Y_EN: 0
; COMPUTE_PGM_RSRC2:TGID_Z_EN: 0
; COMPUTE_PGM_RSRC2:TIDIG_COMP_CNT: 0
; COMPUTE_PGM_RSRC3_GFX90A:ACCUM_OFFSET: 0
; COMPUTE_PGM_RSRC3_GFX90A:TG_SPLIT: 0
	.section	.text._ZN7rocprim17ROCPRIM_400000_NS6detail17trampoline_kernelINS0_14default_configENS1_27scan_by_key_config_selectorIiiEEZZNS1_16scan_by_key_implILNS1_25lookback_scan_determinismE0ELb1ES3_N6thrust23THRUST_200600_302600_NS6detail15normal_iteratorINS9_10device_ptrIiEEEESE_SE_iNS9_4plusIvEE19head_flag_predicateIiEiEE10hipError_tPvRmT2_T3_T4_T5_mT6_T7_P12ihipStream_tbENKUlT_T0_E_clISt17integral_constantIbLb0EESZ_EEDaSU_SV_EUlSU_E_NS1_11comp_targetILNS1_3genE5ELNS1_11target_archE942ELNS1_3gpuE9ELNS1_3repE0EEENS1_30default_config_static_selectorELNS0_4arch9wavefront6targetE1EEEvT1_,"axG",@progbits,_ZN7rocprim17ROCPRIM_400000_NS6detail17trampoline_kernelINS0_14default_configENS1_27scan_by_key_config_selectorIiiEEZZNS1_16scan_by_key_implILNS1_25lookback_scan_determinismE0ELb1ES3_N6thrust23THRUST_200600_302600_NS6detail15normal_iteratorINS9_10device_ptrIiEEEESE_SE_iNS9_4plusIvEE19head_flag_predicateIiEiEE10hipError_tPvRmT2_T3_T4_T5_mT6_T7_P12ihipStream_tbENKUlT_T0_E_clISt17integral_constantIbLb0EESZ_EEDaSU_SV_EUlSU_E_NS1_11comp_targetILNS1_3genE5ELNS1_11target_archE942ELNS1_3gpuE9ELNS1_3repE0EEENS1_30default_config_static_selectorELNS0_4arch9wavefront6targetE1EEEvT1_,comdat
	.protected	_ZN7rocprim17ROCPRIM_400000_NS6detail17trampoline_kernelINS0_14default_configENS1_27scan_by_key_config_selectorIiiEEZZNS1_16scan_by_key_implILNS1_25lookback_scan_determinismE0ELb1ES3_N6thrust23THRUST_200600_302600_NS6detail15normal_iteratorINS9_10device_ptrIiEEEESE_SE_iNS9_4plusIvEE19head_flag_predicateIiEiEE10hipError_tPvRmT2_T3_T4_T5_mT6_T7_P12ihipStream_tbENKUlT_T0_E_clISt17integral_constantIbLb0EESZ_EEDaSU_SV_EUlSU_E_NS1_11comp_targetILNS1_3genE5ELNS1_11target_archE942ELNS1_3gpuE9ELNS1_3repE0EEENS1_30default_config_static_selectorELNS0_4arch9wavefront6targetE1EEEvT1_ ; -- Begin function _ZN7rocprim17ROCPRIM_400000_NS6detail17trampoline_kernelINS0_14default_configENS1_27scan_by_key_config_selectorIiiEEZZNS1_16scan_by_key_implILNS1_25lookback_scan_determinismE0ELb1ES3_N6thrust23THRUST_200600_302600_NS6detail15normal_iteratorINS9_10device_ptrIiEEEESE_SE_iNS9_4plusIvEE19head_flag_predicateIiEiEE10hipError_tPvRmT2_T3_T4_T5_mT6_T7_P12ihipStream_tbENKUlT_T0_E_clISt17integral_constantIbLb0EESZ_EEDaSU_SV_EUlSU_E_NS1_11comp_targetILNS1_3genE5ELNS1_11target_archE942ELNS1_3gpuE9ELNS1_3repE0EEENS1_30default_config_static_selectorELNS0_4arch9wavefront6targetE1EEEvT1_
	.globl	_ZN7rocprim17ROCPRIM_400000_NS6detail17trampoline_kernelINS0_14default_configENS1_27scan_by_key_config_selectorIiiEEZZNS1_16scan_by_key_implILNS1_25lookback_scan_determinismE0ELb1ES3_N6thrust23THRUST_200600_302600_NS6detail15normal_iteratorINS9_10device_ptrIiEEEESE_SE_iNS9_4plusIvEE19head_flag_predicateIiEiEE10hipError_tPvRmT2_T3_T4_T5_mT6_T7_P12ihipStream_tbENKUlT_T0_E_clISt17integral_constantIbLb0EESZ_EEDaSU_SV_EUlSU_E_NS1_11comp_targetILNS1_3genE5ELNS1_11target_archE942ELNS1_3gpuE9ELNS1_3repE0EEENS1_30default_config_static_selectorELNS0_4arch9wavefront6targetE1EEEvT1_
	.p2align	8
	.type	_ZN7rocprim17ROCPRIM_400000_NS6detail17trampoline_kernelINS0_14default_configENS1_27scan_by_key_config_selectorIiiEEZZNS1_16scan_by_key_implILNS1_25lookback_scan_determinismE0ELb1ES3_N6thrust23THRUST_200600_302600_NS6detail15normal_iteratorINS9_10device_ptrIiEEEESE_SE_iNS9_4plusIvEE19head_flag_predicateIiEiEE10hipError_tPvRmT2_T3_T4_T5_mT6_T7_P12ihipStream_tbENKUlT_T0_E_clISt17integral_constantIbLb0EESZ_EEDaSU_SV_EUlSU_E_NS1_11comp_targetILNS1_3genE5ELNS1_11target_archE942ELNS1_3gpuE9ELNS1_3repE0EEENS1_30default_config_static_selectorELNS0_4arch9wavefront6targetE1EEEvT1_,@function
_ZN7rocprim17ROCPRIM_400000_NS6detail17trampoline_kernelINS0_14default_configENS1_27scan_by_key_config_selectorIiiEEZZNS1_16scan_by_key_implILNS1_25lookback_scan_determinismE0ELb1ES3_N6thrust23THRUST_200600_302600_NS6detail15normal_iteratorINS9_10device_ptrIiEEEESE_SE_iNS9_4plusIvEE19head_flag_predicateIiEiEE10hipError_tPvRmT2_T3_T4_T5_mT6_T7_P12ihipStream_tbENKUlT_T0_E_clISt17integral_constantIbLb0EESZ_EEDaSU_SV_EUlSU_E_NS1_11comp_targetILNS1_3genE5ELNS1_11target_archE942ELNS1_3gpuE9ELNS1_3repE0EEENS1_30default_config_static_selectorELNS0_4arch9wavefront6targetE1EEEvT1_: ; @_ZN7rocprim17ROCPRIM_400000_NS6detail17trampoline_kernelINS0_14default_configENS1_27scan_by_key_config_selectorIiiEEZZNS1_16scan_by_key_implILNS1_25lookback_scan_determinismE0ELb1ES3_N6thrust23THRUST_200600_302600_NS6detail15normal_iteratorINS9_10device_ptrIiEEEESE_SE_iNS9_4plusIvEE19head_flag_predicateIiEiEE10hipError_tPvRmT2_T3_T4_T5_mT6_T7_P12ihipStream_tbENKUlT_T0_E_clISt17integral_constantIbLb0EESZ_EEDaSU_SV_EUlSU_E_NS1_11comp_targetILNS1_3genE5ELNS1_11target_archE942ELNS1_3gpuE9ELNS1_3repE0EEENS1_30default_config_static_selectorELNS0_4arch9wavefront6targetE1EEEvT1_
; %bb.0:
	.section	.rodata,"a",@progbits
	.p2align	6, 0x0
	.amdhsa_kernel _ZN7rocprim17ROCPRIM_400000_NS6detail17trampoline_kernelINS0_14default_configENS1_27scan_by_key_config_selectorIiiEEZZNS1_16scan_by_key_implILNS1_25lookback_scan_determinismE0ELb1ES3_N6thrust23THRUST_200600_302600_NS6detail15normal_iteratorINS9_10device_ptrIiEEEESE_SE_iNS9_4plusIvEE19head_flag_predicateIiEiEE10hipError_tPvRmT2_T3_T4_T5_mT6_T7_P12ihipStream_tbENKUlT_T0_E_clISt17integral_constantIbLb0EESZ_EEDaSU_SV_EUlSU_E_NS1_11comp_targetILNS1_3genE5ELNS1_11target_archE942ELNS1_3gpuE9ELNS1_3repE0EEENS1_30default_config_static_selectorELNS0_4arch9wavefront6targetE1EEEvT1_
		.amdhsa_group_segment_fixed_size 0
		.amdhsa_private_segment_fixed_size 0
		.amdhsa_kernarg_size 112
		.amdhsa_user_sgpr_count 6
		.amdhsa_user_sgpr_private_segment_buffer 1
		.amdhsa_user_sgpr_dispatch_ptr 0
		.amdhsa_user_sgpr_queue_ptr 0
		.amdhsa_user_sgpr_kernarg_segment_ptr 1
		.amdhsa_user_sgpr_dispatch_id 0
		.amdhsa_user_sgpr_flat_scratch_init 0
		.amdhsa_user_sgpr_kernarg_preload_length 0
		.amdhsa_user_sgpr_kernarg_preload_offset 0
		.amdhsa_user_sgpr_private_segment_size 0
		.amdhsa_uses_dynamic_stack 0
		.amdhsa_system_sgpr_private_segment_wavefront_offset 0
		.amdhsa_system_sgpr_workgroup_id_x 1
		.amdhsa_system_sgpr_workgroup_id_y 0
		.amdhsa_system_sgpr_workgroup_id_z 0
		.amdhsa_system_sgpr_workgroup_info 0
		.amdhsa_system_vgpr_workitem_id 0
		.amdhsa_next_free_vgpr 1
		.amdhsa_next_free_sgpr 0
		.amdhsa_accum_offset 4
		.amdhsa_reserve_vcc 0
		.amdhsa_reserve_flat_scratch 0
		.amdhsa_float_round_mode_32 0
		.amdhsa_float_round_mode_16_64 0
		.amdhsa_float_denorm_mode_32 3
		.amdhsa_float_denorm_mode_16_64 3
		.amdhsa_dx10_clamp 1
		.amdhsa_ieee_mode 1
		.amdhsa_fp16_overflow 0
		.amdhsa_tg_split 0
		.amdhsa_exception_fp_ieee_invalid_op 0
		.amdhsa_exception_fp_denorm_src 0
		.amdhsa_exception_fp_ieee_div_zero 0
		.amdhsa_exception_fp_ieee_overflow 0
		.amdhsa_exception_fp_ieee_underflow 0
		.amdhsa_exception_fp_ieee_inexact 0
		.amdhsa_exception_int_div_zero 0
	.end_amdhsa_kernel
	.section	.text._ZN7rocprim17ROCPRIM_400000_NS6detail17trampoline_kernelINS0_14default_configENS1_27scan_by_key_config_selectorIiiEEZZNS1_16scan_by_key_implILNS1_25lookback_scan_determinismE0ELb1ES3_N6thrust23THRUST_200600_302600_NS6detail15normal_iteratorINS9_10device_ptrIiEEEESE_SE_iNS9_4plusIvEE19head_flag_predicateIiEiEE10hipError_tPvRmT2_T3_T4_T5_mT6_T7_P12ihipStream_tbENKUlT_T0_E_clISt17integral_constantIbLb0EESZ_EEDaSU_SV_EUlSU_E_NS1_11comp_targetILNS1_3genE5ELNS1_11target_archE942ELNS1_3gpuE9ELNS1_3repE0EEENS1_30default_config_static_selectorELNS0_4arch9wavefront6targetE1EEEvT1_,"axG",@progbits,_ZN7rocprim17ROCPRIM_400000_NS6detail17trampoline_kernelINS0_14default_configENS1_27scan_by_key_config_selectorIiiEEZZNS1_16scan_by_key_implILNS1_25lookback_scan_determinismE0ELb1ES3_N6thrust23THRUST_200600_302600_NS6detail15normal_iteratorINS9_10device_ptrIiEEEESE_SE_iNS9_4plusIvEE19head_flag_predicateIiEiEE10hipError_tPvRmT2_T3_T4_T5_mT6_T7_P12ihipStream_tbENKUlT_T0_E_clISt17integral_constantIbLb0EESZ_EEDaSU_SV_EUlSU_E_NS1_11comp_targetILNS1_3genE5ELNS1_11target_archE942ELNS1_3gpuE9ELNS1_3repE0EEENS1_30default_config_static_selectorELNS0_4arch9wavefront6targetE1EEEvT1_,comdat
.Lfunc_end119:
	.size	_ZN7rocprim17ROCPRIM_400000_NS6detail17trampoline_kernelINS0_14default_configENS1_27scan_by_key_config_selectorIiiEEZZNS1_16scan_by_key_implILNS1_25lookback_scan_determinismE0ELb1ES3_N6thrust23THRUST_200600_302600_NS6detail15normal_iteratorINS9_10device_ptrIiEEEESE_SE_iNS9_4plusIvEE19head_flag_predicateIiEiEE10hipError_tPvRmT2_T3_T4_T5_mT6_T7_P12ihipStream_tbENKUlT_T0_E_clISt17integral_constantIbLb0EESZ_EEDaSU_SV_EUlSU_E_NS1_11comp_targetILNS1_3genE5ELNS1_11target_archE942ELNS1_3gpuE9ELNS1_3repE0EEENS1_30default_config_static_selectorELNS0_4arch9wavefront6targetE1EEEvT1_, .Lfunc_end119-_ZN7rocprim17ROCPRIM_400000_NS6detail17trampoline_kernelINS0_14default_configENS1_27scan_by_key_config_selectorIiiEEZZNS1_16scan_by_key_implILNS1_25lookback_scan_determinismE0ELb1ES3_N6thrust23THRUST_200600_302600_NS6detail15normal_iteratorINS9_10device_ptrIiEEEESE_SE_iNS9_4plusIvEE19head_flag_predicateIiEiEE10hipError_tPvRmT2_T3_T4_T5_mT6_T7_P12ihipStream_tbENKUlT_T0_E_clISt17integral_constantIbLb0EESZ_EEDaSU_SV_EUlSU_E_NS1_11comp_targetILNS1_3genE5ELNS1_11target_archE942ELNS1_3gpuE9ELNS1_3repE0EEENS1_30default_config_static_selectorELNS0_4arch9wavefront6targetE1EEEvT1_
                                        ; -- End function
	.section	.AMDGPU.csdata,"",@progbits
; Kernel info:
; codeLenInByte = 0
; NumSgprs: 4
; NumVgprs: 0
; NumAgprs: 0
; TotalNumVgprs: 0
; ScratchSize: 0
; MemoryBound: 0
; FloatMode: 240
; IeeeMode: 1
; LDSByteSize: 0 bytes/workgroup (compile time only)
; SGPRBlocks: 0
; VGPRBlocks: 0
; NumSGPRsForWavesPerEU: 4
; NumVGPRsForWavesPerEU: 1
; AccumOffset: 4
; Occupancy: 8
; WaveLimiterHint : 0
; COMPUTE_PGM_RSRC2:SCRATCH_EN: 0
; COMPUTE_PGM_RSRC2:USER_SGPR: 6
; COMPUTE_PGM_RSRC2:TRAP_HANDLER: 0
; COMPUTE_PGM_RSRC2:TGID_X_EN: 1
; COMPUTE_PGM_RSRC2:TGID_Y_EN: 0
; COMPUTE_PGM_RSRC2:TGID_Z_EN: 0
; COMPUTE_PGM_RSRC2:TIDIG_COMP_CNT: 0
; COMPUTE_PGM_RSRC3_GFX90A:ACCUM_OFFSET: 0
; COMPUTE_PGM_RSRC3_GFX90A:TG_SPLIT: 0
	.section	.text._ZN7rocprim17ROCPRIM_400000_NS6detail17trampoline_kernelINS0_14default_configENS1_27scan_by_key_config_selectorIiiEEZZNS1_16scan_by_key_implILNS1_25lookback_scan_determinismE0ELb1ES3_N6thrust23THRUST_200600_302600_NS6detail15normal_iteratorINS9_10device_ptrIiEEEESE_SE_iNS9_4plusIvEE19head_flag_predicateIiEiEE10hipError_tPvRmT2_T3_T4_T5_mT6_T7_P12ihipStream_tbENKUlT_T0_E_clISt17integral_constantIbLb0EESZ_EEDaSU_SV_EUlSU_E_NS1_11comp_targetILNS1_3genE4ELNS1_11target_archE910ELNS1_3gpuE8ELNS1_3repE0EEENS1_30default_config_static_selectorELNS0_4arch9wavefront6targetE1EEEvT1_,"axG",@progbits,_ZN7rocprim17ROCPRIM_400000_NS6detail17trampoline_kernelINS0_14default_configENS1_27scan_by_key_config_selectorIiiEEZZNS1_16scan_by_key_implILNS1_25lookback_scan_determinismE0ELb1ES3_N6thrust23THRUST_200600_302600_NS6detail15normal_iteratorINS9_10device_ptrIiEEEESE_SE_iNS9_4plusIvEE19head_flag_predicateIiEiEE10hipError_tPvRmT2_T3_T4_T5_mT6_T7_P12ihipStream_tbENKUlT_T0_E_clISt17integral_constantIbLb0EESZ_EEDaSU_SV_EUlSU_E_NS1_11comp_targetILNS1_3genE4ELNS1_11target_archE910ELNS1_3gpuE8ELNS1_3repE0EEENS1_30default_config_static_selectorELNS0_4arch9wavefront6targetE1EEEvT1_,comdat
	.protected	_ZN7rocprim17ROCPRIM_400000_NS6detail17trampoline_kernelINS0_14default_configENS1_27scan_by_key_config_selectorIiiEEZZNS1_16scan_by_key_implILNS1_25lookback_scan_determinismE0ELb1ES3_N6thrust23THRUST_200600_302600_NS6detail15normal_iteratorINS9_10device_ptrIiEEEESE_SE_iNS9_4plusIvEE19head_flag_predicateIiEiEE10hipError_tPvRmT2_T3_T4_T5_mT6_T7_P12ihipStream_tbENKUlT_T0_E_clISt17integral_constantIbLb0EESZ_EEDaSU_SV_EUlSU_E_NS1_11comp_targetILNS1_3genE4ELNS1_11target_archE910ELNS1_3gpuE8ELNS1_3repE0EEENS1_30default_config_static_selectorELNS0_4arch9wavefront6targetE1EEEvT1_ ; -- Begin function _ZN7rocprim17ROCPRIM_400000_NS6detail17trampoline_kernelINS0_14default_configENS1_27scan_by_key_config_selectorIiiEEZZNS1_16scan_by_key_implILNS1_25lookback_scan_determinismE0ELb1ES3_N6thrust23THRUST_200600_302600_NS6detail15normal_iteratorINS9_10device_ptrIiEEEESE_SE_iNS9_4plusIvEE19head_flag_predicateIiEiEE10hipError_tPvRmT2_T3_T4_T5_mT6_T7_P12ihipStream_tbENKUlT_T0_E_clISt17integral_constantIbLb0EESZ_EEDaSU_SV_EUlSU_E_NS1_11comp_targetILNS1_3genE4ELNS1_11target_archE910ELNS1_3gpuE8ELNS1_3repE0EEENS1_30default_config_static_selectorELNS0_4arch9wavefront6targetE1EEEvT1_
	.globl	_ZN7rocprim17ROCPRIM_400000_NS6detail17trampoline_kernelINS0_14default_configENS1_27scan_by_key_config_selectorIiiEEZZNS1_16scan_by_key_implILNS1_25lookback_scan_determinismE0ELb1ES3_N6thrust23THRUST_200600_302600_NS6detail15normal_iteratorINS9_10device_ptrIiEEEESE_SE_iNS9_4plusIvEE19head_flag_predicateIiEiEE10hipError_tPvRmT2_T3_T4_T5_mT6_T7_P12ihipStream_tbENKUlT_T0_E_clISt17integral_constantIbLb0EESZ_EEDaSU_SV_EUlSU_E_NS1_11comp_targetILNS1_3genE4ELNS1_11target_archE910ELNS1_3gpuE8ELNS1_3repE0EEENS1_30default_config_static_selectorELNS0_4arch9wavefront6targetE1EEEvT1_
	.p2align	8
	.type	_ZN7rocprim17ROCPRIM_400000_NS6detail17trampoline_kernelINS0_14default_configENS1_27scan_by_key_config_selectorIiiEEZZNS1_16scan_by_key_implILNS1_25lookback_scan_determinismE0ELb1ES3_N6thrust23THRUST_200600_302600_NS6detail15normal_iteratorINS9_10device_ptrIiEEEESE_SE_iNS9_4plusIvEE19head_flag_predicateIiEiEE10hipError_tPvRmT2_T3_T4_T5_mT6_T7_P12ihipStream_tbENKUlT_T0_E_clISt17integral_constantIbLb0EESZ_EEDaSU_SV_EUlSU_E_NS1_11comp_targetILNS1_3genE4ELNS1_11target_archE910ELNS1_3gpuE8ELNS1_3repE0EEENS1_30default_config_static_selectorELNS0_4arch9wavefront6targetE1EEEvT1_,@function
_ZN7rocprim17ROCPRIM_400000_NS6detail17trampoline_kernelINS0_14default_configENS1_27scan_by_key_config_selectorIiiEEZZNS1_16scan_by_key_implILNS1_25lookback_scan_determinismE0ELb1ES3_N6thrust23THRUST_200600_302600_NS6detail15normal_iteratorINS9_10device_ptrIiEEEESE_SE_iNS9_4plusIvEE19head_flag_predicateIiEiEE10hipError_tPvRmT2_T3_T4_T5_mT6_T7_P12ihipStream_tbENKUlT_T0_E_clISt17integral_constantIbLb0EESZ_EEDaSU_SV_EUlSU_E_NS1_11comp_targetILNS1_3genE4ELNS1_11target_archE910ELNS1_3gpuE8ELNS1_3repE0EEENS1_30default_config_static_selectorELNS0_4arch9wavefront6targetE1EEEvT1_: ; @_ZN7rocprim17ROCPRIM_400000_NS6detail17trampoline_kernelINS0_14default_configENS1_27scan_by_key_config_selectorIiiEEZZNS1_16scan_by_key_implILNS1_25lookback_scan_determinismE0ELb1ES3_N6thrust23THRUST_200600_302600_NS6detail15normal_iteratorINS9_10device_ptrIiEEEESE_SE_iNS9_4plusIvEE19head_flag_predicateIiEiEE10hipError_tPvRmT2_T3_T4_T5_mT6_T7_P12ihipStream_tbENKUlT_T0_E_clISt17integral_constantIbLb0EESZ_EEDaSU_SV_EUlSU_E_NS1_11comp_targetILNS1_3genE4ELNS1_11target_archE910ELNS1_3gpuE8ELNS1_3repE0EEENS1_30default_config_static_selectorELNS0_4arch9wavefront6targetE1EEEvT1_
; %bb.0:
	s_load_dwordx8 s[36:43], s[4:5], 0x0
	s_load_dword s56, s[4:5], 0x20
	s_load_dwordx4 s[44:47], s[4:5], 0x28
	s_load_dwordx2 s[52:53], s[4:5], 0x38
	s_load_dword s0, s[4:5], 0x40
	s_load_dwordx4 s[48:51], s[4:5], 0x48
	s_waitcnt lgkmcnt(0)
	s_lshl_b64 s[34:35], s[38:39], 2
	s_add_u32 s2, s36, s34
	s_addc_u32 s3, s37, s35
	s_add_u32 s4, s40, s34
	s_mul_i32 s1, s53, s0
	s_mul_hi_u32 s7, s52, s0
	s_addc_u32 s5, s41, s35
	s_add_i32 s8, s7, s1
	s_mul_i32 s9, s52, s0
	s_mul_i32 s0, s6, 0xe00
	s_mov_b32 s1, 0
	s_lshl_b64 s[36:37], s[0:1], 2
	s_add_u32 s38, s2, s36
	s_addc_u32 s39, s3, s37
	s_add_u32 s7, s4, s36
	s_addc_u32 s47, s5, s37
	;; [unrolled: 2-line block ×3, first 2 shown]
	s_add_u32 s4, s48, -1
	s_addc_u32 s5, s49, -1
	v_pk_mov_b32 v[2:3], s[4:5], s[4:5] op_sel:[0,1]
	v_cmp_ge_u64_e64 s[0:1], s[0:1], v[2:3]
	s_mov_b64 s[2:3], -1
	s_and_b64 vcc, exec, s[0:1]
	s_mul_i32 s33, s4, 0xfffff200
	s_barrier
	s_cbranch_vccz .LBB120_76
; %bb.1:
	v_pk_mov_b32 v[2:3], s[38:39], s[38:39] op_sel:[0,1]
	flat_load_dword v1, v[2:3]
	s_add_i32 s54, s33, s46
	v_cmp_gt_u32_e32 vcc, s54, v0
	s_waitcnt vmcnt(0) lgkmcnt(0)
	v_mov_b32_e32 v13, v1
	s_and_saveexec_b64 s[4:5], vcc
	s_cbranch_execz .LBB120_3
; %bb.2:
	v_lshlrev_b32_e32 v2, 2, v0
	v_mov_b32_e32 v3, s39
	v_add_co_u32_e64 v2, s[2:3], s38, v2
	v_addc_co_u32_e64 v3, s[2:3], 0, v3, s[2:3]
	flat_load_dword v13, v[2:3]
.LBB120_3:
	s_or_b64 exec, exec, s[4:5]
	v_or_b32_e32 v2, 0x100, v0
	v_cmp_gt_u32_e64 s[2:3], s54, v2
	v_mov_b32_e32 v14, v1
	s_and_saveexec_b64 s[8:9], s[2:3]
	s_cbranch_execz .LBB120_5
; %bb.4:
	v_lshlrev_b32_e32 v2, 2, v0
	v_mov_b32_e32 v3, s39
	v_add_co_u32_e64 v2, s[4:5], s38, v2
	v_addc_co_u32_e64 v3, s[4:5], 0, v3, s[4:5]
	flat_load_dword v14, v[2:3] offset:1024
.LBB120_5:
	s_or_b64 exec, exec, s[8:9]
	v_or_b32_e32 v2, 0x200, v0
	v_cmp_gt_u32_e64 s[4:5], s54, v2
	v_mov_b32_e32 v15, v1
	s_and_saveexec_b64 s[10:11], s[4:5]
	s_cbranch_execz .LBB120_7
; %bb.6:
	v_lshlrev_b32_e32 v2, 2, v0
	v_mov_b32_e32 v3, s39
	v_add_co_u32_e64 v2, s[8:9], s38, v2
	v_addc_co_u32_e64 v3, s[8:9], 0, v3, s[8:9]
	flat_load_dword v15, v[2:3] offset:2048
.LBB120_7:
	;; [unrolled: 13-line block ×3, first 2 shown]
	s_or_b64 exec, exec, s[10:11]
	v_or_b32_e32 v2, 0x400, v0
	v_cmp_gt_u32_e64 s[8:9], s54, v2
	v_lshlrev_b32_e32 v2, 2, v2
	v_mov_b32_e32 v17, v1
	s_and_saveexec_b64 s[12:13], s[8:9]
	s_cbranch_execz .LBB120_11
; %bb.10:
	v_mov_b32_e32 v3, s39
	v_add_co_u32_e64 v4, s[10:11], s38, v2
	v_addc_co_u32_e64 v5, s[10:11], 0, v3, s[10:11]
	flat_load_dword v17, v[4:5]
.LBB120_11:
	s_or_b64 exec, exec, s[12:13]
	v_or_b32_e32 v3, 0x500, v0
	v_cmp_gt_u32_e64 s[10:11], s54, v3
	v_lshlrev_b32_e32 v3, 2, v3
	v_mov_b32_e32 v18, v1
	s_and_saveexec_b64 s[14:15], s[10:11]
	s_cbranch_execz .LBB120_13
; %bb.12:
	v_mov_b32_e32 v5, s39
	v_add_co_u32_e64 v4, s[12:13], s38, v3
	v_addc_co_u32_e64 v5, s[12:13], 0, v5, s[12:13]
	flat_load_dword v18, v[4:5]
.LBB120_13:
	;; [unrolled: 13-line block ×9, first 2 shown]
	s_or_b64 exec, exec, s[30:31]
	v_or_b32_e32 v11, 0xd00, v0
	v_cmp_gt_u32_e64 s[26:27], s54, v11
	v_lshlrev_b32_e32 v11, 2, v11
	s_and_saveexec_b64 s[40:41], s[26:27]
	s_cbranch_execz .LBB120_29
; %bb.28:
	v_mov_b32_e32 v1, s39
	v_add_co_u32_e64 v26, s[30:31], s38, v11
	v_addc_co_u32_e64 v27, s[30:31], 0, v1, s[30:31]
	flat_load_dword v1, v[26:27]
.LBB120_29:
	s_or_b64 exec, exec, s[40:41]
	v_lshlrev_b32_e32 v12, 2, v0
	s_waitcnt vmcnt(0) lgkmcnt(0)
	ds_write2st64_b32 v12, v13, v14 offset1:4
	ds_write2st64_b32 v12, v15, v16 offset0:8 offset1:12
	ds_write2st64_b32 v12, v17, v18 offset0:16 offset1:20
	ds_write2st64_b32 v12, v19, v20 offset0:24 offset1:28
	ds_write2st64_b32 v12, v21, v22 offset0:32 offset1:36
	ds_write2st64_b32 v12, v23, v24 offset0:40 offset1:44
	ds_write2st64_b32 v12, v25, v1 offset0:48 offset1:52
	v_pk_mov_b32 v[14:15], s[38:39], s[38:39] op_sel:[0,1]
	s_waitcnt lgkmcnt(0)
	s_barrier
	flat_load_dword v1, v[14:15]
	v_mad_u32_u24 v42, v0, 52, v12
	s_movk_i32 s30, 0xffcc
	ds_read2_b64 v[34:37], v42 offset1:1
	ds_read2_b64 v[30:33], v42 offset0:2 offset1:3
	ds_read2_b64 v[26:29], v42 offset0:4 offset1:5
	ds_read_b64 v[40:41], v42 offset:48
	v_mad_i32_i24 v13, v0, s30, v42
	s_movk_i32 s30, 0xff
	v_cmp_ne_u32_e64 s[30:31], s30, v0
	s_waitcnt lgkmcnt(0)
	ds_write_b32 v13, v34 offset:15360
	s_waitcnt lgkmcnt(0)
	s_barrier
	s_and_saveexec_b64 s[40:41], s[30:31]
	s_cbranch_execz .LBB120_31
; %bb.30:
	s_waitcnt vmcnt(0)
	ds_read_b32 v1, v12 offset:15364
.LBB120_31:
	s_or_b64 exec, exec, s[40:41]
	s_waitcnt lgkmcnt(0)
	s_barrier
	s_waitcnt lgkmcnt(0)
                                        ; implicit-def: $vgpr13
	s_and_saveexec_b64 s[30:31], vcc
	s_cbranch_execz .LBB120_113
; %bb.32:
	v_mov_b32_e32 v13, s47
	v_add_co_u32_e32 v14, vcc, s7, v12
	v_addc_co_u32_e32 v15, vcc, 0, v13, vcc
	flat_load_dword v13, v[14:15]
	s_or_b64 exec, exec, s[30:31]
                                        ; implicit-def: $vgpr14
	s_and_saveexec_b64 s[30:31], s[2:3]
	s_cbranch_execnz .LBB120_114
.LBB120_33:
	s_or_b64 exec, exec, s[30:31]
                                        ; implicit-def: $vgpr15
	s_and_saveexec_b64 s[2:3], s[4:5]
	s_cbranch_execz .LBB120_115
.LBB120_34:
	v_mov_b32_e32 v15, s47
	v_add_co_u32_e32 v16, vcc, s7, v12
	v_addc_co_u32_e32 v17, vcc, 0, v15, vcc
	flat_load_dword v15, v[16:17] offset:2048
	s_or_b64 exec, exec, s[2:3]
                                        ; implicit-def: $vgpr16
	s_and_saveexec_b64 s[2:3], s[28:29]
	s_cbranch_execnz .LBB120_116
.LBB120_35:
	s_or_b64 exec, exec, s[2:3]
                                        ; implicit-def: $vgpr17
	s_and_saveexec_b64 s[2:3], s[8:9]
	s_cbranch_execz .LBB120_117
.LBB120_36:
	v_mov_b32_e32 v17, s47
	v_add_co_u32_e32 v18, vcc, s7, v2
	v_addc_co_u32_e32 v19, vcc, 0, v17, vcc
	flat_load_dword v17, v[18:19]
	s_or_b64 exec, exec, s[2:3]
                                        ; implicit-def: $vgpr2
	s_and_saveexec_b64 s[2:3], s[10:11]
	s_cbranch_execnz .LBB120_118
.LBB120_37:
	s_or_b64 exec, exec, s[2:3]
                                        ; implicit-def: $vgpr3
	s_and_saveexec_b64 s[2:3], s[12:13]
	s_cbranch_execz .LBB120_119
.LBB120_38:
	v_mov_b32_e32 v3, s47
	v_add_co_u32_e32 v18, vcc, s7, v4
	v_addc_co_u32_e32 v19, vcc, 0, v3, vcc
	flat_load_dword v3, v[18:19]
	s_or_b64 exec, exec, s[2:3]
                                        ; implicit-def: $vgpr4
	s_and_saveexec_b64 s[2:3], s[14:15]
	s_cbranch_execnz .LBB120_120
.LBB120_39:
	s_or_b64 exec, exec, s[2:3]
                                        ; implicit-def: $vgpr5
	s_and_saveexec_b64 s[2:3], s[16:17]
	s_cbranch_execz .LBB120_121
.LBB120_40:
	v_mov_b32_e32 v5, s47
	v_add_co_u32_e32 v18, vcc, s7, v6
	v_addc_co_u32_e32 v19, vcc, 0, v5, vcc
	flat_load_dword v5, v[18:19]
	s_or_b64 exec, exec, s[2:3]
                                        ; implicit-def: $vgpr6
	s_and_saveexec_b64 s[2:3], s[18:19]
	s_cbranch_execnz .LBB120_122
.LBB120_41:
	s_or_b64 exec, exec, s[2:3]
                                        ; implicit-def: $vgpr7
	s_and_saveexec_b64 s[2:3], s[20:21]
	s_cbranch_execz .LBB120_123
.LBB120_42:
	v_mov_b32_e32 v7, s47
	v_add_co_u32_e32 v18, vcc, s7, v8
	v_addc_co_u32_e32 v19, vcc, 0, v7, vcc
	flat_load_dword v7, v[18:19]
	s_or_b64 exec, exec, s[2:3]
                                        ; implicit-def: $vgpr8
	s_and_saveexec_b64 s[2:3], s[22:23]
	s_cbranch_execnz .LBB120_124
.LBB120_43:
	s_or_b64 exec, exec, s[2:3]
                                        ; implicit-def: $vgpr9
	s_and_saveexec_b64 s[2:3], s[24:25]
	s_cbranch_execz .LBB120_45
.LBB120_44:
	v_mov_b32_e32 v9, s47
	v_add_co_u32_e32 v18, vcc, s7, v10
	v_addc_co_u32_e32 v19, vcc, 0, v9, vcc
	flat_load_dword v9, v[18:19]
.LBB120_45:
	s_or_b64 exec, exec, s[2:3]
	v_mul_u32_u24_e32 v43, 14, v0
                                        ; implicit-def: $vgpr10
	s_and_saveexec_b64 s[2:3], s[26:27]
	s_cbranch_execz .LBB120_47
; %bb.46:
	v_mov_b32_e32 v18, s47
	v_add_co_u32_e32 v10, vcc, s7, v11
	v_addc_co_u32_e32 v11, vcc, 0, v18, vcc
	flat_load_dword v10, v[10:11]
.LBB120_47:
	s_or_b64 exec, exec, s[2:3]
	s_mov_b32 s8, 0
	s_mov_b32 s9, s8
	s_waitcnt vmcnt(0) lgkmcnt(0)
	ds_write2st64_b32 v12, v13, v14 offset1:4
	ds_write2st64_b32 v12, v15, v16 offset0:8 offset1:12
	ds_write2st64_b32 v12, v17, v2 offset0:16 offset1:20
	;; [unrolled: 1-line block ×6, first 2 shown]
	s_mov_b32 s10, s8
	s_mov_b32 s11, s8
	;; [unrolled: 1-line block ×6, first 2 shown]
	v_pk_mov_b32 v[2:3], s[8:9], s[8:9] op_sel:[0,1]
	v_pk_mov_b32 v[8:9], s[14:15], s[14:15] op_sel:[0,1]
	;; [unrolled: 1-line block ×6, first 2 shown]
	v_cmp_gt_u32_e32 vcc, s54, v43
	s_mov_b64 s[2:3], 0
	v_pk_mov_b32 v[38:39], 0, 0
	s_mov_b64 s[18:19], 0
	v_pk_mov_b32 v[14:15], v[6:7], v[6:7] op_sel:[0,1]
	v_pk_mov_b32 v[12:13], v[4:5], v[4:5] op_sel:[0,1]
	;; [unrolled: 1-line block ×6, first 2 shown]
	s_waitcnt lgkmcnt(0)
	s_barrier
	s_waitcnt lgkmcnt(0)
                                        ; implicit-def: $sgpr16_sgpr17
                                        ; implicit-def: $vgpr34
	s_and_saveexec_b64 s[4:5], vcc
	s_cbranch_execz .LBB120_75
; %bb.48:
	ds_read_b32 v2, v42
	v_mov_b32_e32 v4, s56
	v_cmp_eq_u32_e32 vcc, 0, v35
	v_or_b32_e32 v3, 1, v43
                                        ; implicit-def: $vgpr34
	s_waitcnt lgkmcnt(0)
	v_cndmask_b32_e32 v38, v4, v2, vcc
	v_cmp_ne_u32_e32 vcc, 0, v35
	v_cndmask_b32_e64 v39, 0, 1, vcc
	v_cmp_gt_u32_e32 vcc, s54, v3
	v_pk_mov_b32 v[2:3], s[8:9], s[8:9] op_sel:[0,1]
	v_pk_mov_b32 v[8:9], s[14:15], s[14:15] op_sel:[0,1]
	;; [unrolled: 1-line block ×12, first 2 shown]
                                        ; implicit-def: $sgpr8_sgpr9
	s_and_saveexec_b64 s[16:17], vcc
	s_cbranch_execz .LBB120_74
; %bb.49:
	ds_read2_b32 v[34:35], v42 offset0:1 offset1:2
	s_mov_b32 s8, 0
	v_mov_b32_e32 v3, s56
	v_cmp_eq_u32_e32 vcc, 0, v36
	s_mov_b32 s14, s8
	s_mov_b32 s15, s8
	v_add_u32_e32 v2, 2, v43
	s_waitcnt lgkmcnt(0)
	v_cndmask_b32_e32 v8, v3, v34, vcc
	v_cmp_ne_u32_e32 vcc, 0, v36
	s_mov_b32 s9, s8
	s_mov_b32 s10, s8
	;; [unrolled: 1-line block ×5, first 2 shown]
	v_pk_mov_b32 v[16:17], s[14:15], s[14:15] op_sel:[0,1]
	v_cndmask_b32_e64 v9, 0, 1, vcc
	v_cmp_gt_u32_e32 vcc, s54, v2
	v_mov_b32_e32 v2, 0
	v_pk_mov_b32 v[14:15], s[12:13], s[12:13] op_sel:[0,1]
	v_pk_mov_b32 v[12:13], s[10:11], s[10:11] op_sel:[0,1]
	;; [unrolled: 1-line block ×4, first 2 shown]
	v_mov_b32_e32 v3, v2
	v_mov_b32_e32 v4, v2
	;; [unrolled: 1-line block ×5, first 2 shown]
	s_mov_b64 s[20:21], 0
	v_pk_mov_b32 v[22:23], v[14:15], v[14:15] op_sel:[0,1]
	v_pk_mov_b32 v[20:21], v[12:13], v[12:13] op_sel:[0,1]
	;; [unrolled: 1-line block ×3, first 2 shown]
                                        ; implicit-def: $sgpr24_sgpr25
                                        ; implicit-def: $vgpr34
	s_and_saveexec_b64 s[18:19], vcc
	s_cbranch_execz .LBB120_73
; %bb.50:
	v_mov_b32_e32 v4, s56
	v_cmp_eq_u32_e32 vcc, 0, v37
	v_pk_mov_b32 v[16:17], s[14:15], s[14:15] op_sel:[0,1]
	v_add_u32_e32 v3, 3, v43
	v_cndmask_b32_e32 v6, v4, v35, vcc
	v_cmp_ne_u32_e32 vcc, 0, v37
	v_pk_mov_b32 v[14:15], s[12:13], s[12:13] op_sel:[0,1]
	v_pk_mov_b32 v[12:13], s[10:11], s[10:11] op_sel:[0,1]
	;; [unrolled: 1-line block ×4, first 2 shown]
	v_cndmask_b32_e64 v7, 0, 1, vcc
	v_cmp_gt_u32_e32 vcc, s54, v3
	v_mov_b32_e32 v3, v2
	v_mov_b32_e32 v4, v2
	;; [unrolled: 1-line block ×3, first 2 shown]
	s_mov_b64 s[22:23], 0
	v_pk_mov_b32 v[22:23], v[14:15], v[14:15] op_sel:[0,1]
	v_pk_mov_b32 v[20:21], v[12:13], v[12:13] op_sel:[0,1]
	;; [unrolled: 1-line block ×3, first 2 shown]
                                        ; implicit-def: $sgpr8_sgpr9
                                        ; implicit-def: $vgpr34
	s_and_saveexec_b64 s[20:21], vcc
	s_cbranch_execz .LBB120_72
; %bb.51:
	ds_read2_b32 v[34:35], v42 offset0:3 offset1:4
	s_mov_b32 s8, 0
	s_mov_b32 s14, s8
	;; [unrolled: 1-line block ×3, first 2 shown]
	v_mov_b32_e32 v3, s56
	v_cmp_eq_u32_e32 vcc, 0, v30
	s_mov_b32 s9, s8
	s_mov_b32 s10, s8
	;; [unrolled: 1-line block ×5, first 2 shown]
	v_pk_mov_b32 v[16:17], s[14:15], s[14:15] op_sel:[0,1]
	v_add_u32_e32 v2, 4, v43
	s_waitcnt lgkmcnt(0)
	v_cndmask_b32_e32 v4, v3, v34, vcc
	v_cmp_ne_u32_e32 vcc, 0, v30
	v_pk_mov_b32 v[14:15], s[12:13], s[12:13] op_sel:[0,1]
	v_pk_mov_b32 v[12:13], s[10:11], s[10:11] op_sel:[0,1]
	;; [unrolled: 1-line block ×4, first 2 shown]
	v_cndmask_b32_e64 v5, 0, 1, vcc
	v_cmp_gt_u32_e32 vcc, s54, v2
	v_mov_b32_e32 v2, s8
	v_mov_b32_e32 v3, s8
	s_mov_b64 s[24:25], 0
	v_pk_mov_b32 v[22:23], v[14:15], v[14:15] op_sel:[0,1]
	v_pk_mov_b32 v[20:21], v[12:13], v[12:13] op_sel:[0,1]
	;; [unrolled: 1-line block ×3, first 2 shown]
                                        ; implicit-def: $sgpr26_sgpr27
                                        ; implicit-def: $vgpr34
	s_and_saveexec_b64 s[22:23], vcc
	s_cbranch_execz .LBB120_71
; %bb.52:
	v_mov_b32_e32 v2, s56
	v_cmp_eq_u32_e32 vcc, 0, v31
	v_add_u32_e32 v10, 5, v43
	v_cndmask_b32_e32 v2, v2, v35, vcc
	v_cmp_ne_u32_e32 vcc, 0, v31
	v_cndmask_b32_e64 v3, 0, 1, vcc
	v_cmp_gt_u32_e32 vcc, s54, v10
	v_pk_mov_b32 v[16:17], s[14:15], s[14:15] op_sel:[0,1]
	v_pk_mov_b32 v[14:15], s[12:13], s[12:13] op_sel:[0,1]
	;; [unrolled: 1-line block ×5, first 2 shown]
	s_mov_b64 s[28:29], 0
	v_pk_mov_b32 v[22:23], v[14:15], v[14:15] op_sel:[0,1]
	v_pk_mov_b32 v[20:21], v[12:13], v[12:13] op_sel:[0,1]
	;; [unrolled: 1-line block ×3, first 2 shown]
                                        ; implicit-def: $sgpr8_sgpr9
                                        ; implicit-def: $vgpr34
	s_and_saveexec_b64 s[24:25], vcc
	s_cbranch_execz .LBB120_70
; %bb.53:
	ds_read2_b32 v[30:31], v42 offset0:5 offset1:6
	s_mov_b32 s8, 0
	v_mov_b32_e32 v11, s56
	v_cmp_eq_u32_e32 vcc, 0, v32
	v_add_u32_e32 v10, 6, v43
	s_waitcnt lgkmcnt(0)
	v_cndmask_b32_e32 v16, v11, v30, vcc
	v_cmp_ne_u32_e32 vcc, 0, v32
	s_mov_b32 s14, s8
	s_mov_b32 s15, s8
	v_cndmask_b32_e64 v17, 0, 1, vcc
	v_cmp_gt_u32_e32 vcc, s54, v10
	v_mov_b32_e32 v10, 0
	s_mov_b32 s9, s8
	s_mov_b32 s10, s8
	;; [unrolled: 1-line block ×5, first 2 shown]
	v_pk_mov_b32 v[24:25], s[14:15], s[14:15] op_sel:[0,1]
	v_mov_b32_e32 v11, v10
	v_mov_b32_e32 v12, v10
	v_mov_b32_e32 v13, v10
	v_mov_b32_e32 v14, v10
	v_mov_b32_e32 v15, v10
	v_pk_mov_b32 v[22:23], s[12:13], s[12:13] op_sel:[0,1]
	v_pk_mov_b32 v[20:21], s[10:11], s[10:11] op_sel:[0,1]
	;; [unrolled: 1-line block ×3, first 2 shown]
                                        ; implicit-def: $sgpr40_sgpr41
                                        ; implicit-def: $vgpr34
	s_and_saveexec_b64 s[26:27], vcc
	s_cbranch_execz .LBB120_69
; %bb.54:
	v_mov_b32_e32 v12, s56
	v_cmp_eq_u32_e32 vcc, 0, v33
	v_add_u32_e32 v11, 7, v43
	v_cndmask_b32_e32 v14, v12, v31, vcc
	v_cmp_ne_u32_e32 vcc, 0, v33
	v_pk_mov_b32 v[24:25], s[14:15], s[14:15] op_sel:[0,1]
	v_cndmask_b32_e64 v15, 0, 1, vcc
	v_cmp_gt_u32_e32 vcc, s54, v11
	v_mov_b32_e32 v11, v10
	v_mov_b32_e32 v12, v10
	;; [unrolled: 1-line block ×3, first 2 shown]
	s_mov_b64 s[30:31], 0
	v_pk_mov_b32 v[22:23], s[12:13], s[12:13] op_sel:[0,1]
	v_pk_mov_b32 v[20:21], s[10:11], s[10:11] op_sel:[0,1]
	;; [unrolled: 1-line block ×3, first 2 shown]
                                        ; implicit-def: $sgpr8_sgpr9
                                        ; implicit-def: $vgpr34
	s_and_saveexec_b64 s[28:29], vcc
	s_cbranch_execz .LBB120_68
; %bb.55:
	ds_read2_b32 v[30:31], v42 offset0:7 offset1:8
	s_mov_b32 s8, 0
	v_mov_b32_e32 v11, s56
	v_cmp_eq_u32_e32 vcc, 0, v26
	s_mov_b32 s14, s8
	s_mov_b32 s15, s8
	v_add_u32_e32 v10, 8, v43
	s_waitcnt lgkmcnt(0)
	v_cndmask_b32_e32 v12, v11, v30, vcc
	v_cmp_ne_u32_e32 vcc, 0, v26
	s_mov_b32 s9, s8
	s_mov_b32 s10, s8
	;; [unrolled: 1-line block ×5, first 2 shown]
	v_pk_mov_b32 v[24:25], s[14:15], s[14:15] op_sel:[0,1]
	v_cndmask_b32_e64 v13, 0, 1, vcc
	v_cmp_gt_u32_e32 vcc, s54, v10
	v_mov_b32_e32 v10, s8
	v_mov_b32_e32 v11, s8
	s_mov_b64 s[40:41], 0
	v_pk_mov_b32 v[22:23], s[12:13], s[12:13] op_sel:[0,1]
	v_pk_mov_b32 v[20:21], s[10:11], s[10:11] op_sel:[0,1]
	;; [unrolled: 1-line block ×3, first 2 shown]
                                        ; implicit-def: $sgpr48_sgpr49
                                        ; implicit-def: $vgpr34
	s_and_saveexec_b64 s[30:31], vcc
	s_cbranch_execz .LBB120_67
; %bb.56:
	v_mov_b32_e32 v10, s56
	v_cmp_eq_u32_e32 vcc, 0, v27
	v_add_u32_e32 v18, 9, v43
	v_cndmask_b32_e32 v10, v10, v31, vcc
	v_cmp_ne_u32_e32 vcc, 0, v27
	v_cndmask_b32_e64 v11, 0, 1, vcc
	v_cmp_gt_u32_e32 vcc, s54, v18
	v_pk_mov_b32 v[24:25], s[14:15], s[14:15] op_sel:[0,1]
	v_pk_mov_b32 v[22:23], s[12:13], s[12:13] op_sel:[0,1]
	;; [unrolled: 1-line block ×4, first 2 shown]
                                        ; implicit-def: $sgpr10_sgpr11
                                        ; implicit-def: $vgpr34
	s_and_saveexec_b64 s[8:9], vcc
	s_cbranch_execz .LBB120_66
; %bb.57:
	ds_read2_b32 v[26:27], v42 offset0:9 offset1:10
	v_mov_b32_e32 v18, s56
	v_cmp_eq_u32_e32 vcc, 0, v28
	v_add_u32_e32 v20, 10, v43
	v_mov_b32_e32 v22, 0
	s_waitcnt lgkmcnt(0)
	v_cndmask_b32_e32 v18, v18, v26, vcc
	v_cmp_ne_u32_e32 vcc, 0, v28
	v_cndmask_b32_e64 v19, 0, 1, vcc
	v_cmp_gt_u32_e32 vcc, s54, v20
	v_mov_b32_e32 v20, v22
	v_mov_b32_e32 v21, v22
	v_mov_b32_e32 v23, v22
	v_mov_b32_e32 v24, v22
	v_mov_b32_e32 v25, v22
	s_mov_b64 s[12:13], 0
                                        ; implicit-def: $sgpr40_sgpr41
                                        ; implicit-def: $vgpr34
	s_and_saveexec_b64 s[10:11], vcc
	s_cbranch_execz .LBB120_65
; %bb.58:
	v_mov_b32_e32 v20, s56
	v_cmp_eq_u32_e32 vcc, 0, v29
	v_add_u32_e32 v23, 11, v43
	v_cndmask_b32_e32 v20, v20, v27, vcc
	v_cmp_ne_u32_e32 vcc, 0, v29
	v_cndmask_b32_e64 v21, 0, 1, vcc
	v_cmp_gt_u32_e32 vcc, s54, v23
	v_mov_b32_e32 v23, v22
	v_mov_b32_e32 v24, v22
	;; [unrolled: 1-line block ×3, first 2 shown]
	s_mov_b64 s[14:15], 0
                                        ; implicit-def: $sgpr48_sgpr49
                                        ; implicit-def: $vgpr34
	s_and_saveexec_b64 s[12:13], vcc
	s_cbranch_execz .LBB120_64
; %bb.59:
	ds_read2_b32 v[26:27], v42 offset0:11 offset1:12
	v_mov_b32_e32 v22, s56
	v_cmp_eq_u32_e32 vcc, 0, v40
	v_add_u32_e32 v24, 12, v43
	s_mov_b32 s14, 0
	s_waitcnt lgkmcnt(0)
	v_cndmask_b32_e32 v22, v22, v26, vcc
	v_cmp_ne_u32_e32 vcc, 0, v40
	v_cndmask_b32_e64 v23, 0, 1, vcc
	v_cmp_gt_u32_e32 vcc, s54, v24
	v_mov_b32_e32 v24, s14
	v_mov_b32_e32 v25, s14
	s_mov_b64 s[40:41], 0
                                        ; implicit-def: $sgpr48_sgpr49
                                        ; implicit-def: $vgpr34
	s_and_saveexec_b64 s[14:15], vcc
	s_cbranch_execz .LBB120_63
; %bb.60:
	v_mov_b32_e32 v24, s56
	v_cmp_eq_u32_e32 vcc, 0, v41
	v_add_u32_e32 v26, 13, v43
	v_cndmask_b32_e32 v24, v24, v27, vcc
	v_cmp_ne_u32_e32 vcc, 0, v41
	v_cndmask_b32_e64 v25, 0, 1, vcc
	v_cmp_gt_u32_e32 vcc, s54, v26
                                        ; implicit-def: $sgpr48_sgpr49
                                        ; implicit-def: $vgpr34
	s_and_saveexec_b64 s[54:55], vcc
	s_xor_b64 s[54:55], exec, s[54:55]
	s_cbranch_execz .LBB120_62
; %bb.61:
	ds_read_b32 v26, v42 offset:52
	v_mov_b32_e32 v27, s56
	v_cmp_ne_u32_e32 vcc, 0, v1
	s_mov_b64 s[40:41], exec
	s_and_b64 s[48:49], vcc, exec
	s_waitcnt lgkmcnt(0)
	v_cndmask_b32_e32 v34, v26, v27, vcc
.LBB120_62:
	s_or_b64 exec, exec, s[54:55]
	s_and_b64 s[48:49], s[48:49], exec
	s_and_b64 s[40:41], s[40:41], exec
.LBB120_63:
	s_or_b64 exec, exec, s[14:15]
	s_and_b64 s[48:49], s[48:49], exec
	s_and_b64 s[14:15], s[40:41], exec
.LBB120_64:
	s_or_b64 exec, exec, s[12:13]
	s_and_b64 s[40:41], s[48:49], exec
	s_and_b64 s[12:13], s[14:15], exec
.LBB120_65:
	s_or_b64 exec, exec, s[10:11]
	s_and_b64 s[10:11], s[40:41], exec
	s_and_b64 s[40:41], s[12:13], exec
.LBB120_66:
	s_or_b64 exec, exec, s[8:9]
	s_and_b64 s[48:49], s[10:11], exec
	s_and_b64 s[40:41], s[40:41], exec
.LBB120_67:
	s_or_b64 exec, exec, s[30:31]
	s_and_b64 s[8:9], s[48:49], exec
	s_and_b64 s[30:31], s[40:41], exec
.LBB120_68:
	s_or_b64 exec, exec, s[28:29]
	s_and_b64 s[40:41], s[8:9], exec
	s_and_b64 s[28:29], s[30:31], exec
.LBB120_69:
	s_or_b64 exec, exec, s[26:27]
	s_and_b64 s[8:9], s[40:41], exec
	s_and_b64 s[28:29], s[28:29], exec
.LBB120_70:
	s_or_b64 exec, exec, s[24:25]
	s_and_b64 s[26:27], s[8:9], exec
	s_and_b64 s[24:25], s[28:29], exec
.LBB120_71:
	s_or_b64 exec, exec, s[22:23]
	s_and_b64 s[8:9], s[26:27], exec
	s_and_b64 s[22:23], s[24:25], exec
.LBB120_72:
	s_or_b64 exec, exec, s[20:21]
	s_and_b64 s[24:25], s[8:9], exec
	s_and_b64 s[20:21], s[22:23], exec
.LBB120_73:
	s_or_b64 exec, exec, s[18:19]
	s_and_b64 s[8:9], s[24:25], exec
	s_and_b64 s[18:19], s[20:21], exec
.LBB120_74:
	s_or_b64 exec, exec, s[16:17]
	s_and_b64 s[16:17], s[8:9], exec
	s_and_b64 s[18:19], s[18:19], exec
.LBB120_75:
	s_or_b64 exec, exec, s[4:5]
	s_and_b64 vcc, exec, s[2:3]
	v_lshlrev_b32_e32 v50, 2, v0
	s_cbranch_vccnz .LBB120_77
	s_branch .LBB120_82
.LBB120_76:
	s_mov_b64 s[18:19], 0
                                        ; implicit-def: $sgpr16_sgpr17
                                        ; implicit-def: $vgpr2_vgpr3_vgpr4_vgpr5_vgpr6_vgpr7_vgpr8_vgpr9
                                        ; implicit-def: $vgpr10_vgpr11_vgpr12_vgpr13_vgpr14_vgpr15_vgpr16_vgpr17
                                        ; implicit-def: $vgpr18_vgpr19_vgpr20_vgpr21_vgpr22_vgpr23_vgpr24_vgpr25
                                        ; implicit-def: $vgpr34
                                        ; implicit-def: $vgpr38_vgpr39
	s_and_b64 vcc, exec, s[2:3]
	v_lshlrev_b32_e32 v50, 2, v0
	s_cbranch_vccz .LBB120_82
.LBB120_77:
	v_mov_b32_e32 v1, s39
	v_add_co_u32_e32 v2, vcc, s38, v50
	v_addc_co_u32_e32 v3, vcc, 0, v1, vcc
	v_add_co_u32_e32 v4, vcc, 0x1000, v2
	v_addc_co_u32_e32 v5, vcc, 0, v3, vcc
	flat_load_dword v1, v[2:3]
	flat_load_dword v6, v[2:3] offset:1024
	flat_load_dword v7, v[2:3] offset:2048
	;; [unrolled: 1-line block ×3, first 2 shown]
	flat_load_dword v9, v[4:5]
	flat_load_dword v10, v[4:5] offset:1024
	flat_load_dword v11, v[4:5] offset:2048
	;; [unrolled: 1-line block ×3, first 2 shown]
	v_add_co_u32_e32 v4, vcc, 0x2000, v2
	v_addc_co_u32_e32 v5, vcc, 0, v3, vcc
	v_add_co_u32_e32 v2, vcc, 0x3000, v2
	v_addc_co_u32_e32 v3, vcc, 0, v3, vcc
	flat_load_dword v13, v[4:5]
	flat_load_dword v14, v[4:5] offset:1024
	flat_load_dword v15, v[4:5] offset:2048
	;; [unrolled: 1-line block ×3, first 2 shown]
	flat_load_dword v17, v[2:3]
	flat_load_dword v18, v[2:3] offset:1024
	v_mov_b32_e32 v2, s38
	v_mov_b32_e32 v3, s39
	v_add_co_u32_e32 v2, vcc, 0x3000, v2
	v_addc_co_u32_e32 v3, vcc, 0, v3, vcc
	s_movk_i32 s4, 0xffcc
	s_movk_i32 s9, 0x1000
	s_mov_b32 s2, 0
	s_movk_i32 s8, 0x2000
	s_movk_i32 s3, 0x3000
	s_waitcnt vmcnt(0) lgkmcnt(0)
	ds_write2st64_b32 v50, v1, v6 offset1:4
	ds_write2st64_b32 v50, v7, v8 offset0:8 offset1:12
	ds_write2st64_b32 v50, v9, v10 offset0:16 offset1:20
	;; [unrolled: 1-line block ×6, first 2 shown]
	s_waitcnt lgkmcnt(0)
	s_barrier
	flat_load_dword v1, v[2:3] offset:2048
	v_mad_u32_u24 v8, v0, 52, v50
	ds_read_b64 v[2:3], v8
	ds_read2_b64 v[10:13], v8 offset0:1 offset1:2
	ds_read2_b64 v[18:21], v8 offset0:3 offset1:4
	;; [unrolled: 1-line block ×3, first 2 shown]
	v_mad_i32_i24 v4, v0, s4, v8
	s_movk_i32 s4, 0xff
	v_cmp_ne_u32_e32 vcc, s4, v0
	s_waitcnt lgkmcnt(0)
	ds_write_b32 v4, v2 offset:15360
	s_waitcnt lgkmcnt(0)
	s_barrier
	s_and_saveexec_b64 s[4:5], vcc
	s_cbranch_execz .LBB120_79
; %bb.78:
	s_waitcnt vmcnt(0)
	ds_read_b32 v1, v50 offset:15364
.LBB120_79:
	s_or_b64 exec, exec, s[4:5]
	v_mov_b32_e32 v2, s47
	v_add_co_u32_e32 v4, vcc, s7, v50
	v_addc_co_u32_e32 v5, vcc, 0, v2, vcc
	v_add_co_u32_e32 v6, vcc, s9, v4
	v_addc_co_u32_e32 v7, vcc, 0, v5, vcc
	s_waitcnt lgkmcnt(0)
	s_barrier
	flat_load_dword v2, v[4:5]
	flat_load_dword v9, v[4:5] offset:1024
	flat_load_dword v14, v[4:5] offset:2048
	;; [unrolled: 1-line block ×3, first 2 shown]
	flat_load_dword v16, v[6:7]
	flat_load_dword v17, v[6:7] offset:1024
	flat_load_dword v22, v[6:7] offset:2048
	flat_load_dword v23, v[6:7] offset:3072
	v_add_co_u32_e32 v6, vcc, s8, v4
	v_addc_co_u32_e32 v7, vcc, 0, v5, vcc
	v_add_co_u32_e32 v4, vcc, s3, v4
	v_addc_co_u32_e32 v5, vcc, 0, v5, vcc
	flat_load_dword v24, v[6:7]
	flat_load_dword v25, v[6:7] offset:1024
	flat_load_dword v30, v[6:7] offset:2048
	;; [unrolled: 1-line block ×3, first 2 shown]
	flat_load_dword v32, v[4:5]
	flat_load_dword v33, v[4:5] offset:1024
	s_mov_b32 s3, 1
	v_cmp_eq_u32_e32 vcc, 0, v3
	v_pk_mov_b32 v[38:39], s[2:3], s[2:3] op_sel:[0,1]
	s_waitcnt vmcnt(0) lgkmcnt(0)
	ds_write2st64_b32 v50, v2, v9 offset1:4
	ds_write2st64_b32 v50, v14, v15 offset0:8 offset1:12
	ds_write2st64_b32 v50, v16, v17 offset0:16 offset1:20
	;; [unrolled: 1-line block ×6, first 2 shown]
	s_waitcnt lgkmcnt(0)
	s_barrier
	ds_read2_b32 v[24:25], v8 offset0:7 offset1:8
	ds_read2_b32 v[14:15], v8 offset0:5 offset1:6
	;; [unrolled: 1-line block ×4, first 2 shown]
	ds_read_b32 v32, v8 offset:52
	ds_read2_b32 v[22:23], v8 offset0:11 offset1:12
	ds_read2_b32 v[30:31], v8 offset0:9 offset1:10
	v_mov_b32_e32 v2, s56
	s_and_saveexec_b64 s[2:3], vcc
	s_cbranch_execz .LBB120_81
; %bb.80:
	ds_read_b32 v2, v8
	v_pk_mov_b32 v[38:39], 0, 0
.LBB120_81:
	s_or_b64 exec, exec, s[2:3]
	v_mov_b32_e32 v33, s56
	v_cmp_eq_u32_e32 vcc, 0, v10
	s_waitcnt lgkmcnt(3)
	v_cndmask_b32_e32 v8, v33, v6, vcc
	v_cmp_eq_u32_e32 vcc, 0, v11
	v_cndmask_b32_e32 v6, v33, v7, vcc
	v_cmp_eq_u32_e32 vcc, 0, v12
	v_cndmask_b32_e32 v4, v33, v4, vcc
	v_cmp_eq_u32_e32 vcc, 0, v13
	s_waitcnt lgkmcnt(0)
	v_or_b32_e32 v38, v38, v2
	v_cndmask_b32_e32 v2, v33, v5, vcc
	v_cmp_ne_u32_e32 vcc, 0, v10
	v_cndmask_b32_e64 v9, 0, 1, vcc
	v_cmp_ne_u32_e32 vcc, 0, v11
	v_cndmask_b32_e64 v7, 0, 1, vcc
	;; [unrolled: 2-line block ×4, first 2 shown]
	v_cmp_eq_u32_e32 vcc, 0, v18
	v_cndmask_b32_e32 v16, v33, v14, vcc
	v_cmp_eq_u32_e32 vcc, 0, v19
	v_cndmask_b32_e32 v14, v33, v15, vcc
	;; [unrolled: 2-line block ×4, first 2 shown]
	v_cmp_ne_u32_e32 vcc, 0, v18
	v_cndmask_b32_e64 v17, 0, 1, vcc
	v_cmp_ne_u32_e32 vcc, 0, v19
	v_cndmask_b32_e64 v15, 0, 1, vcc
	;; [unrolled: 2-line block ×4, first 2 shown]
	v_cmp_eq_u32_e32 vcc, 0, v29
	v_cndmask_b32_e32 v24, v33, v23, vcc
	v_cmp_eq_u32_e32 vcc, 0, v28
	v_cndmask_b32_e32 v22, v33, v22, vcc
	;; [unrolled: 2-line block ×4, first 2 shown]
	v_cmp_ne_u32_e32 vcc, 0, v29
	v_cndmask_b32_e64 v25, 0, 1, vcc
	v_cmp_ne_u32_e32 vcc, 0, v28
	v_cndmask_b32_e64 v23, 0, 1, vcc
	;; [unrolled: 2-line block ×3, first 2 shown]
	v_cmp_ne_u32_e32 vcc, 0, v26
	v_cmp_ne_u32_e64 s[16:17], 0, v1
	v_cndmask_b32_e64 v19, 0, 1, vcc
	v_cndmask_b32_e64 v34, v32, v33, s[16:17]
	s_mov_b64 s[18:19], -1
                                        ; implicit-def: $sgpr2_sgpr3
.LBB120_82:
	v_pk_mov_b32 v[40:41], s[2:3], s[2:3] op_sel:[0,1]
	s_and_saveexec_b64 s[2:3], s[18:19]
; %bb.83:
	v_cndmask_b32_e64 v35, 0, 1, s[16:17]
	v_pk_mov_b32 v[40:41], v[34:35], v[34:35] op_sel:[0,1]
; %bb.84:
	s_or_b64 exec, exec, s[2:3]
	s_mov_b32 s26, 0
	s_cmp_lg_u32 s6, 0
	v_mbcnt_lo_u32_b32 v52, -1, 0
	v_lshrrev_b32_e32 v1, 6, v0
	v_or_b32_e32 v51, 63, v0
	s_barrier
	s_cbranch_scc0 .LBB120_125
; %bb.85:
	s_mov_b32 s27, 1
	v_cmp_gt_u64_e64 s[2:3], s[26:27], v[8:9]
	v_cndmask_b32_e64 v27, 0, v38, s[2:3]
	v_add_u32_e32 v27, v27, v8
	v_cmp_gt_u64_e64 s[4:5], s[26:27], v[6:7]
	v_cndmask_b32_e64 v27, 0, v27, s[4:5]
	v_add_u32_e32 v27, v27, v6
	;; [unrolled: 3-line block ×12, first 2 shown]
	v_cmp_gt_u64_e32 vcc, s[26:27], v[40:41]
	v_cndmask_b32_e32 v27, 0, v27, vcc
	v_add_u32_e32 v28, v27, v40
	v_or3_b32 v27, v41, v25, v23
	v_or3_b32 v27, v27, v21, v19
	;; [unrolled: 1-line block ×6, first 2 shown]
	v_mov_b32_e32 v26, 0
	v_and_b32_e32 v27, 1, v27
	v_cmp_eq_u64_e32 vcc, 0, v[26:27]
	v_cndmask_b32_e32 v27, 1, v39, vcc
	v_and_b32_e32 v29, 0xff, v27
	v_mov_b32_dpp v31, v28 row_shr:1 row_mask:0xf bank_mask:0xf
	v_cmp_eq_u16_e32 vcc, 0, v29
	v_mov_b32_dpp v32, v29 row_shr:1 row_mask:0xf bank_mask:0xf
	v_and_b32_e32 v33, 1, v27
	v_mbcnt_hi_u32_b32 v46, -1, v52
	v_cndmask_b32_e32 v31, 0, v31, vcc
	v_and_b32_e32 v32, 1, v32
	v_cmp_eq_u32_e32 vcc, 1, v33
	v_and_b32_e32 v30, 15, v46
	v_cndmask_b32_e64 v32, v32, 1, vcc
	v_and_b32_e32 v33, 0xffff, v32
	v_cmp_eq_u32_e32 vcc, 0, v30
	v_cndmask_b32_e32 v27, v32, v27, vcc
	v_cndmask_b32_e32 v29, v33, v29, vcc
	v_and_b32_e32 v33, 1, v27
	v_cndmask_b32_e64 v31, v31, 0, vcc
	v_mov_b32_dpp v32, v29 row_shr:2 row_mask:0xf bank_mask:0xf
	v_and_b32_e32 v32, 1, v32
	v_cmp_eq_u32_e32 vcc, 1, v33
	v_cndmask_b32_e64 v32, v32, 1, vcc
	v_and_b32_e32 v33, 0xffff, v32
	v_cmp_lt_u32_e32 vcc, 1, v30
	v_add_u32_e32 v28, v31, v28
	v_cmp_eq_u16_sdwa s[26:27], v27, v26 src0_sel:BYTE_0 src1_sel:DWORD
	v_cndmask_b32_e32 v27, v27, v32, vcc
	v_cndmask_b32_e32 v29, v29, v33, vcc
	v_mov_b32_dpp v31, v28 row_shr:2 row_mask:0xf bank_mask:0xf
	s_and_b64 vcc, vcc, s[26:27]
	v_mov_b32_dpp v32, v29 row_shr:4 row_mask:0xf bank_mask:0xf
	v_and_b32_e32 v33, 1, v27
	v_cndmask_b32_e32 v31, 0, v31, vcc
	v_and_b32_e32 v32, 1, v32
	v_cmp_eq_u32_e32 vcc, 1, v33
	v_cndmask_b32_e64 v32, v32, 1, vcc
	v_and_b32_e32 v33, 0xffff, v32
	v_cmp_lt_u32_e32 vcc, 3, v30
	v_add_u32_e32 v28, v31, v28
	v_cmp_eq_u16_sdwa s[26:27], v27, v26 src0_sel:BYTE_0 src1_sel:DWORD
	v_cndmask_b32_e32 v27, v27, v32, vcc
	v_cndmask_b32_e32 v29, v29, v33, vcc
	v_mov_b32_dpp v31, v28 row_shr:4 row_mask:0xf bank_mask:0xf
	s_and_b64 vcc, vcc, s[26:27]
	v_mov_b32_dpp v32, v29 row_shr:8 row_mask:0xf bank_mask:0xf
	v_and_b32_e32 v33, 1, v27
	v_cndmask_b32_e32 v31, 0, v31, vcc
	v_and_b32_e32 v32, 1, v32
	v_cmp_eq_u32_e32 vcc, 1, v33
	v_cndmask_b32_e64 v32, v32, 1, vcc
	v_add_u32_e32 v28, v31, v28
	v_cmp_eq_u16_sdwa s[26:27], v27, v26 src0_sel:BYTE_0 src1_sel:DWORD
	v_and_b32_e32 v33, 0xffff, v32
	v_cmp_lt_u32_e32 vcc, 7, v30
	v_mov_b32_dpp v31, v28 row_shr:8 row_mask:0xf bank_mask:0xf
	v_cndmask_b32_e32 v27, v27, v32, vcc
	v_cndmask_b32_e32 v29, v29, v33, vcc
	s_and_b64 vcc, vcc, s[26:27]
	v_cndmask_b32_e32 v30, 0, v31, vcc
	v_add_u32_e32 v28, v30, v28
	v_mov_b32_dpp v31, v29 row_bcast:15 row_mask:0xf bank_mask:0xf
	v_cmp_eq_u16_sdwa vcc, v27, v26 src0_sel:BYTE_0 src1_sel:DWORD
	v_mov_b32_dpp v30, v28 row_bcast:15 row_mask:0xf bank_mask:0xf
	v_and_b32_e32 v34, 1, v27
	v_cndmask_b32_e32 v30, 0, v30, vcc
	v_and_b32_e32 v31, 1, v31
	v_cmp_eq_u32_e32 vcc, 1, v34
	v_and_b32_e32 v33, 16, v46
	v_cndmask_b32_e64 v31, v31, 1, vcc
	v_and_b32_e32 v34, 0xffff, v31
	v_cmp_eq_u32_e32 vcc, 0, v33
	v_cndmask_b32_e32 v27, v31, v27, vcc
	v_cndmask_b32_e32 v29, v34, v29, vcc
	v_bfe_i32 v32, v46, 4, 1
	v_cmp_eq_u16_sdwa s[26:27], v27, v26 src0_sel:BYTE_0 src1_sel:DWORD
	v_mov_b32_dpp v29, v29 row_bcast:31 row_mask:0xf bank_mask:0xf
	v_and_b32_e32 v26, 1, v27
	v_and_b32_e32 v30, v32, v30
	;; [unrolled: 1-line block ×3, first 2 shown]
	v_cmp_eq_u32_e32 vcc, 1, v26
	v_add_u32_e32 v28, v30, v28
	v_cndmask_b32_e64 v26, v29, 1, vcc
	v_cmp_lt_u32_e32 vcc, 31, v46
	v_mov_b32_dpp v30, v28 row_bcast:31 row_mask:0xf bank_mask:0xf
	v_cndmask_b32_e32 v29, v27, v26, vcc
	s_and_b64 vcc, vcc, s[26:27]
	v_cndmask_b32_e32 v26, 0, v30, vcc
	v_add_u32_e32 v28, v26, v28
	v_cmp_eq_u32_e32 vcc, v51, v0
	s_and_saveexec_b64 s[26:27], vcc
	s_cbranch_execz .LBB120_87
; %bb.86:
	v_lshlrev_b32_e32 v26, 3, v1
	ds_write_b32 v26, v28
	ds_write_b8 v26, v29 offset:4
.LBB120_87:
	s_or_b64 exec, exec, s[26:27]
	v_cmp_gt_u32_e32 vcc, 4, v0
	s_waitcnt lgkmcnt(0)
	s_barrier
	s_and_saveexec_b64 s[26:27], vcc
	s_cbranch_execz .LBB120_91
; %bb.88:
	v_lshlrev_b32_e32 v30, 3, v0
	ds_read_b64 v[26:27], v30
	v_and_b32_e32 v31, 3, v46
	v_cmp_ne_u32_e32 vcc, 0, v31
	s_waitcnt lgkmcnt(0)
	v_mov_b32_dpp v32, v26 row_shr:1 row_mask:0xf bank_mask:0xf
	v_mov_b32_dpp v34, v27 row_shr:1 row_mask:0xf bank_mask:0xf
	v_mov_b32_e32 v33, v27
	s_and_saveexec_b64 s[30:31], vcc
	s_cbranch_execz .LBB120_90
; %bb.89:
	v_and_b32_e32 v33, 1, v27
	v_and_b32_e32 v34, 1, v34
	v_cmp_eq_u32_e32 vcc, 1, v33
	v_mov_b32_e32 v33, 0
	v_cndmask_b32_e64 v34, v34, 1, vcc
	v_cmp_eq_u16_sdwa vcc, v27, v33 src0_sel:BYTE_0 src1_sel:DWORD
	v_cndmask_b32_e32 v32, 0, v32, vcc
	v_add_u32_e32 v26, v32, v26
	v_and_b32_e32 v32, 0xffff, v34
	s_movk_i32 s7, 0xff00
	v_and_or_b32 v33, v27, s7, v32
	v_mov_b32_e32 v27, v34
.LBB120_90:
	s_or_b64 exec, exec, s[30:31]
	v_mov_b32_dpp v33, v33 row_shr:2 row_mask:0xf bank_mask:0xf
	v_and_b32_e32 v34, 1, v27
	v_and_b32_e32 v33, 1, v33
	v_cmp_eq_u32_e32 vcc, 1, v34
	v_mov_b32_e32 v34, 0
	v_cndmask_b32_e64 v33, v33, 1, vcc
	v_cmp_eq_u16_sdwa s[30:31], v27, v34 src0_sel:BYTE_0 src1_sel:DWORD
	v_cmp_lt_u32_e32 vcc, 1, v31
	v_mov_b32_dpp v32, v26 row_shr:2 row_mask:0xf bank_mask:0xf
	v_cndmask_b32_e32 v27, v27, v33, vcc
	s_and_b64 vcc, vcc, s[30:31]
	v_cndmask_b32_e32 v31, 0, v32, vcc
	v_add_u32_e32 v26, v31, v26
	ds_write_b32 v30, v26
	ds_write_b8 v30, v27 offset:4
.LBB120_91:
	s_or_b64 exec, exec, s[26:27]
	v_cmp_gt_u32_e32 vcc, 64, v0
	v_cmp_lt_u32_e64 s[26:27], 63, v0
	v_mov_b32_e32 v42, 0
	v_mov_b32_e32 v43, 0
	s_waitcnt lgkmcnt(0)
	s_barrier
	s_and_saveexec_b64 s[30:31], s[26:27]
	s_cbranch_execz .LBB120_93
; %bb.92:
	v_lshl_add_u32 v26, v1, 3, -8
	ds_read_b32 v42, v26
	ds_read_u8 v43, v26 offset:4
	v_mov_b32_e32 v27, 0
	v_and_b32_e32 v30, 1, v29
	v_cmp_eq_u16_sdwa s[26:27], v29, v27 src0_sel:BYTE_0 src1_sel:DWORD
	s_waitcnt lgkmcnt(1)
	v_cndmask_b32_e64 v26, 0, v42, s[26:27]
	v_cmp_eq_u32_e64 s[26:27], 1, v30
	v_add_u32_e32 v28, v26, v28
	s_waitcnt lgkmcnt(0)
	v_cndmask_b32_e64 v29, v43, 1, s[26:27]
.LBB120_93:
	s_or_b64 exec, exec, s[30:31]
	v_and_b32_e32 v26, 0xff, v29
	v_add_u32_e32 v27, -1, v46
	v_and_b32_e32 v29, 64, v46
	v_cmp_lt_i32_e64 s[26:27], v27, v29
	v_cndmask_b32_e64 v27, v27, v46, s[26:27]
	v_lshlrev_b32_e32 v27, 2, v27
	ds_bpermute_b32 v44, v27, v28
	ds_bpermute_b32 v45, v27, v26
	v_cmp_eq_u32_e64 s[26:27], 0, v46
	s_and_saveexec_b64 s[38:39], vcc
	s_cbranch_execz .LBB120_112
; %bb.94:
	v_mov_b32_e32 v29, 0
	ds_read_b64 v[26:27], v29 offset:24
	s_waitcnt lgkmcnt(0)
	v_readfirstlane_b32 s7, v27
	s_and_saveexec_b64 s[30:31], s[26:27]
	s_cbranch_execz .LBB120_96
; %bb.95:
	s_add_i32 s40, s6, 64
	s_mov_b32 s41, 0
	s_lshl_b64 s[48:49], s[40:41], 4
	s_add_u32 s48, s44, s48
	s_addc_u32 s49, s45, s49
	s_and_b32 s55, s7, 0xff000000
	s_mov_b32 s54, s41
	s_and_b32 s59, s7, 0xff0000
	s_mov_b32 s58, s41
	s_or_b64 s[54:55], s[58:59], s[54:55]
	s_and_b32 s59, s7, 0xff00
	s_or_b64 s[54:55], s[54:55], s[58:59]
	s_and_b32 s59, s7, 0xff
	s_or_b64 s[40:41], s[54:55], s[58:59]
	v_mov_b32_e32 v27, s41
	v_mov_b32_e32 v28, 1
	v_pk_mov_b32 v[30:31], s[48:49], s[48:49] op_sel:[0,1]
	;;#ASMSTART
	global_store_dwordx4 v[30:31], v[26:29] off	
s_waitcnt vmcnt(0)
	;;#ASMEND
.LBB120_96:
	s_or_b64 exec, exec, s[30:31]
	v_xad_u32 v34, v46, -1, s6
	v_add_u32_e32 v28, 64, v34
	v_lshlrev_b64 v[30:31], 4, v[28:29]
	v_mov_b32_e32 v27, s45
	v_add_co_u32_e32 v36, vcc, s44, v30
	v_addc_co_u32_e32 v37, vcc, v27, v31, vcc
	;;#ASMSTART
	global_load_dwordx4 v[30:33], v[36:37] off glc	
s_waitcnt vmcnt(0)
	;;#ASMEND
	v_and_b32_e32 v27, 0xff0000, v30
	v_or_b32_sdwa v27, v30, v27 dst_sel:DWORD dst_unused:UNUSED_PAD src0_sel:WORD_0 src1_sel:DWORD
	v_and_b32_e32 v28, 0xff000000, v30
	v_and_b32_e32 v30, 0xff, v31
	v_or3_b32 v31, 0, 0, v30
	v_or3_b32 v30, v27, v28, 0
	v_cmp_eq_u16_sdwa s[40:41], v32, v29 src0_sel:BYTE_0 src1_sel:DWORD
	s_and_saveexec_b64 s[30:31], s[40:41]
	s_cbranch_execz .LBB120_100
; %bb.97:
	s_mov_b64 s[40:41], 0
	v_mov_b32_e32 v27, 0
.LBB120_98:                             ; =>This Inner Loop Header: Depth=1
	;;#ASMSTART
	global_load_dwordx4 v[30:33], v[36:37] off glc	
s_waitcnt vmcnt(0)
	;;#ASMEND
	v_cmp_ne_u16_sdwa s[48:49], v32, v27 src0_sel:BYTE_0 src1_sel:DWORD
	s_or_b64 s[40:41], s[48:49], s[40:41]
	s_andn2_b64 exec, exec, s[40:41]
	s_cbranch_execnz .LBB120_98
; %bb.99:
	s_or_b64 exec, exec, s[40:41]
	v_and_b32_e32 v31, 0xff, v31
.LBB120_100:
	s_or_b64 exec, exec, s[30:31]
	v_mov_b32_e32 v27, 2
	v_cmp_eq_u16_sdwa s[30:31], v32, v27 src0_sel:BYTE_0 src1_sel:DWORD
	v_lshlrev_b64 v[28:29], v46, -1
	v_and_b32_e32 v33, s31, v29
	v_or_b32_e32 v33, 0x80000000, v33
	v_and_b32_e32 v35, s30, v28
	v_ffbl_b32_e32 v33, v33
	v_and_b32_e32 v47, 63, v46
	v_add_u32_e32 v33, 32, v33
	v_ffbl_b32_e32 v35, v35
	v_cmp_ne_u32_e32 vcc, 63, v47
	v_min_u32_e32 v33, v35, v33
	v_addc_co_u32_e32 v35, vcc, 0, v46, vcc
	v_lshlrev_b32_e32 v48, 2, v35
	ds_bpermute_b32 v35, v48, v31
	ds_bpermute_b32 v36, v48, v30
	s_mov_b32 s40, 0
	v_and_b32_e32 v37, 1, v31
	s_mov_b32 s41, 1
	s_waitcnt lgkmcnt(1)
	v_and_b32_e32 v35, 1, v35
	v_cmp_eq_u32_e32 vcc, 1, v37
	v_cndmask_b32_e64 v35, v35, 1, vcc
	v_cmp_gt_u64_e32 vcc, s[40:41], v[30:31]
	v_cmp_lt_u32_e64 s[30:31], v47, v33
	s_and_b64 vcc, s[30:31], vcc
	v_and_b32_e32 v37, 0xffff, v35
	v_cndmask_b32_e64 v54, v31, v35, s[30:31]
	s_waitcnt lgkmcnt(0)
	v_cndmask_b32_e32 v35, 0, v36, vcc
	v_cmp_gt_u32_e32 vcc, 62, v47
	v_cndmask_b32_e64 v36, 0, 1, vcc
	v_lshlrev_b32_e32 v36, 1, v36
	v_cndmask_b32_e64 v31, v31, v37, s[30:31]
	v_add_lshl_u32 v49, v36, v46, 2
	ds_bpermute_b32 v36, v49, v31
	v_add_u32_e32 v30, v35, v30
	ds_bpermute_b32 v37, v49, v30
	v_and_b32_e32 v35, 1, v54
	v_cmp_eq_u32_e32 vcc, 1, v35
	s_waitcnt lgkmcnt(1)
	v_and_b32_e32 v36, 1, v36
	v_mov_b32_e32 v35, 0
	v_add_u32_e32 v53, 2, v47
	v_cndmask_b32_e64 v36, v36, 1, vcc
	v_cmp_eq_u16_sdwa vcc, v54, v35 src0_sel:BYTE_0 src1_sel:DWORD
	v_and_b32_e32 v55, 0xffff, v36
	s_waitcnt lgkmcnt(0)
	v_cndmask_b32_e32 v37, 0, v37, vcc
	v_cmp_gt_u32_e32 vcc, v53, v33
	v_cndmask_b32_e32 v36, v36, v54, vcc
	v_cndmask_b32_e64 v37, v37, 0, vcc
	v_cndmask_b32_e32 v31, v55, v31, vcc
	v_cmp_gt_u32_e32 vcc, 60, v47
	v_cndmask_b32_e64 v54, 0, 1, vcc
	v_lshlrev_b32_e32 v54, 2, v54
	v_add_lshl_u32 v54, v54, v46, 2
	ds_bpermute_b32 v56, v54, v31
	v_add_u32_e32 v30, v37, v30
	ds_bpermute_b32 v37, v54, v30
	v_and_b32_e32 v57, 1, v36
	v_cmp_eq_u32_e32 vcc, 1, v57
	s_waitcnt lgkmcnt(1)
	v_and_b32_e32 v56, 1, v56
	v_add_u32_e32 v55, 4, v47
	v_cndmask_b32_e64 v56, v56, 1, vcc
	v_cmp_eq_u16_sdwa vcc, v36, v35 src0_sel:BYTE_0 src1_sel:DWORD
	v_and_b32_e32 v57, 0xffff, v56
	s_waitcnt lgkmcnt(0)
	v_cndmask_b32_e32 v37, 0, v37, vcc
	v_cmp_gt_u32_e32 vcc, v55, v33
	v_cndmask_b32_e32 v36, v56, v36, vcc
	v_cndmask_b32_e64 v37, v37, 0, vcc
	v_cndmask_b32_e32 v31, v57, v31, vcc
	v_cmp_gt_u32_e32 vcc, 56, v47
	v_cndmask_b32_e64 v56, 0, 1, vcc
	v_lshlrev_b32_e32 v56, 3, v56
	v_add_lshl_u32 v56, v56, v46, 2
	ds_bpermute_b32 v58, v56, v31
	v_add_u32_e32 v30, v37, v30
	ds_bpermute_b32 v37, v56, v30
	v_and_b32_e32 v59, 1, v36
	v_cmp_eq_u32_e32 vcc, 1, v59
	s_waitcnt lgkmcnt(1)
	v_and_b32_e32 v58, 1, v58
	;; [unrolled: 21-line block ×4, first 2 shown]
	v_add_u32_e32 v62, 32, v47
	v_cndmask_b32_e64 v31, v31, 1, vcc
	v_cmp_eq_u16_sdwa vcc, v36, v35 src0_sel:BYTE_0 src1_sel:DWORD
	s_waitcnt lgkmcnt(0)
	v_cndmask_b32_e32 v37, 0, v37, vcc
	v_cmp_gt_u32_e32 vcc, v62, v33
	v_cndmask_b32_e64 v33, v37, 0, vcc
	v_cndmask_b32_e32 v31, v31, v36, vcc
	v_add_u32_e32 v30, v33, v30
	s_branch .LBB120_102
.LBB120_101:                            ;   in Loop: Header=BB120_102 Depth=1
	s_or_b64 exec, exec, s[30:31]
	v_cmp_eq_u16_sdwa s[30:31], v32, v27 src0_sel:BYTE_0 src1_sel:DWORD
	v_and_b32_e32 v33, s31, v29
	ds_bpermute_b32 v37, v48, v31
	v_or_b32_e32 v33, 0x80000000, v33
	v_and_b32_e32 v36, s30, v28
	v_ffbl_b32_e32 v33, v33
	v_add_u32_e32 v33, 32, v33
	v_ffbl_b32_e32 v36, v36
	v_min_u32_e32 v33, v36, v33
	ds_bpermute_b32 v36, v48, v30
	v_and_b32_e32 v63, 1, v31
	s_waitcnt lgkmcnt(1)
	v_and_b32_e32 v37, 1, v37
	v_cmp_eq_u32_e32 vcc, 1, v63
	v_cndmask_b32_e64 v37, v37, 1, vcc
	v_cmp_gt_u64_e32 vcc, s[40:41], v[30:31]
	v_and_b32_e32 v63, 0xffff, v37
	v_cmp_lt_u32_e64 s[30:31], v47, v33
	v_cndmask_b32_e64 v37, v31, v37, s[30:31]
	v_cndmask_b32_e64 v31, v31, v63, s[30:31]
	s_and_b64 vcc, s[30:31], vcc
	ds_bpermute_b32 v63, v49, v31
	s_waitcnt lgkmcnt(1)
	v_cndmask_b32_e32 v36, 0, v36, vcc
	v_add_u32_e32 v30, v36, v30
	ds_bpermute_b32 v36, v49, v30
	v_and_b32_e32 v64, 1, v37
	s_waitcnt lgkmcnt(1)
	v_and_b32_e32 v63, 1, v63
	v_cmp_eq_u32_e32 vcc, 1, v64
	v_cndmask_b32_e64 v63, v63, 1, vcc
	v_cmp_eq_u16_sdwa vcc, v37, v35 src0_sel:BYTE_0 src1_sel:DWORD
	v_and_b32_e32 v64, 0xffff, v63
	s_waitcnt lgkmcnt(0)
	v_cndmask_b32_e32 v36, 0, v36, vcc
	v_cmp_gt_u32_e32 vcc, v53, v33
	v_cndmask_b32_e32 v31, v64, v31, vcc
	v_cndmask_b32_e32 v37, v63, v37, vcc
	ds_bpermute_b32 v63, v54, v31
	v_cndmask_b32_e64 v36, v36, 0, vcc
	v_add_u32_e32 v30, v36, v30
	ds_bpermute_b32 v36, v54, v30
	v_and_b32_e32 v64, 1, v37
	s_waitcnt lgkmcnt(1)
	v_and_b32_e32 v63, 1, v63
	v_cmp_eq_u32_e32 vcc, 1, v64
	v_cndmask_b32_e64 v63, v63, 1, vcc
	v_cmp_eq_u16_sdwa vcc, v37, v35 src0_sel:BYTE_0 src1_sel:DWORD
	v_and_b32_e32 v64, 0xffff, v63
	s_waitcnt lgkmcnt(0)
	v_cndmask_b32_e32 v36, 0, v36, vcc
	v_cmp_gt_u32_e32 vcc, v55, v33
	v_cndmask_b32_e32 v31, v64, v31, vcc
	v_cndmask_b32_e32 v37, v63, v37, vcc
	ds_bpermute_b32 v63, v56, v31
	v_cndmask_b32_e64 v36, v36, 0, vcc
	;; [unrolled: 16-line block ×3, first 2 shown]
	v_add_u32_e32 v30, v36, v30
	ds_bpermute_b32 v36, v58, v30
	v_and_b32_e32 v64, 1, v37
	s_waitcnt lgkmcnt(1)
	v_and_b32_e32 v63, 1, v63
	v_cmp_eq_u32_e32 vcc, 1, v64
	v_cndmask_b32_e64 v63, v63, 1, vcc
	v_cmp_eq_u16_sdwa vcc, v37, v35 src0_sel:BYTE_0 src1_sel:DWORD
	v_and_b32_e32 v64, 0xffff, v63
	s_waitcnt lgkmcnt(0)
	v_cndmask_b32_e32 v36, 0, v36, vcc
	v_cmp_gt_u32_e32 vcc, v59, v33
	v_cndmask_b32_e64 v36, v36, 0, vcc
	v_cndmask_b32_e32 v31, v64, v31, vcc
	ds_bpermute_b32 v31, v61, v31
	v_add_u32_e32 v30, v36, v30
	ds_bpermute_b32 v36, v61, v30
	v_cndmask_b32_e32 v37, v63, v37, vcc
	v_and_b32_e32 v63, 1, v37
	v_cmp_eq_u32_e32 vcc, 1, v63
	s_waitcnt lgkmcnt(1)
	v_cndmask_b32_e64 v31, v31, 1, vcc
	v_cmp_eq_u16_sdwa vcc, v37, v35 src0_sel:BYTE_0 src1_sel:DWORD
	s_waitcnt lgkmcnt(0)
	v_cndmask_b32_e32 v36, 0, v36, vcc
	v_cmp_gt_u32_e32 vcc, v62, v33
	v_cndmask_b32_e64 v33, v36, 0, vcc
	v_cndmask_b32_e32 v31, v31, v37, vcc
	v_add_u32_e32 v30, v33, v30
	v_cmp_eq_u16_sdwa vcc, v46, v35 src0_sel:BYTE_0 src1_sel:DWORD
	v_and_b32_e32 v33, 1, v46
	v_cndmask_b32_e32 v30, 0, v30, vcc
	v_and_b32_e32 v31, 1, v31
	v_cmp_eq_u32_e32 vcc, 1, v33
	v_subrev_u32_e32 v34, 64, v34
	v_add_u32_e32 v30, v30, v60
	v_cndmask_b32_e64 v31, v31, 1, vcc
.LBB120_102:                            ; =>This Loop Header: Depth=1
                                        ;     Child Loop BB120_105 Depth 2
	v_cmp_ne_u16_sdwa s[30:31], v32, v27 src0_sel:BYTE_0 src1_sel:DWORD
	v_mov_b32_e32 v46, v31
	v_cndmask_b32_e64 v31, 0, 1, s[30:31]
	;;#ASMSTART
	;;#ASMEND
	v_cmp_ne_u32_e32 vcc, 0, v31
	s_cmp_lg_u64 vcc, exec
	v_mov_b32_e32 v60, v30
	s_cbranch_scc1 .LBB120_107
; %bb.103:                              ;   in Loop: Header=BB120_102 Depth=1
	v_lshlrev_b64 v[30:31], 4, v[34:35]
	v_mov_b32_e32 v32, s45
	v_add_co_u32_e32 v36, vcc, s44, v30
	v_addc_co_u32_e32 v37, vcc, v32, v31, vcc
	;;#ASMSTART
	global_load_dwordx4 v[30:33], v[36:37] off glc	
s_waitcnt vmcnt(0)
	;;#ASMEND
	v_and_b32_e32 v33, 0xff0000, v30
	v_or_b32_sdwa v33, v30, v33 dst_sel:DWORD dst_unused:UNUSED_PAD src0_sel:WORD_0 src1_sel:DWORD
	v_and_b32_e32 v30, 0xff000000, v30
	v_and_b32_e32 v31, 0xff, v31
	v_or3_b32 v31, 0, 0, v31
	v_or3_b32 v30, v33, v30, 0
	v_cmp_eq_u16_sdwa s[48:49], v32, v35 src0_sel:BYTE_0 src1_sel:DWORD
	s_and_saveexec_b64 s[30:31], s[48:49]
	s_cbranch_execz .LBB120_101
; %bb.104:                              ;   in Loop: Header=BB120_102 Depth=1
	s_mov_b64 s[48:49], 0
.LBB120_105:                            ;   Parent Loop BB120_102 Depth=1
                                        ; =>  This Inner Loop Header: Depth=2
	;;#ASMSTART
	global_load_dwordx4 v[30:33], v[36:37] off glc	
s_waitcnt vmcnt(0)
	;;#ASMEND
	v_cmp_ne_u16_sdwa s[54:55], v32, v35 src0_sel:BYTE_0 src1_sel:DWORD
	s_or_b64 s[48:49], s[54:55], s[48:49]
	s_andn2_b64 exec, exec, s[48:49]
	s_cbranch_execnz .LBB120_105
; %bb.106:                              ;   in Loop: Header=BB120_102 Depth=1
	s_or_b64 exec, exec, s[48:49]
	v_and_b32_e32 v31, 0xff, v31
	s_branch .LBB120_101
.LBB120_107:                            ;   in Loop: Header=BB120_102 Depth=1
                                        ; implicit-def: $vgpr31
                                        ; implicit-def: $vgpr30
                                        ; implicit-def: $vgpr32
	s_cbranch_execz .LBB120_102
; %bb.108:
	s_and_saveexec_b64 s[30:31], s[26:27]
	s_cbranch_execz .LBB120_110
; %bb.109:
	s_and_b32 s40, s7, 0xff
	s_cmp_eq_u32 s40, 0
	s_cselect_b64 vcc, -1, 0
	s_bitcmp1_b32 s7, 0
	s_mov_b32 s41, 0
	s_cselect_b64 s[48:49], -1, 0
	s_add_i32 s40, s6, 64
	s_lshl_b64 s[6:7], s[40:41], 4
	v_cndmask_b32_e32 v27, 0, v60, vcc
	s_add_u32 s6, s44, s6
	v_add_u32_e32 v26, v27, v26
	v_and_b32_e32 v27, 1, v46
	s_addc_u32 s7, s45, s7
	v_mov_b32_e32 v29, 0
	v_cndmask_b32_e64 v27, v27, 1, s[48:49]
	v_mov_b32_e32 v28, 2
	v_pk_mov_b32 v[30:31], s[6:7], s[6:7] op_sel:[0,1]
	;;#ASMSTART
	global_store_dwordx4 v[30:31], v[26:29] off	
s_waitcnt vmcnt(0)
	;;#ASMEND
.LBB120_110:
	s_or_b64 exec, exec, s[30:31]
	v_cmp_eq_u32_e32 vcc, 0, v0
	s_and_b64 exec, exec, vcc
	s_cbranch_execz .LBB120_112
; %bb.111:
	v_mov_b32_e32 v26, 0
	ds_write_b32 v26, v60 offset:24
	ds_write_b8 v26, v46 offset:28
.LBB120_112:
	s_or_b64 exec, exec, s[38:39]
	v_mov_b32_e32 v28, 0
	s_waitcnt lgkmcnt(0)
	s_barrier
	ds_read_b32 v26, v28 offset:24
	v_cndmask_b32_e64 v27, v45, v43, s[26:27]
	v_cmp_eq_u16_sdwa vcc, v27, v28 src0_sel:BYTE_0 src1_sel:DWORD
	v_cndmask_b32_e64 v29, v44, v42, s[26:27]
	s_waitcnt lgkmcnt(0)
	v_cndmask_b32_e32 v27, 0, v26, vcc
	v_add_u32_e32 v27, v27, v29
	v_cmp_eq_u32_e32 vcc, 0, v0
	v_and_b32_e32 v29, 0xff, v39
	v_cndmask_b32_e32 v26, v27, v26, vcc
	v_cmp_eq_u64_e32 vcc, 0, v[28:29]
	v_cndmask_b32_e32 v27, 0, v26, vcc
	v_add_u32_e32 v27, v27, v38
	v_cndmask_b32_e64 v28, 0, v27, s[2:3]
	v_add_u32_e32 v42, v28, v8
	v_cndmask_b32_e64 v28, 0, v42, s[4:5]
	;; [unrolled: 2-line block ×12, first 2 shown]
	v_add_u32_e32 v49, v28, v24
	s_branch .LBB120_139
.LBB120_113:
	s_or_b64 exec, exec, s[30:31]
                                        ; implicit-def: $vgpr14
	s_and_saveexec_b64 s[30:31], s[2:3]
	s_cbranch_execz .LBB120_33
.LBB120_114:
	v_mov_b32_e32 v15, s47
	v_add_co_u32_e32 v14, vcc, s7, v12
	v_addc_co_u32_e32 v15, vcc, 0, v15, vcc
	flat_load_dword v14, v[14:15] offset:1024
	s_or_b64 exec, exec, s[30:31]
                                        ; implicit-def: $vgpr15
	s_and_saveexec_b64 s[2:3], s[4:5]
	s_cbranch_execnz .LBB120_34
.LBB120_115:
	s_or_b64 exec, exec, s[2:3]
                                        ; implicit-def: $vgpr16
	s_and_saveexec_b64 s[2:3], s[28:29]
	s_cbranch_execz .LBB120_35
.LBB120_116:
	v_mov_b32_e32 v17, s47
	v_add_co_u32_e32 v16, vcc, s7, v12
	v_addc_co_u32_e32 v17, vcc, 0, v17, vcc
	flat_load_dword v16, v[16:17] offset:3072
	s_or_b64 exec, exec, s[2:3]
                                        ; implicit-def: $vgpr17
	s_and_saveexec_b64 s[2:3], s[8:9]
	s_cbranch_execnz .LBB120_36
.LBB120_117:
	s_or_b64 exec, exec, s[2:3]
                                        ; implicit-def: $vgpr2
	s_and_saveexec_b64 s[2:3], s[10:11]
	s_cbranch_execz .LBB120_37
.LBB120_118:
	v_mov_b32_e32 v18, s47
	v_add_co_u32_e32 v2, vcc, s7, v3
	v_addc_co_u32_e32 v3, vcc, 0, v18, vcc
	flat_load_dword v2, v[2:3]
	s_or_b64 exec, exec, s[2:3]
                                        ; implicit-def: $vgpr3
	s_and_saveexec_b64 s[2:3], s[12:13]
	s_cbranch_execnz .LBB120_38
.LBB120_119:
	s_or_b64 exec, exec, s[2:3]
                                        ; implicit-def: $vgpr4
	s_and_saveexec_b64 s[2:3], s[14:15]
	s_cbranch_execz .LBB120_39
.LBB120_120:
	v_mov_b32_e32 v18, s47
	v_add_co_u32_e32 v4, vcc, s7, v5
	v_addc_co_u32_e32 v5, vcc, 0, v18, vcc
	flat_load_dword v4, v[4:5]
	s_or_b64 exec, exec, s[2:3]
                                        ; implicit-def: $vgpr5
	s_and_saveexec_b64 s[2:3], s[16:17]
	s_cbranch_execnz .LBB120_40
.LBB120_121:
	s_or_b64 exec, exec, s[2:3]
                                        ; implicit-def: $vgpr6
	s_and_saveexec_b64 s[2:3], s[18:19]
	s_cbranch_execz .LBB120_41
.LBB120_122:
	v_mov_b32_e32 v18, s47
	v_add_co_u32_e32 v6, vcc, s7, v7
	v_addc_co_u32_e32 v7, vcc, 0, v18, vcc
	flat_load_dword v6, v[6:7]
	s_or_b64 exec, exec, s[2:3]
                                        ; implicit-def: $vgpr7
	s_and_saveexec_b64 s[2:3], s[20:21]
	s_cbranch_execnz .LBB120_42
.LBB120_123:
	s_or_b64 exec, exec, s[2:3]
                                        ; implicit-def: $vgpr8
	s_and_saveexec_b64 s[2:3], s[22:23]
	s_cbranch_execz .LBB120_43
.LBB120_124:
	v_mov_b32_e32 v18, s47
	v_add_co_u32_e32 v8, vcc, s7, v9
	v_addc_co_u32_e32 v9, vcc, 0, v18, vcc
	flat_load_dword v8, v[8:9]
	s_or_b64 exec, exec, s[2:3]
                                        ; implicit-def: $vgpr9
	s_and_saveexec_b64 s[2:3], s[24:25]
	s_cbranch_execz .LBB120_45
	s_branch .LBB120_44
.LBB120_125:
                                        ; implicit-def: $vgpr49
                                        ; implicit-def: $vgpr47
                                        ; implicit-def: $vgpr45
                                        ; implicit-def: $vgpr43
                                        ; implicit-def: $vgpr34_vgpr35_vgpr36_vgpr37
                                        ; implicit-def: $vgpr30_vgpr31_vgpr32_vgpr33
                                        ; implicit-def: $vgpr26_vgpr27_vgpr28_vgpr29
	s_cbranch_execz .LBB120_139
; %bb.126:
	s_cmp_lg_u64 s[52:53], 0
	s_cselect_b32 s3, s51, 0
	s_cselect_b32 s2, s50, 0
	s_mov_b32 s24, 0
	s_cmp_eq_u64 s[2:3], 0
	v_mov_b32_e32 v32, s56
	s_cbranch_scc1 .LBB120_128
; %bb.127:
	v_mov_b32_e32 v26, 0
	global_load_dword v32, v26, s[2:3]
.LBB120_128:
	s_mov_b32 s25, 1
	v_cmp_gt_u64_e32 vcc, s[24:25], v[8:9]
	v_cndmask_b32_e32 v27, 0, v38, vcc
	v_add_u32_e32 v27, v27, v8
	v_cmp_gt_u64_e64 s[2:3], s[24:25], v[6:7]
	v_cndmask_b32_e64 v27, 0, v27, s[2:3]
	v_add_u32_e32 v27, v27, v6
	v_cmp_gt_u64_e64 s[4:5], s[24:25], v[4:5]
	v_cndmask_b32_e64 v27, 0, v27, s[4:5]
	;; [unrolled: 3-line block ×11, first 2 shown]
	v_mov_b32_e32 v26, 0
	v_add_u32_e32 v27, v27, v24
	v_cmp_gt_u64_e64 s[24:25], s[24:25], v[40:41]
	v_or3_b32 v7, v23, v15, v7
	v_cndmask_b32_e64 v27, 0, v27, s[24:25]
	v_or3_b32 v9, v25, v17, v9
	v_and_b32_e32 v35, 1, v7
	v_mov_b32_e32 v34, v26
	v_add_u32_e32 v33, v27, v40
	v_and_b32_e32 v27, 1, v41
	v_or3_b32 v3, v19, v11, v3
	v_and_b32_e32 v31, 1, v9
	v_mov_b32_e32 v30, v26
	v_cmp_ne_u64_e64 s[26:27], 0, v[34:35]
	v_cmp_eq_u32_e64 s[24:25], 1, v27
	v_or3_b32 v5, v21, v13, v5
	v_and_b32_e32 v27, 1, v3
	v_cndmask_b32_e64 v3, 0, 1, s[26:27]
	v_cmp_ne_u64_e64 s[26:27], 0, v[30:31]
	v_and_b32_e32 v29, 1, v5
	v_mov_b32_e32 v28, v26
	v_cndmask_b32_e64 v5, 0, 1, s[26:27]
	v_lshlrev_b16_e32 v3, 2, v3
	v_lshlrev_b16_e32 v5, 3, v5
	v_cmp_ne_u64_e64 s[26:27], 0, v[28:29]
	v_or_b32_e32 v3, v5, v3
	v_cndmask_b32_e64 v5, 0, 1, s[26:27]
	v_cmp_ne_u64_e64 s[26:27], 0, v[26:27]
	v_lshlrev_b16_e32 v5, 1, v5
	v_cndmask_b32_e64 v7, 0, 1, s[26:27]
	v_or_b32_e32 v5, v7, v5
	v_and_b32_e32 v5, 3, v5
	v_or_b32_e32 v3, v5, v3
	v_and_b32_e32 v3, 15, v3
	v_cmp_ne_u16_e64 s[26:27], 0, v3
	s_or_b64 s[24:25], s[24:25], s[26:27]
	v_cndmask_b32_e64 v5, v39, 1, s[24:25]
	v_and_b32_e32 v7, 0xff, v5
	v_mov_b32_dpp v11, v33 row_shr:1 row_mask:0xf bank_mask:0xf
	v_cmp_eq_u16_e64 s[24:25], 0, v7
	v_mov_b32_dpp v13, v7 row_shr:1 row_mask:0xf bank_mask:0xf
	v_and_b32_e32 v15, 1, v5
	v_mbcnt_hi_u32_b32 v3, -1, v52
	v_cndmask_b32_e64 v11, 0, v11, s[24:25]
	v_and_b32_e32 v13, 1, v13
	v_cmp_eq_u32_e64 s[24:25], 1, v15
	v_and_b32_e32 v9, 15, v3
	v_cndmask_b32_e64 v13, v13, 1, s[24:25]
	v_and_b32_e32 v15, 0xffff, v13
	v_cmp_eq_u32_e64 s[24:25], 0, v9
	v_cndmask_b32_e64 v5, v13, v5, s[24:25]
	v_cndmask_b32_e64 v7, v15, v7, s[24:25]
	v_and_b32_e32 v17, 1, v5
	v_cndmask_b32_e64 v11, v11, 0, s[24:25]
	v_mov_b32_dpp v15, v7 row_shr:2 row_mask:0xf bank_mask:0xf
	v_and_b32_e32 v15, 1, v15
	v_cmp_eq_u32_e64 s[24:25], 1, v17
	v_cndmask_b32_e64 v15, v15, 1, s[24:25]
	v_and_b32_e32 v17, 0xffff, v15
	v_cmp_lt_u32_e64 s[24:25], 1, v9
	v_add_u32_e32 v11, v11, v33
	v_cmp_eq_u16_sdwa s[26:27], v5, v26 src0_sel:BYTE_0 src1_sel:DWORD
	v_cndmask_b32_e64 v5, v5, v15, s[24:25]
	v_cndmask_b32_e64 v7, v7, v17, s[24:25]
	v_mov_b32_dpp v13, v11 row_shr:2 row_mask:0xf bank_mask:0xf
	s_and_b64 s[24:25], s[24:25], s[26:27]
	v_mov_b32_dpp v15, v7 row_shr:4 row_mask:0xf bank_mask:0xf
	v_and_b32_e32 v17, 1, v5
	v_cndmask_b32_e64 v13, 0, v13, s[24:25]
	v_and_b32_e32 v15, 1, v15
	v_cmp_eq_u32_e64 s[24:25], 1, v17
	v_cndmask_b32_e64 v15, v15, 1, s[24:25]
	v_and_b32_e32 v17, 0xffff, v15
	v_cmp_lt_u32_e64 s[24:25], 3, v9
	v_add_u32_e32 v11, v13, v11
	v_cmp_eq_u16_sdwa s[26:27], v5, v26 src0_sel:BYTE_0 src1_sel:DWORD
	v_cndmask_b32_e64 v5, v5, v15, s[24:25]
	v_cndmask_b32_e64 v7, v7, v17, s[24:25]
	v_mov_b32_dpp v13, v11 row_shr:4 row_mask:0xf bank_mask:0xf
	s_and_b64 s[24:25], s[24:25], s[26:27]
	v_mov_b32_dpp v15, v7 row_shr:8 row_mask:0xf bank_mask:0xf
	v_and_b32_e32 v17, 1, v5
	v_cndmask_b32_e64 v13, 0, v13, s[24:25]
	v_and_b32_e32 v15, 1, v15
	v_cmp_eq_u32_e64 s[24:25], 1, v17
	v_cndmask_b32_e64 v15, v15, 1, s[24:25]
	v_add_u32_e32 v11, v13, v11
	v_cmp_eq_u16_sdwa s[26:27], v5, v26 src0_sel:BYTE_0 src1_sel:DWORD
	v_and_b32_e32 v17, 0xffff, v15
	v_cmp_lt_u32_e64 s[24:25], 7, v9
	v_mov_b32_dpp v13, v11 row_shr:8 row_mask:0xf bank_mask:0xf
	v_cndmask_b32_e64 v5, v5, v15, s[24:25]
	v_cndmask_b32_e64 v7, v7, v17, s[24:25]
	s_and_b64 s[24:25], s[24:25], s[26:27]
	v_cndmask_b32_e64 v9, 0, v13, s[24:25]
	v_add_u32_e32 v9, v9, v11
	v_mov_b32_dpp v13, v7 row_bcast:15 row_mask:0xf bank_mask:0xf
	v_cmp_eq_u16_sdwa s[24:25], v5, v26 src0_sel:BYTE_0 src1_sel:DWORD
	v_mov_b32_dpp v11, v9 row_bcast:15 row_mask:0xf bank_mask:0xf
	v_and_b32_e32 v19, 1, v5
	v_cndmask_b32_e64 v11, 0, v11, s[24:25]
	v_and_b32_e32 v13, 1, v13
	v_cmp_eq_u32_e64 s[24:25], 1, v19
	v_and_b32_e32 v17, 16, v3
	v_cndmask_b32_e64 v13, v13, 1, s[24:25]
	v_and_b32_e32 v19, 0xffff, v13
	v_cmp_eq_u32_e64 s[24:25], 0, v17
	v_cndmask_b32_e64 v5, v13, v5, s[24:25]
	v_cndmask_b32_e64 v7, v19, v7, s[24:25]
	v_bfe_i32 v15, v3, 4, 1
	v_and_b32_e32 v13, 1, v5
	v_mov_b32_dpp v7, v7 row_bcast:31 row_mask:0xf bank_mask:0xf
	v_and_b32_e32 v11, v15, v11
	v_and_b32_e32 v7, 1, v7
	v_cmp_eq_u32_e64 s[24:25], 1, v13
	v_add_u32_e32 v9, v11, v9
	v_cmp_eq_u16_sdwa s[26:27], v5, v26 src0_sel:BYTE_0 src1_sel:DWORD
	v_cndmask_b32_e64 v7, v7, 1, s[24:25]
	v_cmp_lt_u32_e64 s[24:25], 31, v3
	v_mov_b32_dpp v11, v9 row_bcast:31 row_mask:0xf bank_mask:0xf
	v_cndmask_b32_e64 v5, v5, v7, s[24:25]
	s_and_b64 s[24:25], s[24:25], s[26:27]
	v_cndmask_b32_e64 v7, 0, v11, s[24:25]
	v_add_u32_e32 v7, v7, v9
	v_cmp_eq_u32_e64 s[24:25], v51, v0
	s_and_saveexec_b64 s[26:27], s[24:25]
	s_cbranch_execz .LBB120_130
; %bb.129:
	v_lshlrev_b32_e32 v9, 3, v1
	ds_write_b32 v9, v7
	ds_write_b8 v9, v5 offset:4
.LBB120_130:
	s_or_b64 exec, exec, s[26:27]
	v_cmp_gt_u32_e64 s[24:25], 4, v0
	s_waitcnt lgkmcnt(0)
	s_barrier
	s_and_saveexec_b64 s[26:27], s[24:25]
	s_cbranch_execz .LBB120_134
; %bb.131:
	v_lshlrev_b32_e32 v9, 3, v0
	ds_read_b64 v[26:27], v9
	v_and_b32_e32 v11, 3, v3
	v_cmp_ne_u32_e64 s[24:25], 0, v11
	s_waitcnt lgkmcnt(0)
	v_mov_b32_dpp v13, v26 row_shr:1 row_mask:0xf bank_mask:0xf
	v_mov_b32_dpp v17, v27 row_shr:1 row_mask:0xf bank_mask:0xf
	v_mov_b32_e32 v15, v27
	s_and_saveexec_b64 s[28:29], s[24:25]
	s_cbranch_execz .LBB120_133
; %bb.132:
	v_and_b32_e32 v15, 1, v27
	v_and_b32_e32 v17, 1, v17
	v_cmp_eq_u32_e64 s[24:25], 1, v15
	v_mov_b32_e32 v15, 0
	v_cndmask_b32_e64 v17, v17, 1, s[24:25]
	v_cmp_eq_u16_sdwa s[24:25], v27, v15 src0_sel:BYTE_0 src1_sel:DWORD
	v_cndmask_b32_e64 v13, 0, v13, s[24:25]
	v_add_u32_e32 v26, v13, v26
	v_and_b32_e32 v13, 0xffff, v17
	s_movk_i32 s24, 0xff00
	v_and_or_b32 v15, v27, s24, v13
	v_mov_b32_e32 v27, v17
.LBB120_133:
	s_or_b64 exec, exec, s[28:29]
	v_mov_b32_dpp v15, v15 row_shr:2 row_mask:0xf bank_mask:0xf
	v_and_b32_e32 v17, 1, v27
	v_and_b32_e32 v15, 1, v15
	v_cmp_eq_u32_e64 s[24:25], 1, v17
	v_mov_b32_e32 v17, 0
	v_cndmask_b32_e64 v15, v15, 1, s[24:25]
	v_cmp_eq_u16_sdwa s[28:29], v27, v17 src0_sel:BYTE_0 src1_sel:DWORD
	v_cmp_lt_u32_e64 s[24:25], 1, v11
	v_mov_b32_dpp v13, v26 row_shr:2 row_mask:0xf bank_mask:0xf
	v_cndmask_b32_e64 v11, v27, v15, s[24:25]
	s_and_b64 s[24:25], s[24:25], s[28:29]
	v_cndmask_b32_e64 v13, 0, v13, s[24:25]
	v_add_u32_e32 v13, v13, v26
	ds_write_b32 v9, v13
	ds_write_b8 v9, v11 offset:4
.LBB120_134:
	s_or_b64 exec, exec, s[26:27]
	v_cmp_lt_u32_e64 s[24:25], 63, v0
	s_waitcnt vmcnt(0)
	v_mov_b32_e32 v9, v32
	s_waitcnt lgkmcnt(0)
	s_barrier
	s_and_saveexec_b64 s[26:27], s[24:25]
	s_cbranch_execz .LBB120_136
; %bb.135:
	v_lshl_add_u32 v1, v1, 3, -8
	ds_read_u8 v9, v1 offset:4
	ds_read_b32 v1, v1
	s_waitcnt lgkmcnt(1)
	v_cmp_eq_u16_e64 s[24:25], 0, v9
	v_cndmask_b32_e64 v9, 0, v32, s[24:25]
	s_waitcnt lgkmcnt(0)
	v_add_u32_e32 v9, v9, v1
.LBB120_136:
	s_or_b64 exec, exec, s[26:27]
	v_mov_b32_e32 v28, 0
	v_cmp_eq_u16_sdwa s[24:25], v5, v28 src0_sel:BYTE_0 src1_sel:DWORD
	v_cndmask_b32_e64 v1, 0, v9, s[24:25]
	v_add_u32_e32 v1, v1, v7
	v_add_u32_e32 v5, -1, v3
	v_and_b32_e32 v7, 64, v3
	v_cmp_lt_i32_e64 s[24:25], v5, v7
	v_cndmask_b32_e64 v5, v5, v3, s[24:25]
	v_lshlrev_b32_e32 v5, 2, v5
	ds_bpermute_b32 v1, v5, v1
	v_cmp_eq_u32_e64 s[24:25], 0, v3
	v_and_b32_e32 v29, 0xff, v39
	v_cmp_eq_u64_e64 s[26:27], 0, v[28:29]
	s_waitcnt lgkmcnt(0)
	v_cndmask_b32_e64 v26, v1, v9, s[24:25]
	v_cmp_eq_u32_e64 s[24:25], 0, v0
	v_cndmask_b32_e64 v1, v26, v32, s[24:25]
	v_cndmask_b32_e64 v1, 0, v1, s[26:27]
	v_add_u32_e32 v27, v1, v38
	v_cndmask_b32_e32 v1, 0, v27, vcc
	v_add_u32_e32 v42, v1, v8
	v_cndmask_b32_e64 v1, 0, v42, s[2:3]
	v_add_u32_e32 v43, v1, v6
	v_cndmask_b32_e64 v1, 0, v43, s[4:5]
	;; [unrolled: 2-line block ×11, first 2 shown]
	s_and_saveexec_b64 s[2:3], s[24:25]
	s_cbranch_execz .LBB120_138
; %bb.137:
	ds_read_u8 v3, v28 offset:28
	ds_read_b32 v2, v28 offset:24
	s_add_u32 s4, s44, 0x400
	s_addc_u32 s5, s45, 0
	v_mov_b32_e32 v5, v28
	s_waitcnt lgkmcnt(1)
	v_cmp_eq_u16_e32 vcc, 0, v3
	v_cndmask_b32_e32 v4, 0, v32, vcc
	s_waitcnt lgkmcnt(0)
	v_add_u32_e32 v2, v4, v2
	v_and_b32_e32 v3, 0xffff, v3
	v_mov_b32_e32 v4, 2
	v_pk_mov_b32 v[6:7], s[4:5], s[4:5] op_sel:[0,1]
	;;#ASMSTART
	global_store_dwordx4 v[6:7], v[2:5] off	
s_waitcnt vmcnt(0)
	;;#ASMEND
	v_mov_b32_e32 v26, v32
.LBB120_138:
	s_or_b64 exec, exec, s[2:3]
	v_add_u32_e32 v49, v1, v24
.LBB120_139:
	s_add_u32 s2, s42, s34
	s_addc_u32 s3, s43, s35
	s_add_u32 s4, s2, s36
	v_mul_u32_u24_e32 v1, 14, v0
	s_addc_u32 s5, s3, s37
	s_and_b64 vcc, exec, s[0:1]
	v_lshlrev_b32_e32 v2, 2, v1
	s_cbranch_vccz .LBB120_167
; %bb.140:
	s_movk_i32 s0, 0xffcc
	v_mad_i32_i24 v3, v0, s0, v2
	s_barrier
	ds_write2_b64 v2, v[26:27], v[42:43] offset1:1
	ds_write2_b64 v2, v[30:31], v[44:45] offset0:2 offset1:3
	ds_write2_b64 v2, v[34:35], v[46:47] offset0:4 offset1:5
	ds_write_b64 v2, v[48:49] offset:48
	s_waitcnt lgkmcnt(0)
	s_barrier
	ds_read2st64_b32 v[16:17], v3 offset0:4 offset1:8
	ds_read2st64_b32 v[14:15], v3 offset0:12 offset1:16
	;; [unrolled: 1-line block ×6, first 2 shown]
	ds_read_b32 v3, v3 offset:13312
	v_mov_b32_e32 v7, s5
	v_add_co_u32_e32 v6, vcc, s4, v50
	s_add_i32 s33, s33, s46
	v_addc_co_u32_e32 v7, vcc, 0, v7, vcc
	v_mov_b32_e32 v1, 0
	v_cmp_gt_u32_e32 vcc, s33, v0
	s_and_saveexec_b64 s[0:1], vcc
	s_cbranch_execz .LBB120_142
; %bb.141:
	v_mul_i32_i24_e32 v18, 0xffffffcc, v0
	v_add_u32_e32 v18, v2, v18
	ds_read_b32 v18, v18
	s_waitcnt lgkmcnt(0)
	flat_store_dword v[6:7], v18
.LBB120_142:
	s_or_b64 exec, exec, s[0:1]
	v_or_b32_e32 v18, 0x100, v0
	v_cmp_gt_u32_e32 vcc, s33, v18
	s_and_saveexec_b64 s[0:1], vcc
	s_cbranch_execz .LBB120_144
; %bb.143:
	s_waitcnt lgkmcnt(0)
	flat_store_dword v[6:7], v16 offset:1024
.LBB120_144:
	s_or_b64 exec, exec, s[0:1]
	s_waitcnt lgkmcnt(0)
	v_or_b32_e32 v16, 0x200, v0
	v_cmp_gt_u32_e32 vcc, s33, v16
	s_and_saveexec_b64 s[0:1], vcc
	s_cbranch_execz .LBB120_146
; %bb.145:
	flat_store_dword v[6:7], v17 offset:2048
.LBB120_146:
	s_or_b64 exec, exec, s[0:1]
	v_or_b32_e32 v16, 0x300, v0
	v_cmp_gt_u32_e32 vcc, s33, v16
	s_and_saveexec_b64 s[0:1], vcc
	s_cbranch_execz .LBB120_148
; %bb.147:
	flat_store_dword v[6:7], v14 offset:3072
.LBB120_148:
	s_or_b64 exec, exec, s[0:1]
	v_or_b32_e32 v14, 0x400, v0
	v_cmp_gt_u32_e32 vcc, s33, v14
	s_and_saveexec_b64 s[0:1], vcc
	s_cbranch_execz .LBB120_150
; %bb.149:
	v_add_co_u32_e32 v16, vcc, 0x1000, v6
	v_addc_co_u32_e32 v17, vcc, 0, v7, vcc
	flat_store_dword v[16:17], v15
.LBB120_150:
	s_or_b64 exec, exec, s[0:1]
	v_or_b32_e32 v14, 0x500, v0
	v_cmp_gt_u32_e32 vcc, s33, v14
	s_and_saveexec_b64 s[0:1], vcc
	s_cbranch_execz .LBB120_152
; %bb.151:
	v_add_co_u32_e32 v14, vcc, 0x1000, v6
	v_addc_co_u32_e32 v15, vcc, 0, v7, vcc
	flat_store_dword v[14:15], v12 offset:1024
.LBB120_152:
	s_or_b64 exec, exec, s[0:1]
	v_or_b32_e32 v12, 0x600, v0
	v_cmp_gt_u32_e32 vcc, s33, v12
	s_and_saveexec_b64 s[0:1], vcc
	s_cbranch_execz .LBB120_154
; %bb.153:
	v_add_co_u32_e32 v14, vcc, 0x1000, v6
	v_addc_co_u32_e32 v15, vcc, 0, v7, vcc
	flat_store_dword v[14:15], v13 offset:2048
.LBB120_154:
	;; [unrolled: 10-line block ×3, first 2 shown]
	s_or_b64 exec, exec, s[0:1]
	v_or_b32_e32 v10, 0x800, v0
	v_cmp_gt_u32_e32 vcc, s33, v10
	s_and_saveexec_b64 s[0:1], vcc
	s_cbranch_execz .LBB120_158
; %bb.157:
	v_add_co_u32_e32 v12, vcc, 0x2000, v6
	v_addc_co_u32_e32 v13, vcc, 0, v7, vcc
	flat_store_dword v[12:13], v11
.LBB120_158:
	s_or_b64 exec, exec, s[0:1]
	v_or_b32_e32 v10, 0x900, v0
	v_cmp_gt_u32_e32 vcc, s33, v10
	s_and_saveexec_b64 s[0:1], vcc
	s_cbranch_execz .LBB120_160
; %bb.159:
	v_add_co_u32_e32 v10, vcc, 0x2000, v6
	v_addc_co_u32_e32 v11, vcc, 0, v7, vcc
	flat_store_dword v[10:11], v8 offset:1024
.LBB120_160:
	s_or_b64 exec, exec, s[0:1]
	v_or_b32_e32 v8, 0xa00, v0
	v_cmp_gt_u32_e32 vcc, s33, v8
	s_and_saveexec_b64 s[0:1], vcc
	s_cbranch_execz .LBB120_162
; %bb.161:
	v_add_co_u32_e32 v10, vcc, 0x2000, v6
	v_addc_co_u32_e32 v11, vcc, 0, v7, vcc
	flat_store_dword v[10:11], v9 offset:2048
.LBB120_162:
	;; [unrolled: 10-line block ×3, first 2 shown]
	s_or_b64 exec, exec, s[0:1]
	v_or_b32_e32 v4, 0xc00, v0
	v_cmp_gt_u32_e32 vcc, s33, v4
	s_and_saveexec_b64 s[0:1], vcc
	s_cbranch_execz .LBB120_166
; %bb.165:
	v_add_co_u32_e32 v6, vcc, 0x3000, v6
	v_addc_co_u32_e32 v7, vcc, 0, v7, vcc
	flat_store_dword v[6:7], v5
.LBB120_166:
	s_or_b64 exec, exec, s[0:1]
	v_or_b32_e32 v4, 0xd00, v0
	v_cmp_gt_u32_e64 s[0:1], s33, v4
	s_branch .LBB120_169
.LBB120_167:
	s_mov_b64 s[0:1], 0
                                        ; implicit-def: $vgpr3
	s_cbranch_execz .LBB120_169
; %bb.168:
	s_movk_i32 s2, 0xffcc
	s_waitcnt lgkmcnt(0)
	s_barrier
	ds_write2_b64 v2, v[26:27], v[42:43] offset1:1
	ds_write2_b64 v2, v[30:31], v[44:45] offset0:2 offset1:3
	ds_write2_b64 v2, v[34:35], v[46:47] offset0:4 offset1:5
	ds_write_b64 v2, v[48:49] offset:48
	v_mad_i32_i24 v2, v0, s2, v2
	v_mov_b32_e32 v17, s5
	v_add_co_u32_e32 v16, vcc, s4, v50
	s_waitcnt lgkmcnt(0)
	s_barrier
	ds_read2st64_b32 v[4:5], v2 offset1:4
	ds_read2st64_b32 v[6:7], v2 offset0:8 offset1:12
	ds_read2st64_b32 v[8:9], v2 offset0:16 offset1:20
	;; [unrolled: 1-line block ×6, first 2 shown]
	v_addc_co_u32_e32 v17, vcc, 0, v17, vcc
	s_movk_i32 s2, 0x1000
	s_waitcnt lgkmcnt(0)
	flat_store_dword v[16:17], v4
	flat_store_dword v[16:17], v5 offset:1024
	flat_store_dword v[16:17], v6 offset:2048
	;; [unrolled: 1-line block ×3, first 2 shown]
	v_add_co_u32_e32 v4, vcc, s2, v16
	v_addc_co_u32_e32 v5, vcc, 0, v17, vcc
	flat_store_dword v[4:5], v8
	flat_store_dword v[4:5], v9 offset:1024
	flat_store_dword v[4:5], v10 offset:2048
	;; [unrolled: 1-line block ×3, first 2 shown]
	v_add_co_u32_e32 v4, vcc, 0x2000, v16
	v_addc_co_u32_e32 v5, vcc, 0, v17, vcc
	flat_store_dword v[4:5], v12
	flat_store_dword v[4:5], v13 offset:1024
	flat_store_dword v[4:5], v14 offset:2048
	;; [unrolled: 1-line block ×3, first 2 shown]
	v_add_co_u32_e32 v4, vcc, 0x3000, v16
	v_mov_b32_e32 v1, 0
	v_addc_co_u32_e32 v5, vcc, 0, v17, vcc
	s_or_b64 s[0:1], s[0:1], exec
	flat_store_dword v[4:5], v2
.LBB120_169:
	s_and_saveexec_b64 s[2:3], s[0:1]
	s_cbranch_execz .LBB120_171
; %bb.170:
	v_lshlrev_b64 v[0:1], 2, v[0:1]
	v_mov_b32_e32 v2, s5
	v_add_co_u32_e32 v0, vcc, s4, v0
	v_addc_co_u32_e32 v1, vcc, v2, v1, vcc
	v_add_co_u32_e32 v0, vcc, 0x3000, v0
	v_addc_co_u32_e32 v1, vcc, 0, v1, vcc
	flat_store_dword v[0:1], v3 offset:1024
	s_endpgm
.LBB120_171:
	s_endpgm
	.section	.rodata,"a",@progbits
	.p2align	6, 0x0
	.amdhsa_kernel _ZN7rocprim17ROCPRIM_400000_NS6detail17trampoline_kernelINS0_14default_configENS1_27scan_by_key_config_selectorIiiEEZZNS1_16scan_by_key_implILNS1_25lookback_scan_determinismE0ELb1ES3_N6thrust23THRUST_200600_302600_NS6detail15normal_iteratorINS9_10device_ptrIiEEEESE_SE_iNS9_4plusIvEE19head_flag_predicateIiEiEE10hipError_tPvRmT2_T3_T4_T5_mT6_T7_P12ihipStream_tbENKUlT_T0_E_clISt17integral_constantIbLb0EESZ_EEDaSU_SV_EUlSU_E_NS1_11comp_targetILNS1_3genE4ELNS1_11target_archE910ELNS1_3gpuE8ELNS1_3repE0EEENS1_30default_config_static_selectorELNS0_4arch9wavefront6targetE1EEEvT1_
		.amdhsa_group_segment_fixed_size 16384
		.amdhsa_private_segment_fixed_size 0
		.amdhsa_kernarg_size 112
		.amdhsa_user_sgpr_count 6
		.amdhsa_user_sgpr_private_segment_buffer 1
		.amdhsa_user_sgpr_dispatch_ptr 0
		.amdhsa_user_sgpr_queue_ptr 0
		.amdhsa_user_sgpr_kernarg_segment_ptr 1
		.amdhsa_user_sgpr_dispatch_id 0
		.amdhsa_user_sgpr_flat_scratch_init 0
		.amdhsa_user_sgpr_kernarg_preload_length 0
		.amdhsa_user_sgpr_kernarg_preload_offset 0
		.amdhsa_user_sgpr_private_segment_size 0
		.amdhsa_uses_dynamic_stack 0
		.amdhsa_system_sgpr_private_segment_wavefront_offset 0
		.amdhsa_system_sgpr_workgroup_id_x 1
		.amdhsa_system_sgpr_workgroup_id_y 0
		.amdhsa_system_sgpr_workgroup_id_z 0
		.amdhsa_system_sgpr_workgroup_info 0
		.amdhsa_system_vgpr_workitem_id 0
		.amdhsa_next_free_vgpr 65
		.amdhsa_next_free_sgpr 60
		.amdhsa_accum_offset 68
		.amdhsa_reserve_vcc 1
		.amdhsa_reserve_flat_scratch 0
		.amdhsa_float_round_mode_32 0
		.amdhsa_float_round_mode_16_64 0
		.amdhsa_float_denorm_mode_32 3
		.amdhsa_float_denorm_mode_16_64 3
		.amdhsa_dx10_clamp 1
		.amdhsa_ieee_mode 1
		.amdhsa_fp16_overflow 0
		.amdhsa_tg_split 0
		.amdhsa_exception_fp_ieee_invalid_op 0
		.amdhsa_exception_fp_denorm_src 0
		.amdhsa_exception_fp_ieee_div_zero 0
		.amdhsa_exception_fp_ieee_overflow 0
		.amdhsa_exception_fp_ieee_underflow 0
		.amdhsa_exception_fp_ieee_inexact 0
		.amdhsa_exception_int_div_zero 0
	.end_amdhsa_kernel
	.section	.text._ZN7rocprim17ROCPRIM_400000_NS6detail17trampoline_kernelINS0_14default_configENS1_27scan_by_key_config_selectorIiiEEZZNS1_16scan_by_key_implILNS1_25lookback_scan_determinismE0ELb1ES3_N6thrust23THRUST_200600_302600_NS6detail15normal_iteratorINS9_10device_ptrIiEEEESE_SE_iNS9_4plusIvEE19head_flag_predicateIiEiEE10hipError_tPvRmT2_T3_T4_T5_mT6_T7_P12ihipStream_tbENKUlT_T0_E_clISt17integral_constantIbLb0EESZ_EEDaSU_SV_EUlSU_E_NS1_11comp_targetILNS1_3genE4ELNS1_11target_archE910ELNS1_3gpuE8ELNS1_3repE0EEENS1_30default_config_static_selectorELNS0_4arch9wavefront6targetE1EEEvT1_,"axG",@progbits,_ZN7rocprim17ROCPRIM_400000_NS6detail17trampoline_kernelINS0_14default_configENS1_27scan_by_key_config_selectorIiiEEZZNS1_16scan_by_key_implILNS1_25lookback_scan_determinismE0ELb1ES3_N6thrust23THRUST_200600_302600_NS6detail15normal_iteratorINS9_10device_ptrIiEEEESE_SE_iNS9_4plusIvEE19head_flag_predicateIiEiEE10hipError_tPvRmT2_T3_T4_T5_mT6_T7_P12ihipStream_tbENKUlT_T0_E_clISt17integral_constantIbLb0EESZ_EEDaSU_SV_EUlSU_E_NS1_11comp_targetILNS1_3genE4ELNS1_11target_archE910ELNS1_3gpuE8ELNS1_3repE0EEENS1_30default_config_static_selectorELNS0_4arch9wavefront6targetE1EEEvT1_,comdat
.Lfunc_end120:
	.size	_ZN7rocprim17ROCPRIM_400000_NS6detail17trampoline_kernelINS0_14default_configENS1_27scan_by_key_config_selectorIiiEEZZNS1_16scan_by_key_implILNS1_25lookback_scan_determinismE0ELb1ES3_N6thrust23THRUST_200600_302600_NS6detail15normal_iteratorINS9_10device_ptrIiEEEESE_SE_iNS9_4plusIvEE19head_flag_predicateIiEiEE10hipError_tPvRmT2_T3_T4_T5_mT6_T7_P12ihipStream_tbENKUlT_T0_E_clISt17integral_constantIbLb0EESZ_EEDaSU_SV_EUlSU_E_NS1_11comp_targetILNS1_3genE4ELNS1_11target_archE910ELNS1_3gpuE8ELNS1_3repE0EEENS1_30default_config_static_selectorELNS0_4arch9wavefront6targetE1EEEvT1_, .Lfunc_end120-_ZN7rocprim17ROCPRIM_400000_NS6detail17trampoline_kernelINS0_14default_configENS1_27scan_by_key_config_selectorIiiEEZZNS1_16scan_by_key_implILNS1_25lookback_scan_determinismE0ELb1ES3_N6thrust23THRUST_200600_302600_NS6detail15normal_iteratorINS9_10device_ptrIiEEEESE_SE_iNS9_4plusIvEE19head_flag_predicateIiEiEE10hipError_tPvRmT2_T3_T4_T5_mT6_T7_P12ihipStream_tbENKUlT_T0_E_clISt17integral_constantIbLb0EESZ_EEDaSU_SV_EUlSU_E_NS1_11comp_targetILNS1_3genE4ELNS1_11target_archE910ELNS1_3gpuE8ELNS1_3repE0EEENS1_30default_config_static_selectorELNS0_4arch9wavefront6targetE1EEEvT1_
                                        ; -- End function
	.section	.AMDGPU.csdata,"",@progbits
; Kernel info:
; codeLenInByte = 11160
; NumSgprs: 64
; NumVgprs: 65
; NumAgprs: 0
; TotalNumVgprs: 65
; ScratchSize: 0
; MemoryBound: 0
; FloatMode: 240
; IeeeMode: 1
; LDSByteSize: 16384 bytes/workgroup (compile time only)
; SGPRBlocks: 7
; VGPRBlocks: 8
; NumSGPRsForWavesPerEU: 64
; NumVGPRsForWavesPerEU: 65
; AccumOffset: 68
; Occupancy: 4
; WaveLimiterHint : 1
; COMPUTE_PGM_RSRC2:SCRATCH_EN: 0
; COMPUTE_PGM_RSRC2:USER_SGPR: 6
; COMPUTE_PGM_RSRC2:TRAP_HANDLER: 0
; COMPUTE_PGM_RSRC2:TGID_X_EN: 1
; COMPUTE_PGM_RSRC2:TGID_Y_EN: 0
; COMPUTE_PGM_RSRC2:TGID_Z_EN: 0
; COMPUTE_PGM_RSRC2:TIDIG_COMP_CNT: 0
; COMPUTE_PGM_RSRC3_GFX90A:ACCUM_OFFSET: 16
; COMPUTE_PGM_RSRC3_GFX90A:TG_SPLIT: 0
	.section	.text._ZN7rocprim17ROCPRIM_400000_NS6detail17trampoline_kernelINS0_14default_configENS1_27scan_by_key_config_selectorIiiEEZZNS1_16scan_by_key_implILNS1_25lookback_scan_determinismE0ELb1ES3_N6thrust23THRUST_200600_302600_NS6detail15normal_iteratorINS9_10device_ptrIiEEEESE_SE_iNS9_4plusIvEE19head_flag_predicateIiEiEE10hipError_tPvRmT2_T3_T4_T5_mT6_T7_P12ihipStream_tbENKUlT_T0_E_clISt17integral_constantIbLb0EESZ_EEDaSU_SV_EUlSU_E_NS1_11comp_targetILNS1_3genE3ELNS1_11target_archE908ELNS1_3gpuE7ELNS1_3repE0EEENS1_30default_config_static_selectorELNS0_4arch9wavefront6targetE1EEEvT1_,"axG",@progbits,_ZN7rocprim17ROCPRIM_400000_NS6detail17trampoline_kernelINS0_14default_configENS1_27scan_by_key_config_selectorIiiEEZZNS1_16scan_by_key_implILNS1_25lookback_scan_determinismE0ELb1ES3_N6thrust23THRUST_200600_302600_NS6detail15normal_iteratorINS9_10device_ptrIiEEEESE_SE_iNS9_4plusIvEE19head_flag_predicateIiEiEE10hipError_tPvRmT2_T3_T4_T5_mT6_T7_P12ihipStream_tbENKUlT_T0_E_clISt17integral_constantIbLb0EESZ_EEDaSU_SV_EUlSU_E_NS1_11comp_targetILNS1_3genE3ELNS1_11target_archE908ELNS1_3gpuE7ELNS1_3repE0EEENS1_30default_config_static_selectorELNS0_4arch9wavefront6targetE1EEEvT1_,comdat
	.protected	_ZN7rocprim17ROCPRIM_400000_NS6detail17trampoline_kernelINS0_14default_configENS1_27scan_by_key_config_selectorIiiEEZZNS1_16scan_by_key_implILNS1_25lookback_scan_determinismE0ELb1ES3_N6thrust23THRUST_200600_302600_NS6detail15normal_iteratorINS9_10device_ptrIiEEEESE_SE_iNS9_4plusIvEE19head_flag_predicateIiEiEE10hipError_tPvRmT2_T3_T4_T5_mT6_T7_P12ihipStream_tbENKUlT_T0_E_clISt17integral_constantIbLb0EESZ_EEDaSU_SV_EUlSU_E_NS1_11comp_targetILNS1_3genE3ELNS1_11target_archE908ELNS1_3gpuE7ELNS1_3repE0EEENS1_30default_config_static_selectorELNS0_4arch9wavefront6targetE1EEEvT1_ ; -- Begin function _ZN7rocprim17ROCPRIM_400000_NS6detail17trampoline_kernelINS0_14default_configENS1_27scan_by_key_config_selectorIiiEEZZNS1_16scan_by_key_implILNS1_25lookback_scan_determinismE0ELb1ES3_N6thrust23THRUST_200600_302600_NS6detail15normal_iteratorINS9_10device_ptrIiEEEESE_SE_iNS9_4plusIvEE19head_flag_predicateIiEiEE10hipError_tPvRmT2_T3_T4_T5_mT6_T7_P12ihipStream_tbENKUlT_T0_E_clISt17integral_constantIbLb0EESZ_EEDaSU_SV_EUlSU_E_NS1_11comp_targetILNS1_3genE3ELNS1_11target_archE908ELNS1_3gpuE7ELNS1_3repE0EEENS1_30default_config_static_selectorELNS0_4arch9wavefront6targetE1EEEvT1_
	.globl	_ZN7rocprim17ROCPRIM_400000_NS6detail17trampoline_kernelINS0_14default_configENS1_27scan_by_key_config_selectorIiiEEZZNS1_16scan_by_key_implILNS1_25lookback_scan_determinismE0ELb1ES3_N6thrust23THRUST_200600_302600_NS6detail15normal_iteratorINS9_10device_ptrIiEEEESE_SE_iNS9_4plusIvEE19head_flag_predicateIiEiEE10hipError_tPvRmT2_T3_T4_T5_mT6_T7_P12ihipStream_tbENKUlT_T0_E_clISt17integral_constantIbLb0EESZ_EEDaSU_SV_EUlSU_E_NS1_11comp_targetILNS1_3genE3ELNS1_11target_archE908ELNS1_3gpuE7ELNS1_3repE0EEENS1_30default_config_static_selectorELNS0_4arch9wavefront6targetE1EEEvT1_
	.p2align	8
	.type	_ZN7rocprim17ROCPRIM_400000_NS6detail17trampoline_kernelINS0_14default_configENS1_27scan_by_key_config_selectorIiiEEZZNS1_16scan_by_key_implILNS1_25lookback_scan_determinismE0ELb1ES3_N6thrust23THRUST_200600_302600_NS6detail15normal_iteratorINS9_10device_ptrIiEEEESE_SE_iNS9_4plusIvEE19head_flag_predicateIiEiEE10hipError_tPvRmT2_T3_T4_T5_mT6_T7_P12ihipStream_tbENKUlT_T0_E_clISt17integral_constantIbLb0EESZ_EEDaSU_SV_EUlSU_E_NS1_11comp_targetILNS1_3genE3ELNS1_11target_archE908ELNS1_3gpuE7ELNS1_3repE0EEENS1_30default_config_static_selectorELNS0_4arch9wavefront6targetE1EEEvT1_,@function
_ZN7rocprim17ROCPRIM_400000_NS6detail17trampoline_kernelINS0_14default_configENS1_27scan_by_key_config_selectorIiiEEZZNS1_16scan_by_key_implILNS1_25lookback_scan_determinismE0ELb1ES3_N6thrust23THRUST_200600_302600_NS6detail15normal_iteratorINS9_10device_ptrIiEEEESE_SE_iNS9_4plusIvEE19head_flag_predicateIiEiEE10hipError_tPvRmT2_T3_T4_T5_mT6_T7_P12ihipStream_tbENKUlT_T0_E_clISt17integral_constantIbLb0EESZ_EEDaSU_SV_EUlSU_E_NS1_11comp_targetILNS1_3genE3ELNS1_11target_archE908ELNS1_3gpuE7ELNS1_3repE0EEENS1_30default_config_static_selectorELNS0_4arch9wavefront6targetE1EEEvT1_: ; @_ZN7rocprim17ROCPRIM_400000_NS6detail17trampoline_kernelINS0_14default_configENS1_27scan_by_key_config_selectorIiiEEZZNS1_16scan_by_key_implILNS1_25lookback_scan_determinismE0ELb1ES3_N6thrust23THRUST_200600_302600_NS6detail15normal_iteratorINS9_10device_ptrIiEEEESE_SE_iNS9_4plusIvEE19head_flag_predicateIiEiEE10hipError_tPvRmT2_T3_T4_T5_mT6_T7_P12ihipStream_tbENKUlT_T0_E_clISt17integral_constantIbLb0EESZ_EEDaSU_SV_EUlSU_E_NS1_11comp_targetILNS1_3genE3ELNS1_11target_archE908ELNS1_3gpuE7ELNS1_3repE0EEENS1_30default_config_static_selectorELNS0_4arch9wavefront6targetE1EEEvT1_
; %bb.0:
	.section	.rodata,"a",@progbits
	.p2align	6, 0x0
	.amdhsa_kernel _ZN7rocprim17ROCPRIM_400000_NS6detail17trampoline_kernelINS0_14default_configENS1_27scan_by_key_config_selectorIiiEEZZNS1_16scan_by_key_implILNS1_25lookback_scan_determinismE0ELb1ES3_N6thrust23THRUST_200600_302600_NS6detail15normal_iteratorINS9_10device_ptrIiEEEESE_SE_iNS9_4plusIvEE19head_flag_predicateIiEiEE10hipError_tPvRmT2_T3_T4_T5_mT6_T7_P12ihipStream_tbENKUlT_T0_E_clISt17integral_constantIbLb0EESZ_EEDaSU_SV_EUlSU_E_NS1_11comp_targetILNS1_3genE3ELNS1_11target_archE908ELNS1_3gpuE7ELNS1_3repE0EEENS1_30default_config_static_selectorELNS0_4arch9wavefront6targetE1EEEvT1_
		.amdhsa_group_segment_fixed_size 0
		.amdhsa_private_segment_fixed_size 0
		.amdhsa_kernarg_size 112
		.amdhsa_user_sgpr_count 6
		.amdhsa_user_sgpr_private_segment_buffer 1
		.amdhsa_user_sgpr_dispatch_ptr 0
		.amdhsa_user_sgpr_queue_ptr 0
		.amdhsa_user_sgpr_kernarg_segment_ptr 1
		.amdhsa_user_sgpr_dispatch_id 0
		.amdhsa_user_sgpr_flat_scratch_init 0
		.amdhsa_user_sgpr_kernarg_preload_length 0
		.amdhsa_user_sgpr_kernarg_preload_offset 0
		.amdhsa_user_sgpr_private_segment_size 0
		.amdhsa_uses_dynamic_stack 0
		.amdhsa_system_sgpr_private_segment_wavefront_offset 0
		.amdhsa_system_sgpr_workgroup_id_x 1
		.amdhsa_system_sgpr_workgroup_id_y 0
		.amdhsa_system_sgpr_workgroup_id_z 0
		.amdhsa_system_sgpr_workgroup_info 0
		.amdhsa_system_vgpr_workitem_id 0
		.amdhsa_next_free_vgpr 1
		.amdhsa_next_free_sgpr 0
		.amdhsa_accum_offset 4
		.amdhsa_reserve_vcc 0
		.amdhsa_reserve_flat_scratch 0
		.amdhsa_float_round_mode_32 0
		.amdhsa_float_round_mode_16_64 0
		.amdhsa_float_denorm_mode_32 3
		.amdhsa_float_denorm_mode_16_64 3
		.amdhsa_dx10_clamp 1
		.amdhsa_ieee_mode 1
		.amdhsa_fp16_overflow 0
		.amdhsa_tg_split 0
		.amdhsa_exception_fp_ieee_invalid_op 0
		.amdhsa_exception_fp_denorm_src 0
		.amdhsa_exception_fp_ieee_div_zero 0
		.amdhsa_exception_fp_ieee_overflow 0
		.amdhsa_exception_fp_ieee_underflow 0
		.amdhsa_exception_fp_ieee_inexact 0
		.amdhsa_exception_int_div_zero 0
	.end_amdhsa_kernel
	.section	.text._ZN7rocprim17ROCPRIM_400000_NS6detail17trampoline_kernelINS0_14default_configENS1_27scan_by_key_config_selectorIiiEEZZNS1_16scan_by_key_implILNS1_25lookback_scan_determinismE0ELb1ES3_N6thrust23THRUST_200600_302600_NS6detail15normal_iteratorINS9_10device_ptrIiEEEESE_SE_iNS9_4plusIvEE19head_flag_predicateIiEiEE10hipError_tPvRmT2_T3_T4_T5_mT6_T7_P12ihipStream_tbENKUlT_T0_E_clISt17integral_constantIbLb0EESZ_EEDaSU_SV_EUlSU_E_NS1_11comp_targetILNS1_3genE3ELNS1_11target_archE908ELNS1_3gpuE7ELNS1_3repE0EEENS1_30default_config_static_selectorELNS0_4arch9wavefront6targetE1EEEvT1_,"axG",@progbits,_ZN7rocprim17ROCPRIM_400000_NS6detail17trampoline_kernelINS0_14default_configENS1_27scan_by_key_config_selectorIiiEEZZNS1_16scan_by_key_implILNS1_25lookback_scan_determinismE0ELb1ES3_N6thrust23THRUST_200600_302600_NS6detail15normal_iteratorINS9_10device_ptrIiEEEESE_SE_iNS9_4plusIvEE19head_flag_predicateIiEiEE10hipError_tPvRmT2_T3_T4_T5_mT6_T7_P12ihipStream_tbENKUlT_T0_E_clISt17integral_constantIbLb0EESZ_EEDaSU_SV_EUlSU_E_NS1_11comp_targetILNS1_3genE3ELNS1_11target_archE908ELNS1_3gpuE7ELNS1_3repE0EEENS1_30default_config_static_selectorELNS0_4arch9wavefront6targetE1EEEvT1_,comdat
.Lfunc_end121:
	.size	_ZN7rocprim17ROCPRIM_400000_NS6detail17trampoline_kernelINS0_14default_configENS1_27scan_by_key_config_selectorIiiEEZZNS1_16scan_by_key_implILNS1_25lookback_scan_determinismE0ELb1ES3_N6thrust23THRUST_200600_302600_NS6detail15normal_iteratorINS9_10device_ptrIiEEEESE_SE_iNS9_4plusIvEE19head_flag_predicateIiEiEE10hipError_tPvRmT2_T3_T4_T5_mT6_T7_P12ihipStream_tbENKUlT_T0_E_clISt17integral_constantIbLb0EESZ_EEDaSU_SV_EUlSU_E_NS1_11comp_targetILNS1_3genE3ELNS1_11target_archE908ELNS1_3gpuE7ELNS1_3repE0EEENS1_30default_config_static_selectorELNS0_4arch9wavefront6targetE1EEEvT1_, .Lfunc_end121-_ZN7rocprim17ROCPRIM_400000_NS6detail17trampoline_kernelINS0_14default_configENS1_27scan_by_key_config_selectorIiiEEZZNS1_16scan_by_key_implILNS1_25lookback_scan_determinismE0ELb1ES3_N6thrust23THRUST_200600_302600_NS6detail15normal_iteratorINS9_10device_ptrIiEEEESE_SE_iNS9_4plusIvEE19head_flag_predicateIiEiEE10hipError_tPvRmT2_T3_T4_T5_mT6_T7_P12ihipStream_tbENKUlT_T0_E_clISt17integral_constantIbLb0EESZ_EEDaSU_SV_EUlSU_E_NS1_11comp_targetILNS1_3genE3ELNS1_11target_archE908ELNS1_3gpuE7ELNS1_3repE0EEENS1_30default_config_static_selectorELNS0_4arch9wavefront6targetE1EEEvT1_
                                        ; -- End function
	.section	.AMDGPU.csdata,"",@progbits
; Kernel info:
; codeLenInByte = 0
; NumSgprs: 4
; NumVgprs: 0
; NumAgprs: 0
; TotalNumVgprs: 0
; ScratchSize: 0
; MemoryBound: 0
; FloatMode: 240
; IeeeMode: 1
; LDSByteSize: 0 bytes/workgroup (compile time only)
; SGPRBlocks: 0
; VGPRBlocks: 0
; NumSGPRsForWavesPerEU: 4
; NumVGPRsForWavesPerEU: 1
; AccumOffset: 4
; Occupancy: 8
; WaveLimiterHint : 0
; COMPUTE_PGM_RSRC2:SCRATCH_EN: 0
; COMPUTE_PGM_RSRC2:USER_SGPR: 6
; COMPUTE_PGM_RSRC2:TRAP_HANDLER: 0
; COMPUTE_PGM_RSRC2:TGID_X_EN: 1
; COMPUTE_PGM_RSRC2:TGID_Y_EN: 0
; COMPUTE_PGM_RSRC2:TGID_Z_EN: 0
; COMPUTE_PGM_RSRC2:TIDIG_COMP_CNT: 0
; COMPUTE_PGM_RSRC3_GFX90A:ACCUM_OFFSET: 0
; COMPUTE_PGM_RSRC3_GFX90A:TG_SPLIT: 0
	.section	.text._ZN7rocprim17ROCPRIM_400000_NS6detail17trampoline_kernelINS0_14default_configENS1_27scan_by_key_config_selectorIiiEEZZNS1_16scan_by_key_implILNS1_25lookback_scan_determinismE0ELb1ES3_N6thrust23THRUST_200600_302600_NS6detail15normal_iteratorINS9_10device_ptrIiEEEESE_SE_iNS9_4plusIvEE19head_flag_predicateIiEiEE10hipError_tPvRmT2_T3_T4_T5_mT6_T7_P12ihipStream_tbENKUlT_T0_E_clISt17integral_constantIbLb0EESZ_EEDaSU_SV_EUlSU_E_NS1_11comp_targetILNS1_3genE2ELNS1_11target_archE906ELNS1_3gpuE6ELNS1_3repE0EEENS1_30default_config_static_selectorELNS0_4arch9wavefront6targetE1EEEvT1_,"axG",@progbits,_ZN7rocprim17ROCPRIM_400000_NS6detail17trampoline_kernelINS0_14default_configENS1_27scan_by_key_config_selectorIiiEEZZNS1_16scan_by_key_implILNS1_25lookback_scan_determinismE0ELb1ES3_N6thrust23THRUST_200600_302600_NS6detail15normal_iteratorINS9_10device_ptrIiEEEESE_SE_iNS9_4plusIvEE19head_flag_predicateIiEiEE10hipError_tPvRmT2_T3_T4_T5_mT6_T7_P12ihipStream_tbENKUlT_T0_E_clISt17integral_constantIbLb0EESZ_EEDaSU_SV_EUlSU_E_NS1_11comp_targetILNS1_3genE2ELNS1_11target_archE906ELNS1_3gpuE6ELNS1_3repE0EEENS1_30default_config_static_selectorELNS0_4arch9wavefront6targetE1EEEvT1_,comdat
	.protected	_ZN7rocprim17ROCPRIM_400000_NS6detail17trampoline_kernelINS0_14default_configENS1_27scan_by_key_config_selectorIiiEEZZNS1_16scan_by_key_implILNS1_25lookback_scan_determinismE0ELb1ES3_N6thrust23THRUST_200600_302600_NS6detail15normal_iteratorINS9_10device_ptrIiEEEESE_SE_iNS9_4plusIvEE19head_flag_predicateIiEiEE10hipError_tPvRmT2_T3_T4_T5_mT6_T7_P12ihipStream_tbENKUlT_T0_E_clISt17integral_constantIbLb0EESZ_EEDaSU_SV_EUlSU_E_NS1_11comp_targetILNS1_3genE2ELNS1_11target_archE906ELNS1_3gpuE6ELNS1_3repE0EEENS1_30default_config_static_selectorELNS0_4arch9wavefront6targetE1EEEvT1_ ; -- Begin function _ZN7rocprim17ROCPRIM_400000_NS6detail17trampoline_kernelINS0_14default_configENS1_27scan_by_key_config_selectorIiiEEZZNS1_16scan_by_key_implILNS1_25lookback_scan_determinismE0ELb1ES3_N6thrust23THRUST_200600_302600_NS6detail15normal_iteratorINS9_10device_ptrIiEEEESE_SE_iNS9_4plusIvEE19head_flag_predicateIiEiEE10hipError_tPvRmT2_T3_T4_T5_mT6_T7_P12ihipStream_tbENKUlT_T0_E_clISt17integral_constantIbLb0EESZ_EEDaSU_SV_EUlSU_E_NS1_11comp_targetILNS1_3genE2ELNS1_11target_archE906ELNS1_3gpuE6ELNS1_3repE0EEENS1_30default_config_static_selectorELNS0_4arch9wavefront6targetE1EEEvT1_
	.globl	_ZN7rocprim17ROCPRIM_400000_NS6detail17trampoline_kernelINS0_14default_configENS1_27scan_by_key_config_selectorIiiEEZZNS1_16scan_by_key_implILNS1_25lookback_scan_determinismE0ELb1ES3_N6thrust23THRUST_200600_302600_NS6detail15normal_iteratorINS9_10device_ptrIiEEEESE_SE_iNS9_4plusIvEE19head_flag_predicateIiEiEE10hipError_tPvRmT2_T3_T4_T5_mT6_T7_P12ihipStream_tbENKUlT_T0_E_clISt17integral_constantIbLb0EESZ_EEDaSU_SV_EUlSU_E_NS1_11comp_targetILNS1_3genE2ELNS1_11target_archE906ELNS1_3gpuE6ELNS1_3repE0EEENS1_30default_config_static_selectorELNS0_4arch9wavefront6targetE1EEEvT1_
	.p2align	8
	.type	_ZN7rocprim17ROCPRIM_400000_NS6detail17trampoline_kernelINS0_14default_configENS1_27scan_by_key_config_selectorIiiEEZZNS1_16scan_by_key_implILNS1_25lookback_scan_determinismE0ELb1ES3_N6thrust23THRUST_200600_302600_NS6detail15normal_iteratorINS9_10device_ptrIiEEEESE_SE_iNS9_4plusIvEE19head_flag_predicateIiEiEE10hipError_tPvRmT2_T3_T4_T5_mT6_T7_P12ihipStream_tbENKUlT_T0_E_clISt17integral_constantIbLb0EESZ_EEDaSU_SV_EUlSU_E_NS1_11comp_targetILNS1_3genE2ELNS1_11target_archE906ELNS1_3gpuE6ELNS1_3repE0EEENS1_30default_config_static_selectorELNS0_4arch9wavefront6targetE1EEEvT1_,@function
_ZN7rocprim17ROCPRIM_400000_NS6detail17trampoline_kernelINS0_14default_configENS1_27scan_by_key_config_selectorIiiEEZZNS1_16scan_by_key_implILNS1_25lookback_scan_determinismE0ELb1ES3_N6thrust23THRUST_200600_302600_NS6detail15normal_iteratorINS9_10device_ptrIiEEEESE_SE_iNS9_4plusIvEE19head_flag_predicateIiEiEE10hipError_tPvRmT2_T3_T4_T5_mT6_T7_P12ihipStream_tbENKUlT_T0_E_clISt17integral_constantIbLb0EESZ_EEDaSU_SV_EUlSU_E_NS1_11comp_targetILNS1_3genE2ELNS1_11target_archE906ELNS1_3gpuE6ELNS1_3repE0EEENS1_30default_config_static_selectorELNS0_4arch9wavefront6targetE1EEEvT1_: ; @_ZN7rocprim17ROCPRIM_400000_NS6detail17trampoline_kernelINS0_14default_configENS1_27scan_by_key_config_selectorIiiEEZZNS1_16scan_by_key_implILNS1_25lookback_scan_determinismE0ELb1ES3_N6thrust23THRUST_200600_302600_NS6detail15normal_iteratorINS9_10device_ptrIiEEEESE_SE_iNS9_4plusIvEE19head_flag_predicateIiEiEE10hipError_tPvRmT2_T3_T4_T5_mT6_T7_P12ihipStream_tbENKUlT_T0_E_clISt17integral_constantIbLb0EESZ_EEDaSU_SV_EUlSU_E_NS1_11comp_targetILNS1_3genE2ELNS1_11target_archE906ELNS1_3gpuE6ELNS1_3repE0EEENS1_30default_config_static_selectorELNS0_4arch9wavefront6targetE1EEEvT1_
; %bb.0:
	.section	.rodata,"a",@progbits
	.p2align	6, 0x0
	.amdhsa_kernel _ZN7rocprim17ROCPRIM_400000_NS6detail17trampoline_kernelINS0_14default_configENS1_27scan_by_key_config_selectorIiiEEZZNS1_16scan_by_key_implILNS1_25lookback_scan_determinismE0ELb1ES3_N6thrust23THRUST_200600_302600_NS6detail15normal_iteratorINS9_10device_ptrIiEEEESE_SE_iNS9_4plusIvEE19head_flag_predicateIiEiEE10hipError_tPvRmT2_T3_T4_T5_mT6_T7_P12ihipStream_tbENKUlT_T0_E_clISt17integral_constantIbLb0EESZ_EEDaSU_SV_EUlSU_E_NS1_11comp_targetILNS1_3genE2ELNS1_11target_archE906ELNS1_3gpuE6ELNS1_3repE0EEENS1_30default_config_static_selectorELNS0_4arch9wavefront6targetE1EEEvT1_
		.amdhsa_group_segment_fixed_size 0
		.amdhsa_private_segment_fixed_size 0
		.amdhsa_kernarg_size 112
		.amdhsa_user_sgpr_count 6
		.amdhsa_user_sgpr_private_segment_buffer 1
		.amdhsa_user_sgpr_dispatch_ptr 0
		.amdhsa_user_sgpr_queue_ptr 0
		.amdhsa_user_sgpr_kernarg_segment_ptr 1
		.amdhsa_user_sgpr_dispatch_id 0
		.amdhsa_user_sgpr_flat_scratch_init 0
		.amdhsa_user_sgpr_kernarg_preload_length 0
		.amdhsa_user_sgpr_kernarg_preload_offset 0
		.amdhsa_user_sgpr_private_segment_size 0
		.amdhsa_uses_dynamic_stack 0
		.amdhsa_system_sgpr_private_segment_wavefront_offset 0
		.amdhsa_system_sgpr_workgroup_id_x 1
		.amdhsa_system_sgpr_workgroup_id_y 0
		.amdhsa_system_sgpr_workgroup_id_z 0
		.amdhsa_system_sgpr_workgroup_info 0
		.amdhsa_system_vgpr_workitem_id 0
		.amdhsa_next_free_vgpr 1
		.amdhsa_next_free_sgpr 0
		.amdhsa_accum_offset 4
		.amdhsa_reserve_vcc 0
		.amdhsa_reserve_flat_scratch 0
		.amdhsa_float_round_mode_32 0
		.amdhsa_float_round_mode_16_64 0
		.amdhsa_float_denorm_mode_32 3
		.amdhsa_float_denorm_mode_16_64 3
		.amdhsa_dx10_clamp 1
		.amdhsa_ieee_mode 1
		.amdhsa_fp16_overflow 0
		.amdhsa_tg_split 0
		.amdhsa_exception_fp_ieee_invalid_op 0
		.amdhsa_exception_fp_denorm_src 0
		.amdhsa_exception_fp_ieee_div_zero 0
		.amdhsa_exception_fp_ieee_overflow 0
		.amdhsa_exception_fp_ieee_underflow 0
		.amdhsa_exception_fp_ieee_inexact 0
		.amdhsa_exception_int_div_zero 0
	.end_amdhsa_kernel
	.section	.text._ZN7rocprim17ROCPRIM_400000_NS6detail17trampoline_kernelINS0_14default_configENS1_27scan_by_key_config_selectorIiiEEZZNS1_16scan_by_key_implILNS1_25lookback_scan_determinismE0ELb1ES3_N6thrust23THRUST_200600_302600_NS6detail15normal_iteratorINS9_10device_ptrIiEEEESE_SE_iNS9_4plusIvEE19head_flag_predicateIiEiEE10hipError_tPvRmT2_T3_T4_T5_mT6_T7_P12ihipStream_tbENKUlT_T0_E_clISt17integral_constantIbLb0EESZ_EEDaSU_SV_EUlSU_E_NS1_11comp_targetILNS1_3genE2ELNS1_11target_archE906ELNS1_3gpuE6ELNS1_3repE0EEENS1_30default_config_static_selectorELNS0_4arch9wavefront6targetE1EEEvT1_,"axG",@progbits,_ZN7rocprim17ROCPRIM_400000_NS6detail17trampoline_kernelINS0_14default_configENS1_27scan_by_key_config_selectorIiiEEZZNS1_16scan_by_key_implILNS1_25lookback_scan_determinismE0ELb1ES3_N6thrust23THRUST_200600_302600_NS6detail15normal_iteratorINS9_10device_ptrIiEEEESE_SE_iNS9_4plusIvEE19head_flag_predicateIiEiEE10hipError_tPvRmT2_T3_T4_T5_mT6_T7_P12ihipStream_tbENKUlT_T0_E_clISt17integral_constantIbLb0EESZ_EEDaSU_SV_EUlSU_E_NS1_11comp_targetILNS1_3genE2ELNS1_11target_archE906ELNS1_3gpuE6ELNS1_3repE0EEENS1_30default_config_static_selectorELNS0_4arch9wavefront6targetE1EEEvT1_,comdat
.Lfunc_end122:
	.size	_ZN7rocprim17ROCPRIM_400000_NS6detail17trampoline_kernelINS0_14default_configENS1_27scan_by_key_config_selectorIiiEEZZNS1_16scan_by_key_implILNS1_25lookback_scan_determinismE0ELb1ES3_N6thrust23THRUST_200600_302600_NS6detail15normal_iteratorINS9_10device_ptrIiEEEESE_SE_iNS9_4plusIvEE19head_flag_predicateIiEiEE10hipError_tPvRmT2_T3_T4_T5_mT6_T7_P12ihipStream_tbENKUlT_T0_E_clISt17integral_constantIbLb0EESZ_EEDaSU_SV_EUlSU_E_NS1_11comp_targetILNS1_3genE2ELNS1_11target_archE906ELNS1_3gpuE6ELNS1_3repE0EEENS1_30default_config_static_selectorELNS0_4arch9wavefront6targetE1EEEvT1_, .Lfunc_end122-_ZN7rocprim17ROCPRIM_400000_NS6detail17trampoline_kernelINS0_14default_configENS1_27scan_by_key_config_selectorIiiEEZZNS1_16scan_by_key_implILNS1_25lookback_scan_determinismE0ELb1ES3_N6thrust23THRUST_200600_302600_NS6detail15normal_iteratorINS9_10device_ptrIiEEEESE_SE_iNS9_4plusIvEE19head_flag_predicateIiEiEE10hipError_tPvRmT2_T3_T4_T5_mT6_T7_P12ihipStream_tbENKUlT_T0_E_clISt17integral_constantIbLb0EESZ_EEDaSU_SV_EUlSU_E_NS1_11comp_targetILNS1_3genE2ELNS1_11target_archE906ELNS1_3gpuE6ELNS1_3repE0EEENS1_30default_config_static_selectorELNS0_4arch9wavefront6targetE1EEEvT1_
                                        ; -- End function
	.section	.AMDGPU.csdata,"",@progbits
; Kernel info:
; codeLenInByte = 0
; NumSgprs: 4
; NumVgprs: 0
; NumAgprs: 0
; TotalNumVgprs: 0
; ScratchSize: 0
; MemoryBound: 0
; FloatMode: 240
; IeeeMode: 1
; LDSByteSize: 0 bytes/workgroup (compile time only)
; SGPRBlocks: 0
; VGPRBlocks: 0
; NumSGPRsForWavesPerEU: 4
; NumVGPRsForWavesPerEU: 1
; AccumOffset: 4
; Occupancy: 8
; WaveLimiterHint : 0
; COMPUTE_PGM_RSRC2:SCRATCH_EN: 0
; COMPUTE_PGM_RSRC2:USER_SGPR: 6
; COMPUTE_PGM_RSRC2:TRAP_HANDLER: 0
; COMPUTE_PGM_RSRC2:TGID_X_EN: 1
; COMPUTE_PGM_RSRC2:TGID_Y_EN: 0
; COMPUTE_PGM_RSRC2:TGID_Z_EN: 0
; COMPUTE_PGM_RSRC2:TIDIG_COMP_CNT: 0
; COMPUTE_PGM_RSRC3_GFX90A:ACCUM_OFFSET: 0
; COMPUTE_PGM_RSRC3_GFX90A:TG_SPLIT: 0
	.section	.text._ZN7rocprim17ROCPRIM_400000_NS6detail17trampoline_kernelINS0_14default_configENS1_27scan_by_key_config_selectorIiiEEZZNS1_16scan_by_key_implILNS1_25lookback_scan_determinismE0ELb1ES3_N6thrust23THRUST_200600_302600_NS6detail15normal_iteratorINS9_10device_ptrIiEEEESE_SE_iNS9_4plusIvEE19head_flag_predicateIiEiEE10hipError_tPvRmT2_T3_T4_T5_mT6_T7_P12ihipStream_tbENKUlT_T0_E_clISt17integral_constantIbLb0EESZ_EEDaSU_SV_EUlSU_E_NS1_11comp_targetILNS1_3genE10ELNS1_11target_archE1200ELNS1_3gpuE4ELNS1_3repE0EEENS1_30default_config_static_selectorELNS0_4arch9wavefront6targetE1EEEvT1_,"axG",@progbits,_ZN7rocprim17ROCPRIM_400000_NS6detail17trampoline_kernelINS0_14default_configENS1_27scan_by_key_config_selectorIiiEEZZNS1_16scan_by_key_implILNS1_25lookback_scan_determinismE0ELb1ES3_N6thrust23THRUST_200600_302600_NS6detail15normal_iteratorINS9_10device_ptrIiEEEESE_SE_iNS9_4plusIvEE19head_flag_predicateIiEiEE10hipError_tPvRmT2_T3_T4_T5_mT6_T7_P12ihipStream_tbENKUlT_T0_E_clISt17integral_constantIbLb0EESZ_EEDaSU_SV_EUlSU_E_NS1_11comp_targetILNS1_3genE10ELNS1_11target_archE1200ELNS1_3gpuE4ELNS1_3repE0EEENS1_30default_config_static_selectorELNS0_4arch9wavefront6targetE1EEEvT1_,comdat
	.protected	_ZN7rocprim17ROCPRIM_400000_NS6detail17trampoline_kernelINS0_14default_configENS1_27scan_by_key_config_selectorIiiEEZZNS1_16scan_by_key_implILNS1_25lookback_scan_determinismE0ELb1ES3_N6thrust23THRUST_200600_302600_NS6detail15normal_iteratorINS9_10device_ptrIiEEEESE_SE_iNS9_4plusIvEE19head_flag_predicateIiEiEE10hipError_tPvRmT2_T3_T4_T5_mT6_T7_P12ihipStream_tbENKUlT_T0_E_clISt17integral_constantIbLb0EESZ_EEDaSU_SV_EUlSU_E_NS1_11comp_targetILNS1_3genE10ELNS1_11target_archE1200ELNS1_3gpuE4ELNS1_3repE0EEENS1_30default_config_static_selectorELNS0_4arch9wavefront6targetE1EEEvT1_ ; -- Begin function _ZN7rocprim17ROCPRIM_400000_NS6detail17trampoline_kernelINS0_14default_configENS1_27scan_by_key_config_selectorIiiEEZZNS1_16scan_by_key_implILNS1_25lookback_scan_determinismE0ELb1ES3_N6thrust23THRUST_200600_302600_NS6detail15normal_iteratorINS9_10device_ptrIiEEEESE_SE_iNS9_4plusIvEE19head_flag_predicateIiEiEE10hipError_tPvRmT2_T3_T4_T5_mT6_T7_P12ihipStream_tbENKUlT_T0_E_clISt17integral_constantIbLb0EESZ_EEDaSU_SV_EUlSU_E_NS1_11comp_targetILNS1_3genE10ELNS1_11target_archE1200ELNS1_3gpuE4ELNS1_3repE0EEENS1_30default_config_static_selectorELNS0_4arch9wavefront6targetE1EEEvT1_
	.globl	_ZN7rocprim17ROCPRIM_400000_NS6detail17trampoline_kernelINS0_14default_configENS1_27scan_by_key_config_selectorIiiEEZZNS1_16scan_by_key_implILNS1_25lookback_scan_determinismE0ELb1ES3_N6thrust23THRUST_200600_302600_NS6detail15normal_iteratorINS9_10device_ptrIiEEEESE_SE_iNS9_4plusIvEE19head_flag_predicateIiEiEE10hipError_tPvRmT2_T3_T4_T5_mT6_T7_P12ihipStream_tbENKUlT_T0_E_clISt17integral_constantIbLb0EESZ_EEDaSU_SV_EUlSU_E_NS1_11comp_targetILNS1_3genE10ELNS1_11target_archE1200ELNS1_3gpuE4ELNS1_3repE0EEENS1_30default_config_static_selectorELNS0_4arch9wavefront6targetE1EEEvT1_
	.p2align	8
	.type	_ZN7rocprim17ROCPRIM_400000_NS6detail17trampoline_kernelINS0_14default_configENS1_27scan_by_key_config_selectorIiiEEZZNS1_16scan_by_key_implILNS1_25lookback_scan_determinismE0ELb1ES3_N6thrust23THRUST_200600_302600_NS6detail15normal_iteratorINS9_10device_ptrIiEEEESE_SE_iNS9_4plusIvEE19head_flag_predicateIiEiEE10hipError_tPvRmT2_T3_T4_T5_mT6_T7_P12ihipStream_tbENKUlT_T0_E_clISt17integral_constantIbLb0EESZ_EEDaSU_SV_EUlSU_E_NS1_11comp_targetILNS1_3genE10ELNS1_11target_archE1200ELNS1_3gpuE4ELNS1_3repE0EEENS1_30default_config_static_selectorELNS0_4arch9wavefront6targetE1EEEvT1_,@function
_ZN7rocprim17ROCPRIM_400000_NS6detail17trampoline_kernelINS0_14default_configENS1_27scan_by_key_config_selectorIiiEEZZNS1_16scan_by_key_implILNS1_25lookback_scan_determinismE0ELb1ES3_N6thrust23THRUST_200600_302600_NS6detail15normal_iteratorINS9_10device_ptrIiEEEESE_SE_iNS9_4plusIvEE19head_flag_predicateIiEiEE10hipError_tPvRmT2_T3_T4_T5_mT6_T7_P12ihipStream_tbENKUlT_T0_E_clISt17integral_constantIbLb0EESZ_EEDaSU_SV_EUlSU_E_NS1_11comp_targetILNS1_3genE10ELNS1_11target_archE1200ELNS1_3gpuE4ELNS1_3repE0EEENS1_30default_config_static_selectorELNS0_4arch9wavefront6targetE1EEEvT1_: ; @_ZN7rocprim17ROCPRIM_400000_NS6detail17trampoline_kernelINS0_14default_configENS1_27scan_by_key_config_selectorIiiEEZZNS1_16scan_by_key_implILNS1_25lookback_scan_determinismE0ELb1ES3_N6thrust23THRUST_200600_302600_NS6detail15normal_iteratorINS9_10device_ptrIiEEEESE_SE_iNS9_4plusIvEE19head_flag_predicateIiEiEE10hipError_tPvRmT2_T3_T4_T5_mT6_T7_P12ihipStream_tbENKUlT_T0_E_clISt17integral_constantIbLb0EESZ_EEDaSU_SV_EUlSU_E_NS1_11comp_targetILNS1_3genE10ELNS1_11target_archE1200ELNS1_3gpuE4ELNS1_3repE0EEENS1_30default_config_static_selectorELNS0_4arch9wavefront6targetE1EEEvT1_
; %bb.0:
	.section	.rodata,"a",@progbits
	.p2align	6, 0x0
	.amdhsa_kernel _ZN7rocprim17ROCPRIM_400000_NS6detail17trampoline_kernelINS0_14default_configENS1_27scan_by_key_config_selectorIiiEEZZNS1_16scan_by_key_implILNS1_25lookback_scan_determinismE0ELb1ES3_N6thrust23THRUST_200600_302600_NS6detail15normal_iteratorINS9_10device_ptrIiEEEESE_SE_iNS9_4plusIvEE19head_flag_predicateIiEiEE10hipError_tPvRmT2_T3_T4_T5_mT6_T7_P12ihipStream_tbENKUlT_T0_E_clISt17integral_constantIbLb0EESZ_EEDaSU_SV_EUlSU_E_NS1_11comp_targetILNS1_3genE10ELNS1_11target_archE1200ELNS1_3gpuE4ELNS1_3repE0EEENS1_30default_config_static_selectorELNS0_4arch9wavefront6targetE1EEEvT1_
		.amdhsa_group_segment_fixed_size 0
		.amdhsa_private_segment_fixed_size 0
		.amdhsa_kernarg_size 112
		.amdhsa_user_sgpr_count 6
		.amdhsa_user_sgpr_private_segment_buffer 1
		.amdhsa_user_sgpr_dispatch_ptr 0
		.amdhsa_user_sgpr_queue_ptr 0
		.amdhsa_user_sgpr_kernarg_segment_ptr 1
		.amdhsa_user_sgpr_dispatch_id 0
		.amdhsa_user_sgpr_flat_scratch_init 0
		.amdhsa_user_sgpr_kernarg_preload_length 0
		.amdhsa_user_sgpr_kernarg_preload_offset 0
		.amdhsa_user_sgpr_private_segment_size 0
		.amdhsa_uses_dynamic_stack 0
		.amdhsa_system_sgpr_private_segment_wavefront_offset 0
		.amdhsa_system_sgpr_workgroup_id_x 1
		.amdhsa_system_sgpr_workgroup_id_y 0
		.amdhsa_system_sgpr_workgroup_id_z 0
		.amdhsa_system_sgpr_workgroup_info 0
		.amdhsa_system_vgpr_workitem_id 0
		.amdhsa_next_free_vgpr 1
		.amdhsa_next_free_sgpr 0
		.amdhsa_accum_offset 4
		.amdhsa_reserve_vcc 0
		.amdhsa_reserve_flat_scratch 0
		.amdhsa_float_round_mode_32 0
		.amdhsa_float_round_mode_16_64 0
		.amdhsa_float_denorm_mode_32 3
		.amdhsa_float_denorm_mode_16_64 3
		.amdhsa_dx10_clamp 1
		.amdhsa_ieee_mode 1
		.amdhsa_fp16_overflow 0
		.amdhsa_tg_split 0
		.amdhsa_exception_fp_ieee_invalid_op 0
		.amdhsa_exception_fp_denorm_src 0
		.amdhsa_exception_fp_ieee_div_zero 0
		.amdhsa_exception_fp_ieee_overflow 0
		.amdhsa_exception_fp_ieee_underflow 0
		.amdhsa_exception_fp_ieee_inexact 0
		.amdhsa_exception_int_div_zero 0
	.end_amdhsa_kernel
	.section	.text._ZN7rocprim17ROCPRIM_400000_NS6detail17trampoline_kernelINS0_14default_configENS1_27scan_by_key_config_selectorIiiEEZZNS1_16scan_by_key_implILNS1_25lookback_scan_determinismE0ELb1ES3_N6thrust23THRUST_200600_302600_NS6detail15normal_iteratorINS9_10device_ptrIiEEEESE_SE_iNS9_4plusIvEE19head_flag_predicateIiEiEE10hipError_tPvRmT2_T3_T4_T5_mT6_T7_P12ihipStream_tbENKUlT_T0_E_clISt17integral_constantIbLb0EESZ_EEDaSU_SV_EUlSU_E_NS1_11comp_targetILNS1_3genE10ELNS1_11target_archE1200ELNS1_3gpuE4ELNS1_3repE0EEENS1_30default_config_static_selectorELNS0_4arch9wavefront6targetE1EEEvT1_,"axG",@progbits,_ZN7rocprim17ROCPRIM_400000_NS6detail17trampoline_kernelINS0_14default_configENS1_27scan_by_key_config_selectorIiiEEZZNS1_16scan_by_key_implILNS1_25lookback_scan_determinismE0ELb1ES3_N6thrust23THRUST_200600_302600_NS6detail15normal_iteratorINS9_10device_ptrIiEEEESE_SE_iNS9_4plusIvEE19head_flag_predicateIiEiEE10hipError_tPvRmT2_T3_T4_T5_mT6_T7_P12ihipStream_tbENKUlT_T0_E_clISt17integral_constantIbLb0EESZ_EEDaSU_SV_EUlSU_E_NS1_11comp_targetILNS1_3genE10ELNS1_11target_archE1200ELNS1_3gpuE4ELNS1_3repE0EEENS1_30default_config_static_selectorELNS0_4arch9wavefront6targetE1EEEvT1_,comdat
.Lfunc_end123:
	.size	_ZN7rocprim17ROCPRIM_400000_NS6detail17trampoline_kernelINS0_14default_configENS1_27scan_by_key_config_selectorIiiEEZZNS1_16scan_by_key_implILNS1_25lookback_scan_determinismE0ELb1ES3_N6thrust23THRUST_200600_302600_NS6detail15normal_iteratorINS9_10device_ptrIiEEEESE_SE_iNS9_4plusIvEE19head_flag_predicateIiEiEE10hipError_tPvRmT2_T3_T4_T5_mT6_T7_P12ihipStream_tbENKUlT_T0_E_clISt17integral_constantIbLb0EESZ_EEDaSU_SV_EUlSU_E_NS1_11comp_targetILNS1_3genE10ELNS1_11target_archE1200ELNS1_3gpuE4ELNS1_3repE0EEENS1_30default_config_static_selectorELNS0_4arch9wavefront6targetE1EEEvT1_, .Lfunc_end123-_ZN7rocprim17ROCPRIM_400000_NS6detail17trampoline_kernelINS0_14default_configENS1_27scan_by_key_config_selectorIiiEEZZNS1_16scan_by_key_implILNS1_25lookback_scan_determinismE0ELb1ES3_N6thrust23THRUST_200600_302600_NS6detail15normal_iteratorINS9_10device_ptrIiEEEESE_SE_iNS9_4plusIvEE19head_flag_predicateIiEiEE10hipError_tPvRmT2_T3_T4_T5_mT6_T7_P12ihipStream_tbENKUlT_T0_E_clISt17integral_constantIbLb0EESZ_EEDaSU_SV_EUlSU_E_NS1_11comp_targetILNS1_3genE10ELNS1_11target_archE1200ELNS1_3gpuE4ELNS1_3repE0EEENS1_30default_config_static_selectorELNS0_4arch9wavefront6targetE1EEEvT1_
                                        ; -- End function
	.section	.AMDGPU.csdata,"",@progbits
; Kernel info:
; codeLenInByte = 0
; NumSgprs: 4
; NumVgprs: 0
; NumAgprs: 0
; TotalNumVgprs: 0
; ScratchSize: 0
; MemoryBound: 0
; FloatMode: 240
; IeeeMode: 1
; LDSByteSize: 0 bytes/workgroup (compile time only)
; SGPRBlocks: 0
; VGPRBlocks: 0
; NumSGPRsForWavesPerEU: 4
; NumVGPRsForWavesPerEU: 1
; AccumOffset: 4
; Occupancy: 8
; WaveLimiterHint : 0
; COMPUTE_PGM_RSRC2:SCRATCH_EN: 0
; COMPUTE_PGM_RSRC2:USER_SGPR: 6
; COMPUTE_PGM_RSRC2:TRAP_HANDLER: 0
; COMPUTE_PGM_RSRC2:TGID_X_EN: 1
; COMPUTE_PGM_RSRC2:TGID_Y_EN: 0
; COMPUTE_PGM_RSRC2:TGID_Z_EN: 0
; COMPUTE_PGM_RSRC2:TIDIG_COMP_CNT: 0
; COMPUTE_PGM_RSRC3_GFX90A:ACCUM_OFFSET: 0
; COMPUTE_PGM_RSRC3_GFX90A:TG_SPLIT: 0
	.section	.text._ZN7rocprim17ROCPRIM_400000_NS6detail17trampoline_kernelINS0_14default_configENS1_27scan_by_key_config_selectorIiiEEZZNS1_16scan_by_key_implILNS1_25lookback_scan_determinismE0ELb1ES3_N6thrust23THRUST_200600_302600_NS6detail15normal_iteratorINS9_10device_ptrIiEEEESE_SE_iNS9_4plusIvEE19head_flag_predicateIiEiEE10hipError_tPvRmT2_T3_T4_T5_mT6_T7_P12ihipStream_tbENKUlT_T0_E_clISt17integral_constantIbLb0EESZ_EEDaSU_SV_EUlSU_E_NS1_11comp_targetILNS1_3genE9ELNS1_11target_archE1100ELNS1_3gpuE3ELNS1_3repE0EEENS1_30default_config_static_selectorELNS0_4arch9wavefront6targetE1EEEvT1_,"axG",@progbits,_ZN7rocprim17ROCPRIM_400000_NS6detail17trampoline_kernelINS0_14default_configENS1_27scan_by_key_config_selectorIiiEEZZNS1_16scan_by_key_implILNS1_25lookback_scan_determinismE0ELb1ES3_N6thrust23THRUST_200600_302600_NS6detail15normal_iteratorINS9_10device_ptrIiEEEESE_SE_iNS9_4plusIvEE19head_flag_predicateIiEiEE10hipError_tPvRmT2_T3_T4_T5_mT6_T7_P12ihipStream_tbENKUlT_T0_E_clISt17integral_constantIbLb0EESZ_EEDaSU_SV_EUlSU_E_NS1_11comp_targetILNS1_3genE9ELNS1_11target_archE1100ELNS1_3gpuE3ELNS1_3repE0EEENS1_30default_config_static_selectorELNS0_4arch9wavefront6targetE1EEEvT1_,comdat
	.protected	_ZN7rocprim17ROCPRIM_400000_NS6detail17trampoline_kernelINS0_14default_configENS1_27scan_by_key_config_selectorIiiEEZZNS1_16scan_by_key_implILNS1_25lookback_scan_determinismE0ELb1ES3_N6thrust23THRUST_200600_302600_NS6detail15normal_iteratorINS9_10device_ptrIiEEEESE_SE_iNS9_4plusIvEE19head_flag_predicateIiEiEE10hipError_tPvRmT2_T3_T4_T5_mT6_T7_P12ihipStream_tbENKUlT_T0_E_clISt17integral_constantIbLb0EESZ_EEDaSU_SV_EUlSU_E_NS1_11comp_targetILNS1_3genE9ELNS1_11target_archE1100ELNS1_3gpuE3ELNS1_3repE0EEENS1_30default_config_static_selectorELNS0_4arch9wavefront6targetE1EEEvT1_ ; -- Begin function _ZN7rocprim17ROCPRIM_400000_NS6detail17trampoline_kernelINS0_14default_configENS1_27scan_by_key_config_selectorIiiEEZZNS1_16scan_by_key_implILNS1_25lookback_scan_determinismE0ELb1ES3_N6thrust23THRUST_200600_302600_NS6detail15normal_iteratorINS9_10device_ptrIiEEEESE_SE_iNS9_4plusIvEE19head_flag_predicateIiEiEE10hipError_tPvRmT2_T3_T4_T5_mT6_T7_P12ihipStream_tbENKUlT_T0_E_clISt17integral_constantIbLb0EESZ_EEDaSU_SV_EUlSU_E_NS1_11comp_targetILNS1_3genE9ELNS1_11target_archE1100ELNS1_3gpuE3ELNS1_3repE0EEENS1_30default_config_static_selectorELNS0_4arch9wavefront6targetE1EEEvT1_
	.globl	_ZN7rocprim17ROCPRIM_400000_NS6detail17trampoline_kernelINS0_14default_configENS1_27scan_by_key_config_selectorIiiEEZZNS1_16scan_by_key_implILNS1_25lookback_scan_determinismE0ELb1ES3_N6thrust23THRUST_200600_302600_NS6detail15normal_iteratorINS9_10device_ptrIiEEEESE_SE_iNS9_4plusIvEE19head_flag_predicateIiEiEE10hipError_tPvRmT2_T3_T4_T5_mT6_T7_P12ihipStream_tbENKUlT_T0_E_clISt17integral_constantIbLb0EESZ_EEDaSU_SV_EUlSU_E_NS1_11comp_targetILNS1_3genE9ELNS1_11target_archE1100ELNS1_3gpuE3ELNS1_3repE0EEENS1_30default_config_static_selectorELNS0_4arch9wavefront6targetE1EEEvT1_
	.p2align	8
	.type	_ZN7rocprim17ROCPRIM_400000_NS6detail17trampoline_kernelINS0_14default_configENS1_27scan_by_key_config_selectorIiiEEZZNS1_16scan_by_key_implILNS1_25lookback_scan_determinismE0ELb1ES3_N6thrust23THRUST_200600_302600_NS6detail15normal_iteratorINS9_10device_ptrIiEEEESE_SE_iNS9_4plusIvEE19head_flag_predicateIiEiEE10hipError_tPvRmT2_T3_T4_T5_mT6_T7_P12ihipStream_tbENKUlT_T0_E_clISt17integral_constantIbLb0EESZ_EEDaSU_SV_EUlSU_E_NS1_11comp_targetILNS1_3genE9ELNS1_11target_archE1100ELNS1_3gpuE3ELNS1_3repE0EEENS1_30default_config_static_selectorELNS0_4arch9wavefront6targetE1EEEvT1_,@function
_ZN7rocprim17ROCPRIM_400000_NS6detail17trampoline_kernelINS0_14default_configENS1_27scan_by_key_config_selectorIiiEEZZNS1_16scan_by_key_implILNS1_25lookback_scan_determinismE0ELb1ES3_N6thrust23THRUST_200600_302600_NS6detail15normal_iteratorINS9_10device_ptrIiEEEESE_SE_iNS9_4plusIvEE19head_flag_predicateIiEiEE10hipError_tPvRmT2_T3_T4_T5_mT6_T7_P12ihipStream_tbENKUlT_T0_E_clISt17integral_constantIbLb0EESZ_EEDaSU_SV_EUlSU_E_NS1_11comp_targetILNS1_3genE9ELNS1_11target_archE1100ELNS1_3gpuE3ELNS1_3repE0EEENS1_30default_config_static_selectorELNS0_4arch9wavefront6targetE1EEEvT1_: ; @_ZN7rocprim17ROCPRIM_400000_NS6detail17trampoline_kernelINS0_14default_configENS1_27scan_by_key_config_selectorIiiEEZZNS1_16scan_by_key_implILNS1_25lookback_scan_determinismE0ELb1ES3_N6thrust23THRUST_200600_302600_NS6detail15normal_iteratorINS9_10device_ptrIiEEEESE_SE_iNS9_4plusIvEE19head_flag_predicateIiEiEE10hipError_tPvRmT2_T3_T4_T5_mT6_T7_P12ihipStream_tbENKUlT_T0_E_clISt17integral_constantIbLb0EESZ_EEDaSU_SV_EUlSU_E_NS1_11comp_targetILNS1_3genE9ELNS1_11target_archE1100ELNS1_3gpuE3ELNS1_3repE0EEENS1_30default_config_static_selectorELNS0_4arch9wavefront6targetE1EEEvT1_
; %bb.0:
	.section	.rodata,"a",@progbits
	.p2align	6, 0x0
	.amdhsa_kernel _ZN7rocprim17ROCPRIM_400000_NS6detail17trampoline_kernelINS0_14default_configENS1_27scan_by_key_config_selectorIiiEEZZNS1_16scan_by_key_implILNS1_25lookback_scan_determinismE0ELb1ES3_N6thrust23THRUST_200600_302600_NS6detail15normal_iteratorINS9_10device_ptrIiEEEESE_SE_iNS9_4plusIvEE19head_flag_predicateIiEiEE10hipError_tPvRmT2_T3_T4_T5_mT6_T7_P12ihipStream_tbENKUlT_T0_E_clISt17integral_constantIbLb0EESZ_EEDaSU_SV_EUlSU_E_NS1_11comp_targetILNS1_3genE9ELNS1_11target_archE1100ELNS1_3gpuE3ELNS1_3repE0EEENS1_30default_config_static_selectorELNS0_4arch9wavefront6targetE1EEEvT1_
		.amdhsa_group_segment_fixed_size 0
		.amdhsa_private_segment_fixed_size 0
		.amdhsa_kernarg_size 112
		.amdhsa_user_sgpr_count 6
		.amdhsa_user_sgpr_private_segment_buffer 1
		.amdhsa_user_sgpr_dispatch_ptr 0
		.amdhsa_user_sgpr_queue_ptr 0
		.amdhsa_user_sgpr_kernarg_segment_ptr 1
		.amdhsa_user_sgpr_dispatch_id 0
		.amdhsa_user_sgpr_flat_scratch_init 0
		.amdhsa_user_sgpr_kernarg_preload_length 0
		.amdhsa_user_sgpr_kernarg_preload_offset 0
		.amdhsa_user_sgpr_private_segment_size 0
		.amdhsa_uses_dynamic_stack 0
		.amdhsa_system_sgpr_private_segment_wavefront_offset 0
		.amdhsa_system_sgpr_workgroup_id_x 1
		.amdhsa_system_sgpr_workgroup_id_y 0
		.amdhsa_system_sgpr_workgroup_id_z 0
		.amdhsa_system_sgpr_workgroup_info 0
		.amdhsa_system_vgpr_workitem_id 0
		.amdhsa_next_free_vgpr 1
		.amdhsa_next_free_sgpr 0
		.amdhsa_accum_offset 4
		.amdhsa_reserve_vcc 0
		.amdhsa_reserve_flat_scratch 0
		.amdhsa_float_round_mode_32 0
		.amdhsa_float_round_mode_16_64 0
		.amdhsa_float_denorm_mode_32 3
		.amdhsa_float_denorm_mode_16_64 3
		.amdhsa_dx10_clamp 1
		.amdhsa_ieee_mode 1
		.amdhsa_fp16_overflow 0
		.amdhsa_tg_split 0
		.amdhsa_exception_fp_ieee_invalid_op 0
		.amdhsa_exception_fp_denorm_src 0
		.amdhsa_exception_fp_ieee_div_zero 0
		.amdhsa_exception_fp_ieee_overflow 0
		.amdhsa_exception_fp_ieee_underflow 0
		.amdhsa_exception_fp_ieee_inexact 0
		.amdhsa_exception_int_div_zero 0
	.end_amdhsa_kernel
	.section	.text._ZN7rocprim17ROCPRIM_400000_NS6detail17trampoline_kernelINS0_14default_configENS1_27scan_by_key_config_selectorIiiEEZZNS1_16scan_by_key_implILNS1_25lookback_scan_determinismE0ELb1ES3_N6thrust23THRUST_200600_302600_NS6detail15normal_iteratorINS9_10device_ptrIiEEEESE_SE_iNS9_4plusIvEE19head_flag_predicateIiEiEE10hipError_tPvRmT2_T3_T4_T5_mT6_T7_P12ihipStream_tbENKUlT_T0_E_clISt17integral_constantIbLb0EESZ_EEDaSU_SV_EUlSU_E_NS1_11comp_targetILNS1_3genE9ELNS1_11target_archE1100ELNS1_3gpuE3ELNS1_3repE0EEENS1_30default_config_static_selectorELNS0_4arch9wavefront6targetE1EEEvT1_,"axG",@progbits,_ZN7rocprim17ROCPRIM_400000_NS6detail17trampoline_kernelINS0_14default_configENS1_27scan_by_key_config_selectorIiiEEZZNS1_16scan_by_key_implILNS1_25lookback_scan_determinismE0ELb1ES3_N6thrust23THRUST_200600_302600_NS6detail15normal_iteratorINS9_10device_ptrIiEEEESE_SE_iNS9_4plusIvEE19head_flag_predicateIiEiEE10hipError_tPvRmT2_T3_T4_T5_mT6_T7_P12ihipStream_tbENKUlT_T0_E_clISt17integral_constantIbLb0EESZ_EEDaSU_SV_EUlSU_E_NS1_11comp_targetILNS1_3genE9ELNS1_11target_archE1100ELNS1_3gpuE3ELNS1_3repE0EEENS1_30default_config_static_selectorELNS0_4arch9wavefront6targetE1EEEvT1_,comdat
.Lfunc_end124:
	.size	_ZN7rocprim17ROCPRIM_400000_NS6detail17trampoline_kernelINS0_14default_configENS1_27scan_by_key_config_selectorIiiEEZZNS1_16scan_by_key_implILNS1_25lookback_scan_determinismE0ELb1ES3_N6thrust23THRUST_200600_302600_NS6detail15normal_iteratorINS9_10device_ptrIiEEEESE_SE_iNS9_4plusIvEE19head_flag_predicateIiEiEE10hipError_tPvRmT2_T3_T4_T5_mT6_T7_P12ihipStream_tbENKUlT_T0_E_clISt17integral_constantIbLb0EESZ_EEDaSU_SV_EUlSU_E_NS1_11comp_targetILNS1_3genE9ELNS1_11target_archE1100ELNS1_3gpuE3ELNS1_3repE0EEENS1_30default_config_static_selectorELNS0_4arch9wavefront6targetE1EEEvT1_, .Lfunc_end124-_ZN7rocprim17ROCPRIM_400000_NS6detail17trampoline_kernelINS0_14default_configENS1_27scan_by_key_config_selectorIiiEEZZNS1_16scan_by_key_implILNS1_25lookback_scan_determinismE0ELb1ES3_N6thrust23THRUST_200600_302600_NS6detail15normal_iteratorINS9_10device_ptrIiEEEESE_SE_iNS9_4plusIvEE19head_flag_predicateIiEiEE10hipError_tPvRmT2_T3_T4_T5_mT6_T7_P12ihipStream_tbENKUlT_T0_E_clISt17integral_constantIbLb0EESZ_EEDaSU_SV_EUlSU_E_NS1_11comp_targetILNS1_3genE9ELNS1_11target_archE1100ELNS1_3gpuE3ELNS1_3repE0EEENS1_30default_config_static_selectorELNS0_4arch9wavefront6targetE1EEEvT1_
                                        ; -- End function
	.section	.AMDGPU.csdata,"",@progbits
; Kernel info:
; codeLenInByte = 0
; NumSgprs: 4
; NumVgprs: 0
; NumAgprs: 0
; TotalNumVgprs: 0
; ScratchSize: 0
; MemoryBound: 0
; FloatMode: 240
; IeeeMode: 1
; LDSByteSize: 0 bytes/workgroup (compile time only)
; SGPRBlocks: 0
; VGPRBlocks: 0
; NumSGPRsForWavesPerEU: 4
; NumVGPRsForWavesPerEU: 1
; AccumOffset: 4
; Occupancy: 8
; WaveLimiterHint : 0
; COMPUTE_PGM_RSRC2:SCRATCH_EN: 0
; COMPUTE_PGM_RSRC2:USER_SGPR: 6
; COMPUTE_PGM_RSRC2:TRAP_HANDLER: 0
; COMPUTE_PGM_RSRC2:TGID_X_EN: 1
; COMPUTE_PGM_RSRC2:TGID_Y_EN: 0
; COMPUTE_PGM_RSRC2:TGID_Z_EN: 0
; COMPUTE_PGM_RSRC2:TIDIG_COMP_CNT: 0
; COMPUTE_PGM_RSRC3_GFX90A:ACCUM_OFFSET: 0
; COMPUTE_PGM_RSRC3_GFX90A:TG_SPLIT: 0
	.section	.text._ZN7rocprim17ROCPRIM_400000_NS6detail17trampoline_kernelINS0_14default_configENS1_27scan_by_key_config_selectorIiiEEZZNS1_16scan_by_key_implILNS1_25lookback_scan_determinismE0ELb1ES3_N6thrust23THRUST_200600_302600_NS6detail15normal_iteratorINS9_10device_ptrIiEEEESE_SE_iNS9_4plusIvEE19head_flag_predicateIiEiEE10hipError_tPvRmT2_T3_T4_T5_mT6_T7_P12ihipStream_tbENKUlT_T0_E_clISt17integral_constantIbLb0EESZ_EEDaSU_SV_EUlSU_E_NS1_11comp_targetILNS1_3genE8ELNS1_11target_archE1030ELNS1_3gpuE2ELNS1_3repE0EEENS1_30default_config_static_selectorELNS0_4arch9wavefront6targetE1EEEvT1_,"axG",@progbits,_ZN7rocprim17ROCPRIM_400000_NS6detail17trampoline_kernelINS0_14default_configENS1_27scan_by_key_config_selectorIiiEEZZNS1_16scan_by_key_implILNS1_25lookback_scan_determinismE0ELb1ES3_N6thrust23THRUST_200600_302600_NS6detail15normal_iteratorINS9_10device_ptrIiEEEESE_SE_iNS9_4plusIvEE19head_flag_predicateIiEiEE10hipError_tPvRmT2_T3_T4_T5_mT6_T7_P12ihipStream_tbENKUlT_T0_E_clISt17integral_constantIbLb0EESZ_EEDaSU_SV_EUlSU_E_NS1_11comp_targetILNS1_3genE8ELNS1_11target_archE1030ELNS1_3gpuE2ELNS1_3repE0EEENS1_30default_config_static_selectorELNS0_4arch9wavefront6targetE1EEEvT1_,comdat
	.protected	_ZN7rocprim17ROCPRIM_400000_NS6detail17trampoline_kernelINS0_14default_configENS1_27scan_by_key_config_selectorIiiEEZZNS1_16scan_by_key_implILNS1_25lookback_scan_determinismE0ELb1ES3_N6thrust23THRUST_200600_302600_NS6detail15normal_iteratorINS9_10device_ptrIiEEEESE_SE_iNS9_4plusIvEE19head_flag_predicateIiEiEE10hipError_tPvRmT2_T3_T4_T5_mT6_T7_P12ihipStream_tbENKUlT_T0_E_clISt17integral_constantIbLb0EESZ_EEDaSU_SV_EUlSU_E_NS1_11comp_targetILNS1_3genE8ELNS1_11target_archE1030ELNS1_3gpuE2ELNS1_3repE0EEENS1_30default_config_static_selectorELNS0_4arch9wavefront6targetE1EEEvT1_ ; -- Begin function _ZN7rocprim17ROCPRIM_400000_NS6detail17trampoline_kernelINS0_14default_configENS1_27scan_by_key_config_selectorIiiEEZZNS1_16scan_by_key_implILNS1_25lookback_scan_determinismE0ELb1ES3_N6thrust23THRUST_200600_302600_NS6detail15normal_iteratorINS9_10device_ptrIiEEEESE_SE_iNS9_4plusIvEE19head_flag_predicateIiEiEE10hipError_tPvRmT2_T3_T4_T5_mT6_T7_P12ihipStream_tbENKUlT_T0_E_clISt17integral_constantIbLb0EESZ_EEDaSU_SV_EUlSU_E_NS1_11comp_targetILNS1_3genE8ELNS1_11target_archE1030ELNS1_3gpuE2ELNS1_3repE0EEENS1_30default_config_static_selectorELNS0_4arch9wavefront6targetE1EEEvT1_
	.globl	_ZN7rocprim17ROCPRIM_400000_NS6detail17trampoline_kernelINS0_14default_configENS1_27scan_by_key_config_selectorIiiEEZZNS1_16scan_by_key_implILNS1_25lookback_scan_determinismE0ELb1ES3_N6thrust23THRUST_200600_302600_NS6detail15normal_iteratorINS9_10device_ptrIiEEEESE_SE_iNS9_4plusIvEE19head_flag_predicateIiEiEE10hipError_tPvRmT2_T3_T4_T5_mT6_T7_P12ihipStream_tbENKUlT_T0_E_clISt17integral_constantIbLb0EESZ_EEDaSU_SV_EUlSU_E_NS1_11comp_targetILNS1_3genE8ELNS1_11target_archE1030ELNS1_3gpuE2ELNS1_3repE0EEENS1_30default_config_static_selectorELNS0_4arch9wavefront6targetE1EEEvT1_
	.p2align	8
	.type	_ZN7rocprim17ROCPRIM_400000_NS6detail17trampoline_kernelINS0_14default_configENS1_27scan_by_key_config_selectorIiiEEZZNS1_16scan_by_key_implILNS1_25lookback_scan_determinismE0ELb1ES3_N6thrust23THRUST_200600_302600_NS6detail15normal_iteratorINS9_10device_ptrIiEEEESE_SE_iNS9_4plusIvEE19head_flag_predicateIiEiEE10hipError_tPvRmT2_T3_T4_T5_mT6_T7_P12ihipStream_tbENKUlT_T0_E_clISt17integral_constantIbLb0EESZ_EEDaSU_SV_EUlSU_E_NS1_11comp_targetILNS1_3genE8ELNS1_11target_archE1030ELNS1_3gpuE2ELNS1_3repE0EEENS1_30default_config_static_selectorELNS0_4arch9wavefront6targetE1EEEvT1_,@function
_ZN7rocprim17ROCPRIM_400000_NS6detail17trampoline_kernelINS0_14default_configENS1_27scan_by_key_config_selectorIiiEEZZNS1_16scan_by_key_implILNS1_25lookback_scan_determinismE0ELb1ES3_N6thrust23THRUST_200600_302600_NS6detail15normal_iteratorINS9_10device_ptrIiEEEESE_SE_iNS9_4plusIvEE19head_flag_predicateIiEiEE10hipError_tPvRmT2_T3_T4_T5_mT6_T7_P12ihipStream_tbENKUlT_T0_E_clISt17integral_constantIbLb0EESZ_EEDaSU_SV_EUlSU_E_NS1_11comp_targetILNS1_3genE8ELNS1_11target_archE1030ELNS1_3gpuE2ELNS1_3repE0EEENS1_30default_config_static_selectorELNS0_4arch9wavefront6targetE1EEEvT1_: ; @_ZN7rocprim17ROCPRIM_400000_NS6detail17trampoline_kernelINS0_14default_configENS1_27scan_by_key_config_selectorIiiEEZZNS1_16scan_by_key_implILNS1_25lookback_scan_determinismE0ELb1ES3_N6thrust23THRUST_200600_302600_NS6detail15normal_iteratorINS9_10device_ptrIiEEEESE_SE_iNS9_4plusIvEE19head_flag_predicateIiEiEE10hipError_tPvRmT2_T3_T4_T5_mT6_T7_P12ihipStream_tbENKUlT_T0_E_clISt17integral_constantIbLb0EESZ_EEDaSU_SV_EUlSU_E_NS1_11comp_targetILNS1_3genE8ELNS1_11target_archE1030ELNS1_3gpuE2ELNS1_3repE0EEENS1_30default_config_static_selectorELNS0_4arch9wavefront6targetE1EEEvT1_
; %bb.0:
	.section	.rodata,"a",@progbits
	.p2align	6, 0x0
	.amdhsa_kernel _ZN7rocprim17ROCPRIM_400000_NS6detail17trampoline_kernelINS0_14default_configENS1_27scan_by_key_config_selectorIiiEEZZNS1_16scan_by_key_implILNS1_25lookback_scan_determinismE0ELb1ES3_N6thrust23THRUST_200600_302600_NS6detail15normal_iteratorINS9_10device_ptrIiEEEESE_SE_iNS9_4plusIvEE19head_flag_predicateIiEiEE10hipError_tPvRmT2_T3_T4_T5_mT6_T7_P12ihipStream_tbENKUlT_T0_E_clISt17integral_constantIbLb0EESZ_EEDaSU_SV_EUlSU_E_NS1_11comp_targetILNS1_3genE8ELNS1_11target_archE1030ELNS1_3gpuE2ELNS1_3repE0EEENS1_30default_config_static_selectorELNS0_4arch9wavefront6targetE1EEEvT1_
		.amdhsa_group_segment_fixed_size 0
		.amdhsa_private_segment_fixed_size 0
		.amdhsa_kernarg_size 112
		.amdhsa_user_sgpr_count 6
		.amdhsa_user_sgpr_private_segment_buffer 1
		.amdhsa_user_sgpr_dispatch_ptr 0
		.amdhsa_user_sgpr_queue_ptr 0
		.amdhsa_user_sgpr_kernarg_segment_ptr 1
		.amdhsa_user_sgpr_dispatch_id 0
		.amdhsa_user_sgpr_flat_scratch_init 0
		.amdhsa_user_sgpr_kernarg_preload_length 0
		.amdhsa_user_sgpr_kernarg_preload_offset 0
		.amdhsa_user_sgpr_private_segment_size 0
		.amdhsa_uses_dynamic_stack 0
		.amdhsa_system_sgpr_private_segment_wavefront_offset 0
		.amdhsa_system_sgpr_workgroup_id_x 1
		.amdhsa_system_sgpr_workgroup_id_y 0
		.amdhsa_system_sgpr_workgroup_id_z 0
		.amdhsa_system_sgpr_workgroup_info 0
		.amdhsa_system_vgpr_workitem_id 0
		.amdhsa_next_free_vgpr 1
		.amdhsa_next_free_sgpr 0
		.amdhsa_accum_offset 4
		.amdhsa_reserve_vcc 0
		.amdhsa_reserve_flat_scratch 0
		.amdhsa_float_round_mode_32 0
		.amdhsa_float_round_mode_16_64 0
		.amdhsa_float_denorm_mode_32 3
		.amdhsa_float_denorm_mode_16_64 3
		.amdhsa_dx10_clamp 1
		.amdhsa_ieee_mode 1
		.amdhsa_fp16_overflow 0
		.amdhsa_tg_split 0
		.amdhsa_exception_fp_ieee_invalid_op 0
		.amdhsa_exception_fp_denorm_src 0
		.amdhsa_exception_fp_ieee_div_zero 0
		.amdhsa_exception_fp_ieee_overflow 0
		.amdhsa_exception_fp_ieee_underflow 0
		.amdhsa_exception_fp_ieee_inexact 0
		.amdhsa_exception_int_div_zero 0
	.end_amdhsa_kernel
	.section	.text._ZN7rocprim17ROCPRIM_400000_NS6detail17trampoline_kernelINS0_14default_configENS1_27scan_by_key_config_selectorIiiEEZZNS1_16scan_by_key_implILNS1_25lookback_scan_determinismE0ELb1ES3_N6thrust23THRUST_200600_302600_NS6detail15normal_iteratorINS9_10device_ptrIiEEEESE_SE_iNS9_4plusIvEE19head_flag_predicateIiEiEE10hipError_tPvRmT2_T3_T4_T5_mT6_T7_P12ihipStream_tbENKUlT_T0_E_clISt17integral_constantIbLb0EESZ_EEDaSU_SV_EUlSU_E_NS1_11comp_targetILNS1_3genE8ELNS1_11target_archE1030ELNS1_3gpuE2ELNS1_3repE0EEENS1_30default_config_static_selectorELNS0_4arch9wavefront6targetE1EEEvT1_,"axG",@progbits,_ZN7rocprim17ROCPRIM_400000_NS6detail17trampoline_kernelINS0_14default_configENS1_27scan_by_key_config_selectorIiiEEZZNS1_16scan_by_key_implILNS1_25lookback_scan_determinismE0ELb1ES3_N6thrust23THRUST_200600_302600_NS6detail15normal_iteratorINS9_10device_ptrIiEEEESE_SE_iNS9_4plusIvEE19head_flag_predicateIiEiEE10hipError_tPvRmT2_T3_T4_T5_mT6_T7_P12ihipStream_tbENKUlT_T0_E_clISt17integral_constantIbLb0EESZ_EEDaSU_SV_EUlSU_E_NS1_11comp_targetILNS1_3genE8ELNS1_11target_archE1030ELNS1_3gpuE2ELNS1_3repE0EEENS1_30default_config_static_selectorELNS0_4arch9wavefront6targetE1EEEvT1_,comdat
.Lfunc_end125:
	.size	_ZN7rocprim17ROCPRIM_400000_NS6detail17trampoline_kernelINS0_14default_configENS1_27scan_by_key_config_selectorIiiEEZZNS1_16scan_by_key_implILNS1_25lookback_scan_determinismE0ELb1ES3_N6thrust23THRUST_200600_302600_NS6detail15normal_iteratorINS9_10device_ptrIiEEEESE_SE_iNS9_4plusIvEE19head_flag_predicateIiEiEE10hipError_tPvRmT2_T3_T4_T5_mT6_T7_P12ihipStream_tbENKUlT_T0_E_clISt17integral_constantIbLb0EESZ_EEDaSU_SV_EUlSU_E_NS1_11comp_targetILNS1_3genE8ELNS1_11target_archE1030ELNS1_3gpuE2ELNS1_3repE0EEENS1_30default_config_static_selectorELNS0_4arch9wavefront6targetE1EEEvT1_, .Lfunc_end125-_ZN7rocprim17ROCPRIM_400000_NS6detail17trampoline_kernelINS0_14default_configENS1_27scan_by_key_config_selectorIiiEEZZNS1_16scan_by_key_implILNS1_25lookback_scan_determinismE0ELb1ES3_N6thrust23THRUST_200600_302600_NS6detail15normal_iteratorINS9_10device_ptrIiEEEESE_SE_iNS9_4plusIvEE19head_flag_predicateIiEiEE10hipError_tPvRmT2_T3_T4_T5_mT6_T7_P12ihipStream_tbENKUlT_T0_E_clISt17integral_constantIbLb0EESZ_EEDaSU_SV_EUlSU_E_NS1_11comp_targetILNS1_3genE8ELNS1_11target_archE1030ELNS1_3gpuE2ELNS1_3repE0EEENS1_30default_config_static_selectorELNS0_4arch9wavefront6targetE1EEEvT1_
                                        ; -- End function
	.section	.AMDGPU.csdata,"",@progbits
; Kernel info:
; codeLenInByte = 0
; NumSgprs: 4
; NumVgprs: 0
; NumAgprs: 0
; TotalNumVgprs: 0
; ScratchSize: 0
; MemoryBound: 0
; FloatMode: 240
; IeeeMode: 1
; LDSByteSize: 0 bytes/workgroup (compile time only)
; SGPRBlocks: 0
; VGPRBlocks: 0
; NumSGPRsForWavesPerEU: 4
; NumVGPRsForWavesPerEU: 1
; AccumOffset: 4
; Occupancy: 8
; WaveLimiterHint : 0
; COMPUTE_PGM_RSRC2:SCRATCH_EN: 0
; COMPUTE_PGM_RSRC2:USER_SGPR: 6
; COMPUTE_PGM_RSRC2:TRAP_HANDLER: 0
; COMPUTE_PGM_RSRC2:TGID_X_EN: 1
; COMPUTE_PGM_RSRC2:TGID_Y_EN: 0
; COMPUTE_PGM_RSRC2:TGID_Z_EN: 0
; COMPUTE_PGM_RSRC2:TIDIG_COMP_CNT: 0
; COMPUTE_PGM_RSRC3_GFX90A:ACCUM_OFFSET: 0
; COMPUTE_PGM_RSRC3_GFX90A:TG_SPLIT: 0
	.section	.text._ZN7rocprim17ROCPRIM_400000_NS6detail17trampoline_kernelINS0_14default_configENS1_27scan_by_key_config_selectorIiiEEZZNS1_16scan_by_key_implILNS1_25lookback_scan_determinismE0ELb1ES3_N6thrust23THRUST_200600_302600_NS6detail15normal_iteratorINS9_10device_ptrIiEEEESE_SE_iNS9_4plusIvEE19head_flag_predicateIiEiEE10hipError_tPvRmT2_T3_T4_T5_mT6_T7_P12ihipStream_tbENKUlT_T0_E_clISt17integral_constantIbLb1EESZ_EEDaSU_SV_EUlSU_E_NS1_11comp_targetILNS1_3genE0ELNS1_11target_archE4294967295ELNS1_3gpuE0ELNS1_3repE0EEENS1_30default_config_static_selectorELNS0_4arch9wavefront6targetE1EEEvT1_,"axG",@progbits,_ZN7rocprim17ROCPRIM_400000_NS6detail17trampoline_kernelINS0_14default_configENS1_27scan_by_key_config_selectorIiiEEZZNS1_16scan_by_key_implILNS1_25lookback_scan_determinismE0ELb1ES3_N6thrust23THRUST_200600_302600_NS6detail15normal_iteratorINS9_10device_ptrIiEEEESE_SE_iNS9_4plusIvEE19head_flag_predicateIiEiEE10hipError_tPvRmT2_T3_T4_T5_mT6_T7_P12ihipStream_tbENKUlT_T0_E_clISt17integral_constantIbLb1EESZ_EEDaSU_SV_EUlSU_E_NS1_11comp_targetILNS1_3genE0ELNS1_11target_archE4294967295ELNS1_3gpuE0ELNS1_3repE0EEENS1_30default_config_static_selectorELNS0_4arch9wavefront6targetE1EEEvT1_,comdat
	.protected	_ZN7rocprim17ROCPRIM_400000_NS6detail17trampoline_kernelINS0_14default_configENS1_27scan_by_key_config_selectorIiiEEZZNS1_16scan_by_key_implILNS1_25lookback_scan_determinismE0ELb1ES3_N6thrust23THRUST_200600_302600_NS6detail15normal_iteratorINS9_10device_ptrIiEEEESE_SE_iNS9_4plusIvEE19head_flag_predicateIiEiEE10hipError_tPvRmT2_T3_T4_T5_mT6_T7_P12ihipStream_tbENKUlT_T0_E_clISt17integral_constantIbLb1EESZ_EEDaSU_SV_EUlSU_E_NS1_11comp_targetILNS1_3genE0ELNS1_11target_archE4294967295ELNS1_3gpuE0ELNS1_3repE0EEENS1_30default_config_static_selectorELNS0_4arch9wavefront6targetE1EEEvT1_ ; -- Begin function _ZN7rocprim17ROCPRIM_400000_NS6detail17trampoline_kernelINS0_14default_configENS1_27scan_by_key_config_selectorIiiEEZZNS1_16scan_by_key_implILNS1_25lookback_scan_determinismE0ELb1ES3_N6thrust23THRUST_200600_302600_NS6detail15normal_iteratorINS9_10device_ptrIiEEEESE_SE_iNS9_4plusIvEE19head_flag_predicateIiEiEE10hipError_tPvRmT2_T3_T4_T5_mT6_T7_P12ihipStream_tbENKUlT_T0_E_clISt17integral_constantIbLb1EESZ_EEDaSU_SV_EUlSU_E_NS1_11comp_targetILNS1_3genE0ELNS1_11target_archE4294967295ELNS1_3gpuE0ELNS1_3repE0EEENS1_30default_config_static_selectorELNS0_4arch9wavefront6targetE1EEEvT1_
	.globl	_ZN7rocprim17ROCPRIM_400000_NS6detail17trampoline_kernelINS0_14default_configENS1_27scan_by_key_config_selectorIiiEEZZNS1_16scan_by_key_implILNS1_25lookback_scan_determinismE0ELb1ES3_N6thrust23THRUST_200600_302600_NS6detail15normal_iteratorINS9_10device_ptrIiEEEESE_SE_iNS9_4plusIvEE19head_flag_predicateIiEiEE10hipError_tPvRmT2_T3_T4_T5_mT6_T7_P12ihipStream_tbENKUlT_T0_E_clISt17integral_constantIbLb1EESZ_EEDaSU_SV_EUlSU_E_NS1_11comp_targetILNS1_3genE0ELNS1_11target_archE4294967295ELNS1_3gpuE0ELNS1_3repE0EEENS1_30default_config_static_selectorELNS0_4arch9wavefront6targetE1EEEvT1_
	.p2align	8
	.type	_ZN7rocprim17ROCPRIM_400000_NS6detail17trampoline_kernelINS0_14default_configENS1_27scan_by_key_config_selectorIiiEEZZNS1_16scan_by_key_implILNS1_25lookback_scan_determinismE0ELb1ES3_N6thrust23THRUST_200600_302600_NS6detail15normal_iteratorINS9_10device_ptrIiEEEESE_SE_iNS9_4plusIvEE19head_flag_predicateIiEiEE10hipError_tPvRmT2_T3_T4_T5_mT6_T7_P12ihipStream_tbENKUlT_T0_E_clISt17integral_constantIbLb1EESZ_EEDaSU_SV_EUlSU_E_NS1_11comp_targetILNS1_3genE0ELNS1_11target_archE4294967295ELNS1_3gpuE0ELNS1_3repE0EEENS1_30default_config_static_selectorELNS0_4arch9wavefront6targetE1EEEvT1_,@function
_ZN7rocprim17ROCPRIM_400000_NS6detail17trampoline_kernelINS0_14default_configENS1_27scan_by_key_config_selectorIiiEEZZNS1_16scan_by_key_implILNS1_25lookback_scan_determinismE0ELb1ES3_N6thrust23THRUST_200600_302600_NS6detail15normal_iteratorINS9_10device_ptrIiEEEESE_SE_iNS9_4plusIvEE19head_flag_predicateIiEiEE10hipError_tPvRmT2_T3_T4_T5_mT6_T7_P12ihipStream_tbENKUlT_T0_E_clISt17integral_constantIbLb1EESZ_EEDaSU_SV_EUlSU_E_NS1_11comp_targetILNS1_3genE0ELNS1_11target_archE4294967295ELNS1_3gpuE0ELNS1_3repE0EEENS1_30default_config_static_selectorELNS0_4arch9wavefront6targetE1EEEvT1_: ; @_ZN7rocprim17ROCPRIM_400000_NS6detail17trampoline_kernelINS0_14default_configENS1_27scan_by_key_config_selectorIiiEEZZNS1_16scan_by_key_implILNS1_25lookback_scan_determinismE0ELb1ES3_N6thrust23THRUST_200600_302600_NS6detail15normal_iteratorINS9_10device_ptrIiEEEESE_SE_iNS9_4plusIvEE19head_flag_predicateIiEiEE10hipError_tPvRmT2_T3_T4_T5_mT6_T7_P12ihipStream_tbENKUlT_T0_E_clISt17integral_constantIbLb1EESZ_EEDaSU_SV_EUlSU_E_NS1_11comp_targetILNS1_3genE0ELNS1_11target_archE4294967295ELNS1_3gpuE0ELNS1_3repE0EEENS1_30default_config_static_selectorELNS0_4arch9wavefront6targetE1EEEvT1_
; %bb.0:
	.section	.rodata,"a",@progbits
	.p2align	6, 0x0
	.amdhsa_kernel _ZN7rocprim17ROCPRIM_400000_NS6detail17trampoline_kernelINS0_14default_configENS1_27scan_by_key_config_selectorIiiEEZZNS1_16scan_by_key_implILNS1_25lookback_scan_determinismE0ELb1ES3_N6thrust23THRUST_200600_302600_NS6detail15normal_iteratorINS9_10device_ptrIiEEEESE_SE_iNS9_4plusIvEE19head_flag_predicateIiEiEE10hipError_tPvRmT2_T3_T4_T5_mT6_T7_P12ihipStream_tbENKUlT_T0_E_clISt17integral_constantIbLb1EESZ_EEDaSU_SV_EUlSU_E_NS1_11comp_targetILNS1_3genE0ELNS1_11target_archE4294967295ELNS1_3gpuE0ELNS1_3repE0EEENS1_30default_config_static_selectorELNS0_4arch9wavefront6targetE1EEEvT1_
		.amdhsa_group_segment_fixed_size 0
		.amdhsa_private_segment_fixed_size 0
		.amdhsa_kernarg_size 112
		.amdhsa_user_sgpr_count 6
		.amdhsa_user_sgpr_private_segment_buffer 1
		.amdhsa_user_sgpr_dispatch_ptr 0
		.amdhsa_user_sgpr_queue_ptr 0
		.amdhsa_user_sgpr_kernarg_segment_ptr 1
		.amdhsa_user_sgpr_dispatch_id 0
		.amdhsa_user_sgpr_flat_scratch_init 0
		.amdhsa_user_sgpr_kernarg_preload_length 0
		.amdhsa_user_sgpr_kernarg_preload_offset 0
		.amdhsa_user_sgpr_private_segment_size 0
		.amdhsa_uses_dynamic_stack 0
		.amdhsa_system_sgpr_private_segment_wavefront_offset 0
		.amdhsa_system_sgpr_workgroup_id_x 1
		.amdhsa_system_sgpr_workgroup_id_y 0
		.amdhsa_system_sgpr_workgroup_id_z 0
		.amdhsa_system_sgpr_workgroup_info 0
		.amdhsa_system_vgpr_workitem_id 0
		.amdhsa_next_free_vgpr 1
		.amdhsa_next_free_sgpr 0
		.amdhsa_accum_offset 4
		.amdhsa_reserve_vcc 0
		.amdhsa_reserve_flat_scratch 0
		.amdhsa_float_round_mode_32 0
		.amdhsa_float_round_mode_16_64 0
		.amdhsa_float_denorm_mode_32 3
		.amdhsa_float_denorm_mode_16_64 3
		.amdhsa_dx10_clamp 1
		.amdhsa_ieee_mode 1
		.amdhsa_fp16_overflow 0
		.amdhsa_tg_split 0
		.amdhsa_exception_fp_ieee_invalid_op 0
		.amdhsa_exception_fp_denorm_src 0
		.amdhsa_exception_fp_ieee_div_zero 0
		.amdhsa_exception_fp_ieee_overflow 0
		.amdhsa_exception_fp_ieee_underflow 0
		.amdhsa_exception_fp_ieee_inexact 0
		.amdhsa_exception_int_div_zero 0
	.end_amdhsa_kernel
	.section	.text._ZN7rocprim17ROCPRIM_400000_NS6detail17trampoline_kernelINS0_14default_configENS1_27scan_by_key_config_selectorIiiEEZZNS1_16scan_by_key_implILNS1_25lookback_scan_determinismE0ELb1ES3_N6thrust23THRUST_200600_302600_NS6detail15normal_iteratorINS9_10device_ptrIiEEEESE_SE_iNS9_4plusIvEE19head_flag_predicateIiEiEE10hipError_tPvRmT2_T3_T4_T5_mT6_T7_P12ihipStream_tbENKUlT_T0_E_clISt17integral_constantIbLb1EESZ_EEDaSU_SV_EUlSU_E_NS1_11comp_targetILNS1_3genE0ELNS1_11target_archE4294967295ELNS1_3gpuE0ELNS1_3repE0EEENS1_30default_config_static_selectorELNS0_4arch9wavefront6targetE1EEEvT1_,"axG",@progbits,_ZN7rocprim17ROCPRIM_400000_NS6detail17trampoline_kernelINS0_14default_configENS1_27scan_by_key_config_selectorIiiEEZZNS1_16scan_by_key_implILNS1_25lookback_scan_determinismE0ELb1ES3_N6thrust23THRUST_200600_302600_NS6detail15normal_iteratorINS9_10device_ptrIiEEEESE_SE_iNS9_4plusIvEE19head_flag_predicateIiEiEE10hipError_tPvRmT2_T3_T4_T5_mT6_T7_P12ihipStream_tbENKUlT_T0_E_clISt17integral_constantIbLb1EESZ_EEDaSU_SV_EUlSU_E_NS1_11comp_targetILNS1_3genE0ELNS1_11target_archE4294967295ELNS1_3gpuE0ELNS1_3repE0EEENS1_30default_config_static_selectorELNS0_4arch9wavefront6targetE1EEEvT1_,comdat
.Lfunc_end126:
	.size	_ZN7rocprim17ROCPRIM_400000_NS6detail17trampoline_kernelINS0_14default_configENS1_27scan_by_key_config_selectorIiiEEZZNS1_16scan_by_key_implILNS1_25lookback_scan_determinismE0ELb1ES3_N6thrust23THRUST_200600_302600_NS6detail15normal_iteratorINS9_10device_ptrIiEEEESE_SE_iNS9_4plusIvEE19head_flag_predicateIiEiEE10hipError_tPvRmT2_T3_T4_T5_mT6_T7_P12ihipStream_tbENKUlT_T0_E_clISt17integral_constantIbLb1EESZ_EEDaSU_SV_EUlSU_E_NS1_11comp_targetILNS1_3genE0ELNS1_11target_archE4294967295ELNS1_3gpuE0ELNS1_3repE0EEENS1_30default_config_static_selectorELNS0_4arch9wavefront6targetE1EEEvT1_, .Lfunc_end126-_ZN7rocprim17ROCPRIM_400000_NS6detail17trampoline_kernelINS0_14default_configENS1_27scan_by_key_config_selectorIiiEEZZNS1_16scan_by_key_implILNS1_25lookback_scan_determinismE0ELb1ES3_N6thrust23THRUST_200600_302600_NS6detail15normal_iteratorINS9_10device_ptrIiEEEESE_SE_iNS9_4plusIvEE19head_flag_predicateIiEiEE10hipError_tPvRmT2_T3_T4_T5_mT6_T7_P12ihipStream_tbENKUlT_T0_E_clISt17integral_constantIbLb1EESZ_EEDaSU_SV_EUlSU_E_NS1_11comp_targetILNS1_3genE0ELNS1_11target_archE4294967295ELNS1_3gpuE0ELNS1_3repE0EEENS1_30default_config_static_selectorELNS0_4arch9wavefront6targetE1EEEvT1_
                                        ; -- End function
	.section	.AMDGPU.csdata,"",@progbits
; Kernel info:
; codeLenInByte = 0
; NumSgprs: 4
; NumVgprs: 0
; NumAgprs: 0
; TotalNumVgprs: 0
; ScratchSize: 0
; MemoryBound: 0
; FloatMode: 240
; IeeeMode: 1
; LDSByteSize: 0 bytes/workgroup (compile time only)
; SGPRBlocks: 0
; VGPRBlocks: 0
; NumSGPRsForWavesPerEU: 4
; NumVGPRsForWavesPerEU: 1
; AccumOffset: 4
; Occupancy: 8
; WaveLimiterHint : 0
; COMPUTE_PGM_RSRC2:SCRATCH_EN: 0
; COMPUTE_PGM_RSRC2:USER_SGPR: 6
; COMPUTE_PGM_RSRC2:TRAP_HANDLER: 0
; COMPUTE_PGM_RSRC2:TGID_X_EN: 1
; COMPUTE_PGM_RSRC2:TGID_Y_EN: 0
; COMPUTE_PGM_RSRC2:TGID_Z_EN: 0
; COMPUTE_PGM_RSRC2:TIDIG_COMP_CNT: 0
; COMPUTE_PGM_RSRC3_GFX90A:ACCUM_OFFSET: 0
; COMPUTE_PGM_RSRC3_GFX90A:TG_SPLIT: 0
	.section	.text._ZN7rocprim17ROCPRIM_400000_NS6detail17trampoline_kernelINS0_14default_configENS1_27scan_by_key_config_selectorIiiEEZZNS1_16scan_by_key_implILNS1_25lookback_scan_determinismE0ELb1ES3_N6thrust23THRUST_200600_302600_NS6detail15normal_iteratorINS9_10device_ptrIiEEEESE_SE_iNS9_4plusIvEE19head_flag_predicateIiEiEE10hipError_tPvRmT2_T3_T4_T5_mT6_T7_P12ihipStream_tbENKUlT_T0_E_clISt17integral_constantIbLb1EESZ_EEDaSU_SV_EUlSU_E_NS1_11comp_targetILNS1_3genE10ELNS1_11target_archE1201ELNS1_3gpuE5ELNS1_3repE0EEENS1_30default_config_static_selectorELNS0_4arch9wavefront6targetE1EEEvT1_,"axG",@progbits,_ZN7rocprim17ROCPRIM_400000_NS6detail17trampoline_kernelINS0_14default_configENS1_27scan_by_key_config_selectorIiiEEZZNS1_16scan_by_key_implILNS1_25lookback_scan_determinismE0ELb1ES3_N6thrust23THRUST_200600_302600_NS6detail15normal_iteratorINS9_10device_ptrIiEEEESE_SE_iNS9_4plusIvEE19head_flag_predicateIiEiEE10hipError_tPvRmT2_T3_T4_T5_mT6_T7_P12ihipStream_tbENKUlT_T0_E_clISt17integral_constantIbLb1EESZ_EEDaSU_SV_EUlSU_E_NS1_11comp_targetILNS1_3genE10ELNS1_11target_archE1201ELNS1_3gpuE5ELNS1_3repE0EEENS1_30default_config_static_selectorELNS0_4arch9wavefront6targetE1EEEvT1_,comdat
	.protected	_ZN7rocprim17ROCPRIM_400000_NS6detail17trampoline_kernelINS0_14default_configENS1_27scan_by_key_config_selectorIiiEEZZNS1_16scan_by_key_implILNS1_25lookback_scan_determinismE0ELb1ES3_N6thrust23THRUST_200600_302600_NS6detail15normal_iteratorINS9_10device_ptrIiEEEESE_SE_iNS9_4plusIvEE19head_flag_predicateIiEiEE10hipError_tPvRmT2_T3_T4_T5_mT6_T7_P12ihipStream_tbENKUlT_T0_E_clISt17integral_constantIbLb1EESZ_EEDaSU_SV_EUlSU_E_NS1_11comp_targetILNS1_3genE10ELNS1_11target_archE1201ELNS1_3gpuE5ELNS1_3repE0EEENS1_30default_config_static_selectorELNS0_4arch9wavefront6targetE1EEEvT1_ ; -- Begin function _ZN7rocprim17ROCPRIM_400000_NS6detail17trampoline_kernelINS0_14default_configENS1_27scan_by_key_config_selectorIiiEEZZNS1_16scan_by_key_implILNS1_25lookback_scan_determinismE0ELb1ES3_N6thrust23THRUST_200600_302600_NS6detail15normal_iteratorINS9_10device_ptrIiEEEESE_SE_iNS9_4plusIvEE19head_flag_predicateIiEiEE10hipError_tPvRmT2_T3_T4_T5_mT6_T7_P12ihipStream_tbENKUlT_T0_E_clISt17integral_constantIbLb1EESZ_EEDaSU_SV_EUlSU_E_NS1_11comp_targetILNS1_3genE10ELNS1_11target_archE1201ELNS1_3gpuE5ELNS1_3repE0EEENS1_30default_config_static_selectorELNS0_4arch9wavefront6targetE1EEEvT1_
	.globl	_ZN7rocprim17ROCPRIM_400000_NS6detail17trampoline_kernelINS0_14default_configENS1_27scan_by_key_config_selectorIiiEEZZNS1_16scan_by_key_implILNS1_25lookback_scan_determinismE0ELb1ES3_N6thrust23THRUST_200600_302600_NS6detail15normal_iteratorINS9_10device_ptrIiEEEESE_SE_iNS9_4plusIvEE19head_flag_predicateIiEiEE10hipError_tPvRmT2_T3_T4_T5_mT6_T7_P12ihipStream_tbENKUlT_T0_E_clISt17integral_constantIbLb1EESZ_EEDaSU_SV_EUlSU_E_NS1_11comp_targetILNS1_3genE10ELNS1_11target_archE1201ELNS1_3gpuE5ELNS1_3repE0EEENS1_30default_config_static_selectorELNS0_4arch9wavefront6targetE1EEEvT1_
	.p2align	8
	.type	_ZN7rocprim17ROCPRIM_400000_NS6detail17trampoline_kernelINS0_14default_configENS1_27scan_by_key_config_selectorIiiEEZZNS1_16scan_by_key_implILNS1_25lookback_scan_determinismE0ELb1ES3_N6thrust23THRUST_200600_302600_NS6detail15normal_iteratorINS9_10device_ptrIiEEEESE_SE_iNS9_4plusIvEE19head_flag_predicateIiEiEE10hipError_tPvRmT2_T3_T4_T5_mT6_T7_P12ihipStream_tbENKUlT_T0_E_clISt17integral_constantIbLb1EESZ_EEDaSU_SV_EUlSU_E_NS1_11comp_targetILNS1_3genE10ELNS1_11target_archE1201ELNS1_3gpuE5ELNS1_3repE0EEENS1_30default_config_static_selectorELNS0_4arch9wavefront6targetE1EEEvT1_,@function
_ZN7rocprim17ROCPRIM_400000_NS6detail17trampoline_kernelINS0_14default_configENS1_27scan_by_key_config_selectorIiiEEZZNS1_16scan_by_key_implILNS1_25lookback_scan_determinismE0ELb1ES3_N6thrust23THRUST_200600_302600_NS6detail15normal_iteratorINS9_10device_ptrIiEEEESE_SE_iNS9_4plusIvEE19head_flag_predicateIiEiEE10hipError_tPvRmT2_T3_T4_T5_mT6_T7_P12ihipStream_tbENKUlT_T0_E_clISt17integral_constantIbLb1EESZ_EEDaSU_SV_EUlSU_E_NS1_11comp_targetILNS1_3genE10ELNS1_11target_archE1201ELNS1_3gpuE5ELNS1_3repE0EEENS1_30default_config_static_selectorELNS0_4arch9wavefront6targetE1EEEvT1_: ; @_ZN7rocprim17ROCPRIM_400000_NS6detail17trampoline_kernelINS0_14default_configENS1_27scan_by_key_config_selectorIiiEEZZNS1_16scan_by_key_implILNS1_25lookback_scan_determinismE0ELb1ES3_N6thrust23THRUST_200600_302600_NS6detail15normal_iteratorINS9_10device_ptrIiEEEESE_SE_iNS9_4plusIvEE19head_flag_predicateIiEiEE10hipError_tPvRmT2_T3_T4_T5_mT6_T7_P12ihipStream_tbENKUlT_T0_E_clISt17integral_constantIbLb1EESZ_EEDaSU_SV_EUlSU_E_NS1_11comp_targetILNS1_3genE10ELNS1_11target_archE1201ELNS1_3gpuE5ELNS1_3repE0EEENS1_30default_config_static_selectorELNS0_4arch9wavefront6targetE1EEEvT1_
; %bb.0:
	.section	.rodata,"a",@progbits
	.p2align	6, 0x0
	.amdhsa_kernel _ZN7rocprim17ROCPRIM_400000_NS6detail17trampoline_kernelINS0_14default_configENS1_27scan_by_key_config_selectorIiiEEZZNS1_16scan_by_key_implILNS1_25lookback_scan_determinismE0ELb1ES3_N6thrust23THRUST_200600_302600_NS6detail15normal_iteratorINS9_10device_ptrIiEEEESE_SE_iNS9_4plusIvEE19head_flag_predicateIiEiEE10hipError_tPvRmT2_T3_T4_T5_mT6_T7_P12ihipStream_tbENKUlT_T0_E_clISt17integral_constantIbLb1EESZ_EEDaSU_SV_EUlSU_E_NS1_11comp_targetILNS1_3genE10ELNS1_11target_archE1201ELNS1_3gpuE5ELNS1_3repE0EEENS1_30default_config_static_selectorELNS0_4arch9wavefront6targetE1EEEvT1_
		.amdhsa_group_segment_fixed_size 0
		.amdhsa_private_segment_fixed_size 0
		.amdhsa_kernarg_size 112
		.amdhsa_user_sgpr_count 6
		.amdhsa_user_sgpr_private_segment_buffer 1
		.amdhsa_user_sgpr_dispatch_ptr 0
		.amdhsa_user_sgpr_queue_ptr 0
		.amdhsa_user_sgpr_kernarg_segment_ptr 1
		.amdhsa_user_sgpr_dispatch_id 0
		.amdhsa_user_sgpr_flat_scratch_init 0
		.amdhsa_user_sgpr_kernarg_preload_length 0
		.amdhsa_user_sgpr_kernarg_preload_offset 0
		.amdhsa_user_sgpr_private_segment_size 0
		.amdhsa_uses_dynamic_stack 0
		.amdhsa_system_sgpr_private_segment_wavefront_offset 0
		.amdhsa_system_sgpr_workgroup_id_x 1
		.amdhsa_system_sgpr_workgroup_id_y 0
		.amdhsa_system_sgpr_workgroup_id_z 0
		.amdhsa_system_sgpr_workgroup_info 0
		.amdhsa_system_vgpr_workitem_id 0
		.amdhsa_next_free_vgpr 1
		.amdhsa_next_free_sgpr 0
		.amdhsa_accum_offset 4
		.amdhsa_reserve_vcc 0
		.amdhsa_reserve_flat_scratch 0
		.amdhsa_float_round_mode_32 0
		.amdhsa_float_round_mode_16_64 0
		.amdhsa_float_denorm_mode_32 3
		.amdhsa_float_denorm_mode_16_64 3
		.amdhsa_dx10_clamp 1
		.amdhsa_ieee_mode 1
		.amdhsa_fp16_overflow 0
		.amdhsa_tg_split 0
		.amdhsa_exception_fp_ieee_invalid_op 0
		.amdhsa_exception_fp_denorm_src 0
		.amdhsa_exception_fp_ieee_div_zero 0
		.amdhsa_exception_fp_ieee_overflow 0
		.amdhsa_exception_fp_ieee_underflow 0
		.amdhsa_exception_fp_ieee_inexact 0
		.amdhsa_exception_int_div_zero 0
	.end_amdhsa_kernel
	.section	.text._ZN7rocprim17ROCPRIM_400000_NS6detail17trampoline_kernelINS0_14default_configENS1_27scan_by_key_config_selectorIiiEEZZNS1_16scan_by_key_implILNS1_25lookback_scan_determinismE0ELb1ES3_N6thrust23THRUST_200600_302600_NS6detail15normal_iteratorINS9_10device_ptrIiEEEESE_SE_iNS9_4plusIvEE19head_flag_predicateIiEiEE10hipError_tPvRmT2_T3_T4_T5_mT6_T7_P12ihipStream_tbENKUlT_T0_E_clISt17integral_constantIbLb1EESZ_EEDaSU_SV_EUlSU_E_NS1_11comp_targetILNS1_3genE10ELNS1_11target_archE1201ELNS1_3gpuE5ELNS1_3repE0EEENS1_30default_config_static_selectorELNS0_4arch9wavefront6targetE1EEEvT1_,"axG",@progbits,_ZN7rocprim17ROCPRIM_400000_NS6detail17trampoline_kernelINS0_14default_configENS1_27scan_by_key_config_selectorIiiEEZZNS1_16scan_by_key_implILNS1_25lookback_scan_determinismE0ELb1ES3_N6thrust23THRUST_200600_302600_NS6detail15normal_iteratorINS9_10device_ptrIiEEEESE_SE_iNS9_4plusIvEE19head_flag_predicateIiEiEE10hipError_tPvRmT2_T3_T4_T5_mT6_T7_P12ihipStream_tbENKUlT_T0_E_clISt17integral_constantIbLb1EESZ_EEDaSU_SV_EUlSU_E_NS1_11comp_targetILNS1_3genE10ELNS1_11target_archE1201ELNS1_3gpuE5ELNS1_3repE0EEENS1_30default_config_static_selectorELNS0_4arch9wavefront6targetE1EEEvT1_,comdat
.Lfunc_end127:
	.size	_ZN7rocprim17ROCPRIM_400000_NS6detail17trampoline_kernelINS0_14default_configENS1_27scan_by_key_config_selectorIiiEEZZNS1_16scan_by_key_implILNS1_25lookback_scan_determinismE0ELb1ES3_N6thrust23THRUST_200600_302600_NS6detail15normal_iteratorINS9_10device_ptrIiEEEESE_SE_iNS9_4plusIvEE19head_flag_predicateIiEiEE10hipError_tPvRmT2_T3_T4_T5_mT6_T7_P12ihipStream_tbENKUlT_T0_E_clISt17integral_constantIbLb1EESZ_EEDaSU_SV_EUlSU_E_NS1_11comp_targetILNS1_3genE10ELNS1_11target_archE1201ELNS1_3gpuE5ELNS1_3repE0EEENS1_30default_config_static_selectorELNS0_4arch9wavefront6targetE1EEEvT1_, .Lfunc_end127-_ZN7rocprim17ROCPRIM_400000_NS6detail17trampoline_kernelINS0_14default_configENS1_27scan_by_key_config_selectorIiiEEZZNS1_16scan_by_key_implILNS1_25lookback_scan_determinismE0ELb1ES3_N6thrust23THRUST_200600_302600_NS6detail15normal_iteratorINS9_10device_ptrIiEEEESE_SE_iNS9_4plusIvEE19head_flag_predicateIiEiEE10hipError_tPvRmT2_T3_T4_T5_mT6_T7_P12ihipStream_tbENKUlT_T0_E_clISt17integral_constantIbLb1EESZ_EEDaSU_SV_EUlSU_E_NS1_11comp_targetILNS1_3genE10ELNS1_11target_archE1201ELNS1_3gpuE5ELNS1_3repE0EEENS1_30default_config_static_selectorELNS0_4arch9wavefront6targetE1EEEvT1_
                                        ; -- End function
	.section	.AMDGPU.csdata,"",@progbits
; Kernel info:
; codeLenInByte = 0
; NumSgprs: 4
; NumVgprs: 0
; NumAgprs: 0
; TotalNumVgprs: 0
; ScratchSize: 0
; MemoryBound: 0
; FloatMode: 240
; IeeeMode: 1
; LDSByteSize: 0 bytes/workgroup (compile time only)
; SGPRBlocks: 0
; VGPRBlocks: 0
; NumSGPRsForWavesPerEU: 4
; NumVGPRsForWavesPerEU: 1
; AccumOffset: 4
; Occupancy: 8
; WaveLimiterHint : 0
; COMPUTE_PGM_RSRC2:SCRATCH_EN: 0
; COMPUTE_PGM_RSRC2:USER_SGPR: 6
; COMPUTE_PGM_RSRC2:TRAP_HANDLER: 0
; COMPUTE_PGM_RSRC2:TGID_X_EN: 1
; COMPUTE_PGM_RSRC2:TGID_Y_EN: 0
; COMPUTE_PGM_RSRC2:TGID_Z_EN: 0
; COMPUTE_PGM_RSRC2:TIDIG_COMP_CNT: 0
; COMPUTE_PGM_RSRC3_GFX90A:ACCUM_OFFSET: 0
; COMPUTE_PGM_RSRC3_GFX90A:TG_SPLIT: 0
	.section	.text._ZN7rocprim17ROCPRIM_400000_NS6detail17trampoline_kernelINS0_14default_configENS1_27scan_by_key_config_selectorIiiEEZZNS1_16scan_by_key_implILNS1_25lookback_scan_determinismE0ELb1ES3_N6thrust23THRUST_200600_302600_NS6detail15normal_iteratorINS9_10device_ptrIiEEEESE_SE_iNS9_4plusIvEE19head_flag_predicateIiEiEE10hipError_tPvRmT2_T3_T4_T5_mT6_T7_P12ihipStream_tbENKUlT_T0_E_clISt17integral_constantIbLb1EESZ_EEDaSU_SV_EUlSU_E_NS1_11comp_targetILNS1_3genE5ELNS1_11target_archE942ELNS1_3gpuE9ELNS1_3repE0EEENS1_30default_config_static_selectorELNS0_4arch9wavefront6targetE1EEEvT1_,"axG",@progbits,_ZN7rocprim17ROCPRIM_400000_NS6detail17trampoline_kernelINS0_14default_configENS1_27scan_by_key_config_selectorIiiEEZZNS1_16scan_by_key_implILNS1_25lookback_scan_determinismE0ELb1ES3_N6thrust23THRUST_200600_302600_NS6detail15normal_iteratorINS9_10device_ptrIiEEEESE_SE_iNS9_4plusIvEE19head_flag_predicateIiEiEE10hipError_tPvRmT2_T3_T4_T5_mT6_T7_P12ihipStream_tbENKUlT_T0_E_clISt17integral_constantIbLb1EESZ_EEDaSU_SV_EUlSU_E_NS1_11comp_targetILNS1_3genE5ELNS1_11target_archE942ELNS1_3gpuE9ELNS1_3repE0EEENS1_30default_config_static_selectorELNS0_4arch9wavefront6targetE1EEEvT1_,comdat
	.protected	_ZN7rocprim17ROCPRIM_400000_NS6detail17trampoline_kernelINS0_14default_configENS1_27scan_by_key_config_selectorIiiEEZZNS1_16scan_by_key_implILNS1_25lookback_scan_determinismE0ELb1ES3_N6thrust23THRUST_200600_302600_NS6detail15normal_iteratorINS9_10device_ptrIiEEEESE_SE_iNS9_4plusIvEE19head_flag_predicateIiEiEE10hipError_tPvRmT2_T3_T4_T5_mT6_T7_P12ihipStream_tbENKUlT_T0_E_clISt17integral_constantIbLb1EESZ_EEDaSU_SV_EUlSU_E_NS1_11comp_targetILNS1_3genE5ELNS1_11target_archE942ELNS1_3gpuE9ELNS1_3repE0EEENS1_30default_config_static_selectorELNS0_4arch9wavefront6targetE1EEEvT1_ ; -- Begin function _ZN7rocprim17ROCPRIM_400000_NS6detail17trampoline_kernelINS0_14default_configENS1_27scan_by_key_config_selectorIiiEEZZNS1_16scan_by_key_implILNS1_25lookback_scan_determinismE0ELb1ES3_N6thrust23THRUST_200600_302600_NS6detail15normal_iteratorINS9_10device_ptrIiEEEESE_SE_iNS9_4plusIvEE19head_flag_predicateIiEiEE10hipError_tPvRmT2_T3_T4_T5_mT6_T7_P12ihipStream_tbENKUlT_T0_E_clISt17integral_constantIbLb1EESZ_EEDaSU_SV_EUlSU_E_NS1_11comp_targetILNS1_3genE5ELNS1_11target_archE942ELNS1_3gpuE9ELNS1_3repE0EEENS1_30default_config_static_selectorELNS0_4arch9wavefront6targetE1EEEvT1_
	.globl	_ZN7rocprim17ROCPRIM_400000_NS6detail17trampoline_kernelINS0_14default_configENS1_27scan_by_key_config_selectorIiiEEZZNS1_16scan_by_key_implILNS1_25lookback_scan_determinismE0ELb1ES3_N6thrust23THRUST_200600_302600_NS6detail15normal_iteratorINS9_10device_ptrIiEEEESE_SE_iNS9_4plusIvEE19head_flag_predicateIiEiEE10hipError_tPvRmT2_T3_T4_T5_mT6_T7_P12ihipStream_tbENKUlT_T0_E_clISt17integral_constantIbLb1EESZ_EEDaSU_SV_EUlSU_E_NS1_11comp_targetILNS1_3genE5ELNS1_11target_archE942ELNS1_3gpuE9ELNS1_3repE0EEENS1_30default_config_static_selectorELNS0_4arch9wavefront6targetE1EEEvT1_
	.p2align	8
	.type	_ZN7rocprim17ROCPRIM_400000_NS6detail17trampoline_kernelINS0_14default_configENS1_27scan_by_key_config_selectorIiiEEZZNS1_16scan_by_key_implILNS1_25lookback_scan_determinismE0ELb1ES3_N6thrust23THRUST_200600_302600_NS6detail15normal_iteratorINS9_10device_ptrIiEEEESE_SE_iNS9_4plusIvEE19head_flag_predicateIiEiEE10hipError_tPvRmT2_T3_T4_T5_mT6_T7_P12ihipStream_tbENKUlT_T0_E_clISt17integral_constantIbLb1EESZ_EEDaSU_SV_EUlSU_E_NS1_11comp_targetILNS1_3genE5ELNS1_11target_archE942ELNS1_3gpuE9ELNS1_3repE0EEENS1_30default_config_static_selectorELNS0_4arch9wavefront6targetE1EEEvT1_,@function
_ZN7rocprim17ROCPRIM_400000_NS6detail17trampoline_kernelINS0_14default_configENS1_27scan_by_key_config_selectorIiiEEZZNS1_16scan_by_key_implILNS1_25lookback_scan_determinismE0ELb1ES3_N6thrust23THRUST_200600_302600_NS6detail15normal_iteratorINS9_10device_ptrIiEEEESE_SE_iNS9_4plusIvEE19head_flag_predicateIiEiEE10hipError_tPvRmT2_T3_T4_T5_mT6_T7_P12ihipStream_tbENKUlT_T0_E_clISt17integral_constantIbLb1EESZ_EEDaSU_SV_EUlSU_E_NS1_11comp_targetILNS1_3genE5ELNS1_11target_archE942ELNS1_3gpuE9ELNS1_3repE0EEENS1_30default_config_static_selectorELNS0_4arch9wavefront6targetE1EEEvT1_: ; @_ZN7rocprim17ROCPRIM_400000_NS6detail17trampoline_kernelINS0_14default_configENS1_27scan_by_key_config_selectorIiiEEZZNS1_16scan_by_key_implILNS1_25lookback_scan_determinismE0ELb1ES3_N6thrust23THRUST_200600_302600_NS6detail15normal_iteratorINS9_10device_ptrIiEEEESE_SE_iNS9_4plusIvEE19head_flag_predicateIiEiEE10hipError_tPvRmT2_T3_T4_T5_mT6_T7_P12ihipStream_tbENKUlT_T0_E_clISt17integral_constantIbLb1EESZ_EEDaSU_SV_EUlSU_E_NS1_11comp_targetILNS1_3genE5ELNS1_11target_archE942ELNS1_3gpuE9ELNS1_3repE0EEENS1_30default_config_static_selectorELNS0_4arch9wavefront6targetE1EEEvT1_
; %bb.0:
	.section	.rodata,"a",@progbits
	.p2align	6, 0x0
	.amdhsa_kernel _ZN7rocprim17ROCPRIM_400000_NS6detail17trampoline_kernelINS0_14default_configENS1_27scan_by_key_config_selectorIiiEEZZNS1_16scan_by_key_implILNS1_25lookback_scan_determinismE0ELb1ES3_N6thrust23THRUST_200600_302600_NS6detail15normal_iteratorINS9_10device_ptrIiEEEESE_SE_iNS9_4plusIvEE19head_flag_predicateIiEiEE10hipError_tPvRmT2_T3_T4_T5_mT6_T7_P12ihipStream_tbENKUlT_T0_E_clISt17integral_constantIbLb1EESZ_EEDaSU_SV_EUlSU_E_NS1_11comp_targetILNS1_3genE5ELNS1_11target_archE942ELNS1_3gpuE9ELNS1_3repE0EEENS1_30default_config_static_selectorELNS0_4arch9wavefront6targetE1EEEvT1_
		.amdhsa_group_segment_fixed_size 0
		.amdhsa_private_segment_fixed_size 0
		.amdhsa_kernarg_size 112
		.amdhsa_user_sgpr_count 6
		.amdhsa_user_sgpr_private_segment_buffer 1
		.amdhsa_user_sgpr_dispatch_ptr 0
		.amdhsa_user_sgpr_queue_ptr 0
		.amdhsa_user_sgpr_kernarg_segment_ptr 1
		.amdhsa_user_sgpr_dispatch_id 0
		.amdhsa_user_sgpr_flat_scratch_init 0
		.amdhsa_user_sgpr_kernarg_preload_length 0
		.amdhsa_user_sgpr_kernarg_preload_offset 0
		.amdhsa_user_sgpr_private_segment_size 0
		.amdhsa_uses_dynamic_stack 0
		.amdhsa_system_sgpr_private_segment_wavefront_offset 0
		.amdhsa_system_sgpr_workgroup_id_x 1
		.amdhsa_system_sgpr_workgroup_id_y 0
		.amdhsa_system_sgpr_workgroup_id_z 0
		.amdhsa_system_sgpr_workgroup_info 0
		.amdhsa_system_vgpr_workitem_id 0
		.amdhsa_next_free_vgpr 1
		.amdhsa_next_free_sgpr 0
		.amdhsa_accum_offset 4
		.amdhsa_reserve_vcc 0
		.amdhsa_reserve_flat_scratch 0
		.amdhsa_float_round_mode_32 0
		.amdhsa_float_round_mode_16_64 0
		.amdhsa_float_denorm_mode_32 3
		.amdhsa_float_denorm_mode_16_64 3
		.amdhsa_dx10_clamp 1
		.amdhsa_ieee_mode 1
		.amdhsa_fp16_overflow 0
		.amdhsa_tg_split 0
		.amdhsa_exception_fp_ieee_invalid_op 0
		.amdhsa_exception_fp_denorm_src 0
		.amdhsa_exception_fp_ieee_div_zero 0
		.amdhsa_exception_fp_ieee_overflow 0
		.amdhsa_exception_fp_ieee_underflow 0
		.amdhsa_exception_fp_ieee_inexact 0
		.amdhsa_exception_int_div_zero 0
	.end_amdhsa_kernel
	.section	.text._ZN7rocprim17ROCPRIM_400000_NS6detail17trampoline_kernelINS0_14default_configENS1_27scan_by_key_config_selectorIiiEEZZNS1_16scan_by_key_implILNS1_25lookback_scan_determinismE0ELb1ES3_N6thrust23THRUST_200600_302600_NS6detail15normal_iteratorINS9_10device_ptrIiEEEESE_SE_iNS9_4plusIvEE19head_flag_predicateIiEiEE10hipError_tPvRmT2_T3_T4_T5_mT6_T7_P12ihipStream_tbENKUlT_T0_E_clISt17integral_constantIbLb1EESZ_EEDaSU_SV_EUlSU_E_NS1_11comp_targetILNS1_3genE5ELNS1_11target_archE942ELNS1_3gpuE9ELNS1_3repE0EEENS1_30default_config_static_selectorELNS0_4arch9wavefront6targetE1EEEvT1_,"axG",@progbits,_ZN7rocprim17ROCPRIM_400000_NS6detail17trampoline_kernelINS0_14default_configENS1_27scan_by_key_config_selectorIiiEEZZNS1_16scan_by_key_implILNS1_25lookback_scan_determinismE0ELb1ES3_N6thrust23THRUST_200600_302600_NS6detail15normal_iteratorINS9_10device_ptrIiEEEESE_SE_iNS9_4plusIvEE19head_flag_predicateIiEiEE10hipError_tPvRmT2_T3_T4_T5_mT6_T7_P12ihipStream_tbENKUlT_T0_E_clISt17integral_constantIbLb1EESZ_EEDaSU_SV_EUlSU_E_NS1_11comp_targetILNS1_3genE5ELNS1_11target_archE942ELNS1_3gpuE9ELNS1_3repE0EEENS1_30default_config_static_selectorELNS0_4arch9wavefront6targetE1EEEvT1_,comdat
.Lfunc_end128:
	.size	_ZN7rocprim17ROCPRIM_400000_NS6detail17trampoline_kernelINS0_14default_configENS1_27scan_by_key_config_selectorIiiEEZZNS1_16scan_by_key_implILNS1_25lookback_scan_determinismE0ELb1ES3_N6thrust23THRUST_200600_302600_NS6detail15normal_iteratorINS9_10device_ptrIiEEEESE_SE_iNS9_4plusIvEE19head_flag_predicateIiEiEE10hipError_tPvRmT2_T3_T4_T5_mT6_T7_P12ihipStream_tbENKUlT_T0_E_clISt17integral_constantIbLb1EESZ_EEDaSU_SV_EUlSU_E_NS1_11comp_targetILNS1_3genE5ELNS1_11target_archE942ELNS1_3gpuE9ELNS1_3repE0EEENS1_30default_config_static_selectorELNS0_4arch9wavefront6targetE1EEEvT1_, .Lfunc_end128-_ZN7rocprim17ROCPRIM_400000_NS6detail17trampoline_kernelINS0_14default_configENS1_27scan_by_key_config_selectorIiiEEZZNS1_16scan_by_key_implILNS1_25lookback_scan_determinismE0ELb1ES3_N6thrust23THRUST_200600_302600_NS6detail15normal_iteratorINS9_10device_ptrIiEEEESE_SE_iNS9_4plusIvEE19head_flag_predicateIiEiEE10hipError_tPvRmT2_T3_T4_T5_mT6_T7_P12ihipStream_tbENKUlT_T0_E_clISt17integral_constantIbLb1EESZ_EEDaSU_SV_EUlSU_E_NS1_11comp_targetILNS1_3genE5ELNS1_11target_archE942ELNS1_3gpuE9ELNS1_3repE0EEENS1_30default_config_static_selectorELNS0_4arch9wavefront6targetE1EEEvT1_
                                        ; -- End function
	.section	.AMDGPU.csdata,"",@progbits
; Kernel info:
; codeLenInByte = 0
; NumSgprs: 4
; NumVgprs: 0
; NumAgprs: 0
; TotalNumVgprs: 0
; ScratchSize: 0
; MemoryBound: 0
; FloatMode: 240
; IeeeMode: 1
; LDSByteSize: 0 bytes/workgroup (compile time only)
; SGPRBlocks: 0
; VGPRBlocks: 0
; NumSGPRsForWavesPerEU: 4
; NumVGPRsForWavesPerEU: 1
; AccumOffset: 4
; Occupancy: 8
; WaveLimiterHint : 0
; COMPUTE_PGM_RSRC2:SCRATCH_EN: 0
; COMPUTE_PGM_RSRC2:USER_SGPR: 6
; COMPUTE_PGM_RSRC2:TRAP_HANDLER: 0
; COMPUTE_PGM_RSRC2:TGID_X_EN: 1
; COMPUTE_PGM_RSRC2:TGID_Y_EN: 0
; COMPUTE_PGM_RSRC2:TGID_Z_EN: 0
; COMPUTE_PGM_RSRC2:TIDIG_COMP_CNT: 0
; COMPUTE_PGM_RSRC3_GFX90A:ACCUM_OFFSET: 0
; COMPUTE_PGM_RSRC3_GFX90A:TG_SPLIT: 0
	.section	.text._ZN7rocprim17ROCPRIM_400000_NS6detail17trampoline_kernelINS0_14default_configENS1_27scan_by_key_config_selectorIiiEEZZNS1_16scan_by_key_implILNS1_25lookback_scan_determinismE0ELb1ES3_N6thrust23THRUST_200600_302600_NS6detail15normal_iteratorINS9_10device_ptrIiEEEESE_SE_iNS9_4plusIvEE19head_flag_predicateIiEiEE10hipError_tPvRmT2_T3_T4_T5_mT6_T7_P12ihipStream_tbENKUlT_T0_E_clISt17integral_constantIbLb1EESZ_EEDaSU_SV_EUlSU_E_NS1_11comp_targetILNS1_3genE4ELNS1_11target_archE910ELNS1_3gpuE8ELNS1_3repE0EEENS1_30default_config_static_selectorELNS0_4arch9wavefront6targetE1EEEvT1_,"axG",@progbits,_ZN7rocprim17ROCPRIM_400000_NS6detail17trampoline_kernelINS0_14default_configENS1_27scan_by_key_config_selectorIiiEEZZNS1_16scan_by_key_implILNS1_25lookback_scan_determinismE0ELb1ES3_N6thrust23THRUST_200600_302600_NS6detail15normal_iteratorINS9_10device_ptrIiEEEESE_SE_iNS9_4plusIvEE19head_flag_predicateIiEiEE10hipError_tPvRmT2_T3_T4_T5_mT6_T7_P12ihipStream_tbENKUlT_T0_E_clISt17integral_constantIbLb1EESZ_EEDaSU_SV_EUlSU_E_NS1_11comp_targetILNS1_3genE4ELNS1_11target_archE910ELNS1_3gpuE8ELNS1_3repE0EEENS1_30default_config_static_selectorELNS0_4arch9wavefront6targetE1EEEvT1_,comdat
	.protected	_ZN7rocprim17ROCPRIM_400000_NS6detail17trampoline_kernelINS0_14default_configENS1_27scan_by_key_config_selectorIiiEEZZNS1_16scan_by_key_implILNS1_25lookback_scan_determinismE0ELb1ES3_N6thrust23THRUST_200600_302600_NS6detail15normal_iteratorINS9_10device_ptrIiEEEESE_SE_iNS9_4plusIvEE19head_flag_predicateIiEiEE10hipError_tPvRmT2_T3_T4_T5_mT6_T7_P12ihipStream_tbENKUlT_T0_E_clISt17integral_constantIbLb1EESZ_EEDaSU_SV_EUlSU_E_NS1_11comp_targetILNS1_3genE4ELNS1_11target_archE910ELNS1_3gpuE8ELNS1_3repE0EEENS1_30default_config_static_selectorELNS0_4arch9wavefront6targetE1EEEvT1_ ; -- Begin function _ZN7rocprim17ROCPRIM_400000_NS6detail17trampoline_kernelINS0_14default_configENS1_27scan_by_key_config_selectorIiiEEZZNS1_16scan_by_key_implILNS1_25lookback_scan_determinismE0ELb1ES3_N6thrust23THRUST_200600_302600_NS6detail15normal_iteratorINS9_10device_ptrIiEEEESE_SE_iNS9_4plusIvEE19head_flag_predicateIiEiEE10hipError_tPvRmT2_T3_T4_T5_mT6_T7_P12ihipStream_tbENKUlT_T0_E_clISt17integral_constantIbLb1EESZ_EEDaSU_SV_EUlSU_E_NS1_11comp_targetILNS1_3genE4ELNS1_11target_archE910ELNS1_3gpuE8ELNS1_3repE0EEENS1_30default_config_static_selectorELNS0_4arch9wavefront6targetE1EEEvT1_
	.globl	_ZN7rocprim17ROCPRIM_400000_NS6detail17trampoline_kernelINS0_14default_configENS1_27scan_by_key_config_selectorIiiEEZZNS1_16scan_by_key_implILNS1_25lookback_scan_determinismE0ELb1ES3_N6thrust23THRUST_200600_302600_NS6detail15normal_iteratorINS9_10device_ptrIiEEEESE_SE_iNS9_4plusIvEE19head_flag_predicateIiEiEE10hipError_tPvRmT2_T3_T4_T5_mT6_T7_P12ihipStream_tbENKUlT_T0_E_clISt17integral_constantIbLb1EESZ_EEDaSU_SV_EUlSU_E_NS1_11comp_targetILNS1_3genE4ELNS1_11target_archE910ELNS1_3gpuE8ELNS1_3repE0EEENS1_30default_config_static_selectorELNS0_4arch9wavefront6targetE1EEEvT1_
	.p2align	8
	.type	_ZN7rocprim17ROCPRIM_400000_NS6detail17trampoline_kernelINS0_14default_configENS1_27scan_by_key_config_selectorIiiEEZZNS1_16scan_by_key_implILNS1_25lookback_scan_determinismE0ELb1ES3_N6thrust23THRUST_200600_302600_NS6detail15normal_iteratorINS9_10device_ptrIiEEEESE_SE_iNS9_4plusIvEE19head_flag_predicateIiEiEE10hipError_tPvRmT2_T3_T4_T5_mT6_T7_P12ihipStream_tbENKUlT_T0_E_clISt17integral_constantIbLb1EESZ_EEDaSU_SV_EUlSU_E_NS1_11comp_targetILNS1_3genE4ELNS1_11target_archE910ELNS1_3gpuE8ELNS1_3repE0EEENS1_30default_config_static_selectorELNS0_4arch9wavefront6targetE1EEEvT1_,@function
_ZN7rocprim17ROCPRIM_400000_NS6detail17trampoline_kernelINS0_14default_configENS1_27scan_by_key_config_selectorIiiEEZZNS1_16scan_by_key_implILNS1_25lookback_scan_determinismE0ELb1ES3_N6thrust23THRUST_200600_302600_NS6detail15normal_iteratorINS9_10device_ptrIiEEEESE_SE_iNS9_4plusIvEE19head_flag_predicateIiEiEE10hipError_tPvRmT2_T3_T4_T5_mT6_T7_P12ihipStream_tbENKUlT_T0_E_clISt17integral_constantIbLb1EESZ_EEDaSU_SV_EUlSU_E_NS1_11comp_targetILNS1_3genE4ELNS1_11target_archE910ELNS1_3gpuE8ELNS1_3repE0EEENS1_30default_config_static_selectorELNS0_4arch9wavefront6targetE1EEEvT1_: ; @_ZN7rocprim17ROCPRIM_400000_NS6detail17trampoline_kernelINS0_14default_configENS1_27scan_by_key_config_selectorIiiEEZZNS1_16scan_by_key_implILNS1_25lookback_scan_determinismE0ELb1ES3_N6thrust23THRUST_200600_302600_NS6detail15normal_iteratorINS9_10device_ptrIiEEEESE_SE_iNS9_4plusIvEE19head_flag_predicateIiEiEE10hipError_tPvRmT2_T3_T4_T5_mT6_T7_P12ihipStream_tbENKUlT_T0_E_clISt17integral_constantIbLb1EESZ_EEDaSU_SV_EUlSU_E_NS1_11comp_targetILNS1_3genE4ELNS1_11target_archE910ELNS1_3gpuE8ELNS1_3repE0EEENS1_30default_config_static_selectorELNS0_4arch9wavefront6targetE1EEEvT1_
; %bb.0:
	s_load_dword s54, s[4:5], 0x20
	s_load_dwordx4 s[44:47], s[4:5], 0x28
	s_load_dwordx2 s[52:53], s[4:5], 0x38
	v_cmp_eq_u32_e64 s[0:1], 0, v0
	s_and_saveexec_b64 s[2:3], s[0:1]
	s_cbranch_execz .LBB129_4
; %bb.1:
	s_mov_b64 s[8:9], exec
	v_mbcnt_lo_u32_b32 v1, s8, 0
	v_mbcnt_hi_u32_b32 v1, s9, v1
	v_cmp_eq_u32_e32 vcc, 0, v1
                                        ; implicit-def: $vgpr2
	s_and_saveexec_b64 s[6:7], vcc
	s_cbranch_execz .LBB129_3
; %bb.2:
	s_load_dwordx2 s[10:11], s[4:5], 0x68
	s_bcnt1_i32_b64 s8, s[8:9]
	v_mov_b32_e32 v2, 0
	v_mov_b32_e32 v3, s8
	s_waitcnt lgkmcnt(0)
	global_atomic_add v2, v2, v3, s[10:11] glc
.LBB129_3:
	s_or_b64 exec, exec, s[6:7]
	s_waitcnt vmcnt(0)
	v_readfirstlane_b32 s6, v2
	v_add_u32_e32 v1, s6, v1
	v_mov_b32_e32 v2, 0
	ds_write_b32 v2, v1
.LBB129_4:
	s_or_b64 exec, exec, s[2:3]
	s_load_dwordx8 s[36:43], s[4:5], 0x0
	s_load_dword s2, s[4:5], 0x40
	s_load_dwordx4 s[48:51], s[4:5], 0x48
	v_mov_b32_e32 v3, 0
	s_waitcnt lgkmcnt(0)
	s_lshl_b64 s[34:35], s[38:39], 2
	s_barrier
	ds_read_b32 v4, v3
	s_add_u32 s3, s36, s34
	s_addc_u32 s4, s37, s35
	s_add_u32 s5, s40, s34
	s_mul_i32 s7, s53, s2
	s_mul_hi_u32 s8, s52, s2
	s_addc_u32 s6, s41, s35
	s_add_i32 s7, s8, s7
	s_movk_i32 s8, 0xe00
	s_waitcnt lgkmcnt(0)
	v_mul_lo_u32 v2, v4, s8
	v_lshlrev_b64 v[38:39], 2, v[2:3]
	v_mov_b32_e32 v1, s4
	v_add_co_u32_e32 v42, vcc, s3, v38
	v_addc_co_u32_e32 v43, vcc, v1, v39, vcc
	v_mov_b32_e32 v2, s6
	v_add_co_u32_e32 v1, vcc, s5, v38
	s_mul_i32 s2, s52, s2
	v_addc_co_u32_e32 v46, vcc, v2, v39, vcc
	v_mov_b32_e32 v3, s7
	v_add_co_u32_e32 v2, vcc, s2, v4
	s_add_u32 s4, s48, -1
	v_addc_co_u32_e32 v3, vcc, 0, v3, vcc
	s_addc_u32 s5, s49, -1
	v_cmp_le_u64_e64 s[2:3], s[4:5], v[2:3]
	v_readfirstlane_b32 s47, v4
	s_mov_b64 s[12:13], -1
	s_and_b64 vcc, exec, s[2:3]
	s_mul_i32 s33, s4, 0xfffff200
	s_barrier
	s_barrier
	s_cbranch_vccz .LBB129_80
; %bb.5:
	flat_load_dword v13, v[42:43]
	s_add_i32 s40, s33, s46
	v_cmp_gt_u32_e32 vcc, s40, v0
	s_waitcnt vmcnt(0) lgkmcnt(0)
	v_mov_b32_e32 v14, v13
	s_and_saveexec_b64 s[6:7], vcc
	s_cbranch_execz .LBB129_7
; %bb.6:
	v_lshlrev_b32_e32 v2, 2, v0
	v_add_co_u32_e64 v2, s[4:5], v42, v2
	v_addc_co_u32_e64 v3, s[4:5], 0, v43, s[4:5]
	flat_load_dword v14, v[2:3]
.LBB129_7:
	s_or_b64 exec, exec, s[6:7]
	v_or_b32_e32 v2, 0x100, v0
	v_cmp_gt_u32_e64 s[4:5], s40, v2
	v_mov_b32_e32 v15, v13
	s_and_saveexec_b64 s[8:9], s[4:5]
	s_cbranch_execz .LBB129_9
; %bb.8:
	v_lshlrev_b32_e32 v2, 2, v0
	v_add_co_u32_e64 v2, s[6:7], v42, v2
	v_addc_co_u32_e64 v3, s[6:7], 0, v43, s[6:7]
	flat_load_dword v15, v[2:3] offset:1024
.LBB129_9:
	s_or_b64 exec, exec, s[8:9]
	v_or_b32_e32 v2, 0x200, v0
	v_cmp_gt_u32_e64 s[6:7], s40, v2
	v_mov_b32_e32 v16, v13
	s_and_saveexec_b64 s[10:11], s[6:7]
	s_cbranch_execz .LBB129_11
; %bb.10:
	v_lshlrev_b32_e32 v2, 2, v0
	v_add_co_u32_e64 v2, s[8:9], v42, v2
	v_addc_co_u32_e64 v3, s[8:9], 0, v43, s[8:9]
	flat_load_dword v16, v[2:3] offset:2048
.LBB129_11:
	;; [unrolled: 12-line block ×3, first 2 shown]
	s_or_b64 exec, exec, s[12:13]
	v_or_b32_e32 v2, 0x400, v0
	v_cmp_gt_u32_e64 s[10:11], s40, v2
	v_mov_b32_e32 v18, v13
	s_and_saveexec_b64 s[14:15], s[10:11]
	s_cbranch_execz .LBB129_15
; %bb.14:
	v_lshlrev_b32_e32 v3, 2, v2
	v_add_co_u32_e64 v4, s[12:13], v42, v3
	v_addc_co_u32_e64 v5, s[12:13], 0, v43, s[12:13]
	flat_load_dword v18, v[4:5]
.LBB129_15:
	s_or_b64 exec, exec, s[14:15]
	v_or_b32_e32 v3, 0x500, v0
	v_cmp_gt_u32_e64 s[12:13], s40, v3
	v_mov_b32_e32 v19, v13
	s_and_saveexec_b64 s[16:17], s[12:13]
	s_cbranch_execz .LBB129_17
; %bb.16:
	v_lshlrev_b32_e32 v4, 2, v3
	v_add_co_u32_e64 v4, s[14:15], v42, v4
	v_addc_co_u32_e64 v5, s[14:15], 0, v43, s[14:15]
	flat_load_dword v19, v[4:5]
.LBB129_17:
	;; [unrolled: 12-line block ×9, first 2 shown]
	s_or_b64 exec, exec, s[30:31]
	v_or_b32_e32 v11, 0xd00, v0
	v_cmp_gt_u32_e64 s[28:29], s40, v11
	s_and_saveexec_b64 s[36:37], s[28:29]
	s_cbranch_execz .LBB129_33
; %bb.32:
	v_lshlrev_b32_e32 v12, 2, v11
	v_add_co_u32_e64 v12, s[30:31], v42, v12
	v_addc_co_u32_e64 v13, s[30:31], 0, v43, s[30:31]
	flat_load_dword v13, v[12:13]
.LBB129_33:
	s_or_b64 exec, exec, s[36:37]
	v_lshlrev_b32_e32 v12, 2, v0
	s_waitcnt vmcnt(0) lgkmcnt(0)
	ds_write2st64_b32 v12, v14, v15 offset1:4
	ds_write2st64_b32 v12, v16, v17 offset0:8 offset1:12
	ds_write2st64_b32 v12, v18, v19 offset0:16 offset1:20
	;; [unrolled: 1-line block ×6, first 2 shown]
	s_waitcnt lgkmcnt(0)
	s_barrier
	flat_load_dword v47, v[42:43]
	v_mad_u32_u24 v48, v0, 52, v12
	s_movk_i32 s30, 0xffcc
	ds_read2_b64 v[34:37], v48 offset1:1
	ds_read2_b64 v[30:33], v48 offset0:2 offset1:3
	ds_read2_b64 v[26:29], v48 offset0:4 offset1:5
	ds_read_b64 v[44:45], v48 offset:48
	v_mad_i32_i24 v13, v0, s30, v48
	s_movk_i32 s30, 0xff
	v_cmp_ne_u32_e64 s[30:31], s30, v0
	s_waitcnt lgkmcnt(0)
	ds_write_b32 v13, v34 offset:15360
	s_waitcnt lgkmcnt(0)
	s_barrier
	s_and_saveexec_b64 s[36:37], s[30:31]
	s_cbranch_execz .LBB129_35
; %bb.34:
	s_waitcnt vmcnt(0)
	ds_read_b32 v47, v12 offset:15364
.LBB129_35:
	s_or_b64 exec, exec, s[36:37]
	s_waitcnt lgkmcnt(0)
	s_barrier
	s_waitcnt lgkmcnt(0)
                                        ; implicit-def: $vgpr13
	s_and_saveexec_b64 s[30:31], vcc
	s_cbranch_execz .LBB129_121
; %bb.36:
	v_add_co_u32_e32 v14, vcc, v1, v12
	v_addc_co_u32_e32 v15, vcc, 0, v46, vcc
	flat_load_dword v13, v[14:15]
	s_or_b64 exec, exec, s[30:31]
                                        ; implicit-def: $vgpr14
	s_and_saveexec_b64 s[30:31], s[4:5]
	s_cbranch_execnz .LBB129_122
.LBB129_37:
	s_or_b64 exec, exec, s[30:31]
                                        ; implicit-def: $vgpr15
	s_and_saveexec_b64 s[4:5], s[6:7]
	s_cbranch_execz .LBB129_123
.LBB129_38:
	v_add_co_u32_e32 v16, vcc, v1, v12
	v_addc_co_u32_e32 v17, vcc, 0, v46, vcc
	flat_load_dword v15, v[16:17] offset:2048
	s_or_b64 exec, exec, s[4:5]
                                        ; implicit-def: $vgpr16
	s_and_saveexec_b64 s[4:5], s[8:9]
	s_cbranch_execnz .LBB129_124
.LBB129_39:
	s_or_b64 exec, exec, s[4:5]
                                        ; implicit-def: $vgpr17
	s_and_saveexec_b64 s[4:5], s[10:11]
	s_cbranch_execz .LBB129_125
.LBB129_40:
	v_lshlrev_b32_e32 v2, 2, v2
	v_add_co_u32_e32 v18, vcc, v1, v2
	v_addc_co_u32_e32 v19, vcc, 0, v46, vcc
	flat_load_dword v17, v[18:19]
	s_or_b64 exec, exec, s[4:5]
                                        ; implicit-def: $vgpr2
	s_and_saveexec_b64 s[4:5], s[12:13]
	s_cbranch_execnz .LBB129_126
.LBB129_41:
	s_or_b64 exec, exec, s[4:5]
                                        ; implicit-def: $vgpr3
	s_and_saveexec_b64 s[4:5], s[14:15]
	s_cbranch_execz .LBB129_127
.LBB129_42:
	v_lshlrev_b32_e32 v3, 2, v4
	v_add_co_u32_e32 v18, vcc, v1, v3
	v_addc_co_u32_e32 v19, vcc, 0, v46, vcc
	flat_load_dword v3, v[18:19]
	s_or_b64 exec, exec, s[4:5]
                                        ; implicit-def: $vgpr4
	s_and_saveexec_b64 s[4:5], s[16:17]
	s_cbranch_execnz .LBB129_128
.LBB129_43:
	s_or_b64 exec, exec, s[4:5]
                                        ; implicit-def: $vgpr5
	s_and_saveexec_b64 s[4:5], s[18:19]
	s_cbranch_execz .LBB129_129
.LBB129_44:
	v_lshlrev_b32_e32 v5, 2, v6
	v_add_co_u32_e32 v18, vcc, v1, v5
	v_addc_co_u32_e32 v19, vcc, 0, v46, vcc
	flat_load_dword v5, v[18:19]
	s_or_b64 exec, exec, s[4:5]
                                        ; implicit-def: $vgpr6
	s_and_saveexec_b64 s[4:5], s[20:21]
	s_cbranch_execnz .LBB129_130
.LBB129_45:
	s_or_b64 exec, exec, s[4:5]
                                        ; implicit-def: $vgpr7
	s_and_saveexec_b64 s[4:5], s[22:23]
	s_cbranch_execz .LBB129_131
.LBB129_46:
	v_lshlrev_b32_e32 v7, 2, v8
	v_add_co_u32_e32 v18, vcc, v1, v7
	v_addc_co_u32_e32 v19, vcc, 0, v46, vcc
	flat_load_dword v7, v[18:19]
	s_or_b64 exec, exec, s[4:5]
                                        ; implicit-def: $vgpr8
	s_and_saveexec_b64 s[4:5], s[24:25]
	s_cbranch_execnz .LBB129_132
.LBB129_47:
	s_or_b64 exec, exec, s[4:5]
                                        ; implicit-def: $vgpr9
	s_and_saveexec_b64 s[4:5], s[26:27]
	s_cbranch_execz .LBB129_49
.LBB129_48:
	v_lshlrev_b32_e32 v9, 2, v10
	v_add_co_u32_e32 v18, vcc, v1, v9
	v_addc_co_u32_e32 v19, vcc, 0, v46, vcc
	flat_load_dword v9, v[18:19]
.LBB129_49:
	s_or_b64 exec, exec, s[4:5]
	v_mul_u32_u24_e32 v49, 14, v0
                                        ; implicit-def: $vgpr10
	s_and_saveexec_b64 s[4:5], s[28:29]
	s_cbranch_execz .LBB129_51
; %bb.50:
	v_lshlrev_b32_e32 v10, 2, v11
	v_add_co_u32_e32 v10, vcc, v1, v10
	v_addc_co_u32_e32 v11, vcc, 0, v46, vcc
	flat_load_dword v10, v[10:11]
.LBB129_51:
	s_or_b64 exec, exec, s[4:5]
	s_mov_b32 s4, 0
	s_mov_b32 s5, s4
	s_waitcnt vmcnt(0) lgkmcnt(0)
	ds_write2st64_b32 v12, v13, v14 offset1:4
	ds_write2st64_b32 v12, v15, v16 offset0:8 offset1:12
	ds_write2st64_b32 v12, v17, v2 offset0:16 offset1:20
	;; [unrolled: 1-line block ×6, first 2 shown]
	s_mov_b32 s6, s4
	s_mov_b32 s7, s4
	;; [unrolled: 1-line block ×6, first 2 shown]
	v_pk_mov_b32 v[2:3], s[4:5], s[4:5] op_sel:[0,1]
	v_pk_mov_b32 v[8:9], s[10:11], s[10:11] op_sel:[0,1]
	;; [unrolled: 1-line block ×6, first 2 shown]
	v_cmp_gt_u32_e32 vcc, s40, v49
	s_mov_b64 s[12:13], 0
	v_pk_mov_b32 v[40:41], 0, 0
	s_mov_b64 s[18:19], 0
	v_pk_mov_b32 v[14:15], v[6:7], v[6:7] op_sel:[0,1]
	v_pk_mov_b32 v[12:13], v[4:5], v[4:5] op_sel:[0,1]
	;; [unrolled: 1-line block ×6, first 2 shown]
	s_waitcnt lgkmcnt(0)
	s_barrier
	s_waitcnt lgkmcnt(0)
                                        ; implicit-def: $sgpr16_sgpr17
                                        ; implicit-def: $vgpr34
	s_and_saveexec_b64 s[14:15], vcc
	s_cbranch_execz .LBB129_79
; %bb.52:
	ds_read_b32 v2, v48
	v_mov_b32_e32 v4, s54
	v_cmp_eq_u32_e32 vcc, 0, v35
	v_or_b32_e32 v3, 1, v49
                                        ; implicit-def: $vgpr34
	s_waitcnt lgkmcnt(0)
	v_cndmask_b32_e32 v40, v4, v2, vcc
	v_cmp_ne_u32_e32 vcc, 0, v35
	v_cndmask_b32_e64 v41, 0, 1, vcc
	v_cmp_gt_u32_e32 vcc, s40, v3
	v_pk_mov_b32 v[2:3], s[4:5], s[4:5] op_sel:[0,1]
	v_pk_mov_b32 v[8:9], s[10:11], s[10:11] op_sel:[0,1]
	;; [unrolled: 1-line block ×12, first 2 shown]
                                        ; implicit-def: $sgpr4_sgpr5
	s_and_saveexec_b64 s[16:17], vcc
	s_cbranch_execz .LBB129_78
; %bb.53:
	ds_read2_b32 v[34:35], v48 offset0:1 offset1:2
	s_mov_b32 s4, 0
	v_mov_b32_e32 v3, s54
	v_cmp_eq_u32_e32 vcc, 0, v36
	s_mov_b32 s10, s4
	s_mov_b32 s11, s4
	v_add_u32_e32 v2, 2, v49
	s_waitcnt lgkmcnt(0)
	v_cndmask_b32_e32 v8, v3, v34, vcc
	v_cmp_ne_u32_e32 vcc, 0, v36
	s_mov_b32 s5, s4
	s_mov_b32 s6, s4
	;; [unrolled: 1-line block ×5, first 2 shown]
	v_pk_mov_b32 v[16:17], s[10:11], s[10:11] op_sel:[0,1]
	v_cndmask_b32_e64 v9, 0, 1, vcc
	v_cmp_gt_u32_e32 vcc, s40, v2
	v_mov_b32_e32 v2, 0
	v_pk_mov_b32 v[14:15], s[8:9], s[8:9] op_sel:[0,1]
	v_pk_mov_b32 v[12:13], s[6:7], s[6:7] op_sel:[0,1]
	;; [unrolled: 1-line block ×4, first 2 shown]
	v_mov_b32_e32 v3, v2
	v_mov_b32_e32 v4, v2
	;; [unrolled: 1-line block ×5, first 2 shown]
	s_mov_b64 s[20:21], 0
	v_pk_mov_b32 v[22:23], v[14:15], v[14:15] op_sel:[0,1]
	v_pk_mov_b32 v[20:21], v[12:13], v[12:13] op_sel:[0,1]
	;; [unrolled: 1-line block ×3, first 2 shown]
                                        ; implicit-def: $sgpr24_sgpr25
                                        ; implicit-def: $vgpr34
	s_and_saveexec_b64 s[18:19], vcc
	s_cbranch_execz .LBB129_77
; %bb.54:
	v_mov_b32_e32 v4, s54
	v_cmp_eq_u32_e32 vcc, 0, v37
	v_pk_mov_b32 v[16:17], s[10:11], s[10:11] op_sel:[0,1]
	v_add_u32_e32 v3, 3, v49
	v_cndmask_b32_e32 v6, v4, v35, vcc
	v_cmp_ne_u32_e32 vcc, 0, v37
	v_pk_mov_b32 v[14:15], s[8:9], s[8:9] op_sel:[0,1]
	v_pk_mov_b32 v[12:13], s[6:7], s[6:7] op_sel:[0,1]
	;; [unrolled: 1-line block ×4, first 2 shown]
	v_cndmask_b32_e64 v7, 0, 1, vcc
	v_cmp_gt_u32_e32 vcc, s40, v3
	v_mov_b32_e32 v3, v2
	v_mov_b32_e32 v4, v2
	;; [unrolled: 1-line block ×3, first 2 shown]
	s_mov_b64 s[22:23], 0
	v_pk_mov_b32 v[22:23], v[14:15], v[14:15] op_sel:[0,1]
	v_pk_mov_b32 v[20:21], v[12:13], v[12:13] op_sel:[0,1]
	;; [unrolled: 1-line block ×3, first 2 shown]
                                        ; implicit-def: $sgpr4_sgpr5
                                        ; implicit-def: $vgpr34
	s_and_saveexec_b64 s[20:21], vcc
	s_cbranch_execz .LBB129_76
; %bb.55:
	ds_read2_b32 v[34:35], v48 offset0:3 offset1:4
	s_mov_b32 s4, 0
	s_mov_b32 s10, s4
	;; [unrolled: 1-line block ×3, first 2 shown]
	v_mov_b32_e32 v3, s54
	v_cmp_eq_u32_e32 vcc, 0, v30
	s_mov_b32 s5, s4
	s_mov_b32 s6, s4
	;; [unrolled: 1-line block ×5, first 2 shown]
	v_pk_mov_b32 v[16:17], s[10:11], s[10:11] op_sel:[0,1]
	v_add_u32_e32 v2, 4, v49
	s_waitcnt lgkmcnt(0)
	v_cndmask_b32_e32 v4, v3, v34, vcc
	v_cmp_ne_u32_e32 vcc, 0, v30
	v_pk_mov_b32 v[14:15], s[8:9], s[8:9] op_sel:[0,1]
	v_pk_mov_b32 v[12:13], s[6:7], s[6:7] op_sel:[0,1]
	;; [unrolled: 1-line block ×4, first 2 shown]
	v_cndmask_b32_e64 v5, 0, 1, vcc
	v_cmp_gt_u32_e32 vcc, s40, v2
	v_mov_b32_e32 v2, s4
	v_mov_b32_e32 v3, s4
	s_mov_b64 s[24:25], 0
	v_pk_mov_b32 v[22:23], v[14:15], v[14:15] op_sel:[0,1]
	v_pk_mov_b32 v[20:21], v[12:13], v[12:13] op_sel:[0,1]
	;; [unrolled: 1-line block ×3, first 2 shown]
                                        ; implicit-def: $sgpr26_sgpr27
                                        ; implicit-def: $vgpr34
	s_and_saveexec_b64 s[22:23], vcc
	s_cbranch_execz .LBB129_75
; %bb.56:
	v_mov_b32_e32 v2, s54
	v_cmp_eq_u32_e32 vcc, 0, v31
	v_add_u32_e32 v10, 5, v49
	v_cndmask_b32_e32 v2, v2, v35, vcc
	v_cmp_ne_u32_e32 vcc, 0, v31
	v_cndmask_b32_e64 v3, 0, 1, vcc
	v_cmp_gt_u32_e32 vcc, s40, v10
	v_pk_mov_b32 v[16:17], s[10:11], s[10:11] op_sel:[0,1]
	v_pk_mov_b32 v[14:15], s[8:9], s[8:9] op_sel:[0,1]
	;; [unrolled: 1-line block ×5, first 2 shown]
	s_mov_b64 s[28:29], 0
	v_pk_mov_b32 v[22:23], v[14:15], v[14:15] op_sel:[0,1]
	v_pk_mov_b32 v[20:21], v[12:13], v[12:13] op_sel:[0,1]
	;; [unrolled: 1-line block ×3, first 2 shown]
                                        ; implicit-def: $sgpr4_sgpr5
                                        ; implicit-def: $vgpr34
	s_and_saveexec_b64 s[24:25], vcc
	s_cbranch_execz .LBB129_74
; %bb.57:
	ds_read2_b32 v[30:31], v48 offset0:5 offset1:6
	s_mov_b32 s4, 0
	v_mov_b32_e32 v11, s54
	v_cmp_eq_u32_e32 vcc, 0, v32
	v_add_u32_e32 v10, 6, v49
	s_waitcnt lgkmcnt(0)
	v_cndmask_b32_e32 v16, v11, v30, vcc
	v_cmp_ne_u32_e32 vcc, 0, v32
	s_mov_b32 s10, s4
	s_mov_b32 s11, s4
	v_cndmask_b32_e64 v17, 0, 1, vcc
	v_cmp_gt_u32_e32 vcc, s40, v10
	v_mov_b32_e32 v10, 0
	s_mov_b32 s5, s4
	s_mov_b32 s6, s4
	;; [unrolled: 1-line block ×5, first 2 shown]
	v_pk_mov_b32 v[24:25], s[10:11], s[10:11] op_sel:[0,1]
	v_mov_b32_e32 v11, v10
	v_mov_b32_e32 v12, v10
	;; [unrolled: 1-line block ×5, first 2 shown]
	v_pk_mov_b32 v[22:23], s[8:9], s[8:9] op_sel:[0,1]
	v_pk_mov_b32 v[20:21], s[6:7], s[6:7] op_sel:[0,1]
	;; [unrolled: 1-line block ×3, first 2 shown]
                                        ; implicit-def: $sgpr36_sgpr37
                                        ; implicit-def: $vgpr34
	s_and_saveexec_b64 s[26:27], vcc
	s_cbranch_execz .LBB129_73
; %bb.58:
	v_mov_b32_e32 v12, s54
	v_cmp_eq_u32_e32 vcc, 0, v33
	v_add_u32_e32 v11, 7, v49
	v_cndmask_b32_e32 v14, v12, v31, vcc
	v_cmp_ne_u32_e32 vcc, 0, v33
	v_pk_mov_b32 v[24:25], s[10:11], s[10:11] op_sel:[0,1]
	v_cndmask_b32_e64 v15, 0, 1, vcc
	v_cmp_gt_u32_e32 vcc, s40, v11
	v_mov_b32_e32 v11, v10
	v_mov_b32_e32 v12, v10
	v_mov_b32_e32 v13, v10
	s_mov_b64 s[30:31], 0
	v_pk_mov_b32 v[22:23], s[8:9], s[8:9] op_sel:[0,1]
	v_pk_mov_b32 v[20:21], s[6:7], s[6:7] op_sel:[0,1]
	;; [unrolled: 1-line block ×3, first 2 shown]
                                        ; implicit-def: $sgpr4_sgpr5
                                        ; implicit-def: $vgpr34
	s_and_saveexec_b64 s[28:29], vcc
	s_cbranch_execz .LBB129_72
; %bb.59:
	ds_read2_b32 v[30:31], v48 offset0:7 offset1:8
	s_mov_b32 s4, 0
	v_mov_b32_e32 v11, s54
	v_cmp_eq_u32_e32 vcc, 0, v26
	s_mov_b32 s10, s4
	s_mov_b32 s11, s4
	v_add_u32_e32 v10, 8, v49
	s_waitcnt lgkmcnt(0)
	v_cndmask_b32_e32 v12, v11, v30, vcc
	v_cmp_ne_u32_e32 vcc, 0, v26
	s_mov_b32 s5, s4
	s_mov_b32 s6, s4
	;; [unrolled: 1-line block ×5, first 2 shown]
	v_pk_mov_b32 v[24:25], s[10:11], s[10:11] op_sel:[0,1]
	v_cndmask_b32_e64 v13, 0, 1, vcc
	v_cmp_gt_u32_e32 vcc, s40, v10
	v_mov_b32_e32 v10, s4
	v_mov_b32_e32 v11, s4
	s_mov_b64 s[36:37], 0
	v_pk_mov_b32 v[22:23], s[8:9], s[8:9] op_sel:[0,1]
	v_pk_mov_b32 v[20:21], s[6:7], s[6:7] op_sel:[0,1]
	;; [unrolled: 1-line block ×3, first 2 shown]
                                        ; implicit-def: $sgpr38_sgpr39
                                        ; implicit-def: $vgpr34
	s_and_saveexec_b64 s[30:31], vcc
	s_cbranch_execz .LBB129_71
; %bb.60:
	v_mov_b32_e32 v10, s54
	v_cmp_eq_u32_e32 vcc, 0, v27
	v_add_u32_e32 v18, 9, v49
	v_cndmask_b32_e32 v10, v10, v31, vcc
	v_cmp_ne_u32_e32 vcc, 0, v27
	v_cndmask_b32_e64 v11, 0, 1, vcc
	v_cmp_gt_u32_e32 vcc, s40, v18
	v_pk_mov_b32 v[24:25], s[10:11], s[10:11] op_sel:[0,1]
	v_pk_mov_b32 v[22:23], s[8:9], s[8:9] op_sel:[0,1]
	;; [unrolled: 1-line block ×4, first 2 shown]
                                        ; implicit-def: $sgpr6_sgpr7
                                        ; implicit-def: $vgpr34
	s_and_saveexec_b64 s[4:5], vcc
	s_cbranch_execz .LBB129_70
; %bb.61:
	ds_read2_b32 v[26:27], v48 offset0:9 offset1:10
	v_mov_b32_e32 v18, s54
	v_cmp_eq_u32_e32 vcc, 0, v28
	v_add_u32_e32 v20, 10, v49
	v_mov_b32_e32 v22, 0
	s_waitcnt lgkmcnt(0)
	v_cndmask_b32_e32 v18, v18, v26, vcc
	v_cmp_ne_u32_e32 vcc, 0, v28
	v_cndmask_b32_e64 v19, 0, 1, vcc
	v_cmp_gt_u32_e32 vcc, s40, v20
	v_mov_b32_e32 v20, v22
	v_mov_b32_e32 v21, v22
	;; [unrolled: 1-line block ×5, first 2 shown]
	s_mov_b64 s[8:9], 0
                                        ; implicit-def: $sgpr36_sgpr37
                                        ; implicit-def: $vgpr34
	s_and_saveexec_b64 s[6:7], vcc
	s_cbranch_execz .LBB129_69
; %bb.62:
	v_mov_b32_e32 v20, s54
	v_cmp_eq_u32_e32 vcc, 0, v29
	v_add_u32_e32 v23, 11, v49
	v_cndmask_b32_e32 v20, v20, v27, vcc
	v_cmp_ne_u32_e32 vcc, 0, v29
	v_cndmask_b32_e64 v21, 0, 1, vcc
	v_cmp_gt_u32_e32 vcc, s40, v23
	v_mov_b32_e32 v23, v22
	v_mov_b32_e32 v24, v22
	;; [unrolled: 1-line block ×3, first 2 shown]
	s_mov_b64 s[10:11], 0
                                        ; implicit-def: $sgpr38_sgpr39
                                        ; implicit-def: $vgpr34
	s_and_saveexec_b64 s[8:9], vcc
	s_cbranch_execz .LBB129_68
; %bb.63:
	ds_read2_b32 v[26:27], v48 offset0:11 offset1:12
	v_mov_b32_e32 v22, s54
	v_cmp_eq_u32_e32 vcc, 0, v44
	v_add_u32_e32 v24, 12, v49
	s_mov_b32 s10, 0
	s_waitcnt lgkmcnt(0)
	v_cndmask_b32_e32 v22, v22, v26, vcc
	v_cmp_ne_u32_e32 vcc, 0, v44
	v_cndmask_b32_e64 v23, 0, 1, vcc
	v_cmp_gt_u32_e32 vcc, s40, v24
	v_mov_b32_e32 v24, s10
	v_mov_b32_e32 v25, s10
	s_mov_b64 s[36:37], 0
                                        ; implicit-def: $sgpr38_sgpr39
                                        ; implicit-def: $vgpr34
	s_and_saveexec_b64 s[10:11], vcc
	s_cbranch_execz .LBB129_67
; %bb.64:
	v_mov_b32_e32 v24, s54
	v_cmp_eq_u32_e32 vcc, 0, v45
	v_add_u32_e32 v26, 13, v49
	v_cndmask_b32_e32 v24, v24, v27, vcc
	v_cmp_ne_u32_e32 vcc, 0, v45
	v_cndmask_b32_e64 v25, 0, 1, vcc
	v_cmp_gt_u32_e32 vcc, s40, v26
                                        ; implicit-def: $sgpr38_sgpr39
                                        ; implicit-def: $vgpr34
	s_and_saveexec_b64 s[40:41], vcc
	s_xor_b64 s[40:41], exec, s[40:41]
	s_cbranch_execz .LBB129_66
; %bb.65:
	ds_read_b32 v26, v48 offset:52
	v_mov_b32_e32 v27, s54
	v_cmp_ne_u32_e32 vcc, 0, v47
	s_mov_b64 s[36:37], exec
	s_and_b64 s[38:39], vcc, exec
	s_waitcnt lgkmcnt(0)
	v_cndmask_b32_e32 v34, v26, v27, vcc
.LBB129_66:
	s_or_b64 exec, exec, s[40:41]
	s_and_b64 s[38:39], s[38:39], exec
	s_and_b64 s[36:37], s[36:37], exec
.LBB129_67:
	s_or_b64 exec, exec, s[10:11]
	s_and_b64 s[38:39], s[38:39], exec
	s_and_b64 s[10:11], s[36:37], exec
.LBB129_68:
	s_or_b64 exec, exec, s[8:9]
	s_and_b64 s[36:37], s[38:39], exec
	s_and_b64 s[8:9], s[10:11], exec
.LBB129_69:
	s_or_b64 exec, exec, s[6:7]
	s_and_b64 s[6:7], s[36:37], exec
	s_and_b64 s[36:37], s[8:9], exec
.LBB129_70:
	s_or_b64 exec, exec, s[4:5]
	s_and_b64 s[38:39], s[6:7], exec
	s_and_b64 s[36:37], s[36:37], exec
.LBB129_71:
	s_or_b64 exec, exec, s[30:31]
	s_and_b64 s[4:5], s[38:39], exec
	s_and_b64 s[30:31], s[36:37], exec
.LBB129_72:
	s_or_b64 exec, exec, s[28:29]
	s_and_b64 s[36:37], s[4:5], exec
	s_and_b64 s[28:29], s[30:31], exec
.LBB129_73:
	s_or_b64 exec, exec, s[26:27]
	s_and_b64 s[4:5], s[36:37], exec
	s_and_b64 s[28:29], s[28:29], exec
.LBB129_74:
	s_or_b64 exec, exec, s[24:25]
	s_and_b64 s[26:27], s[4:5], exec
	s_and_b64 s[24:25], s[28:29], exec
.LBB129_75:
	s_or_b64 exec, exec, s[22:23]
	s_and_b64 s[4:5], s[26:27], exec
	s_and_b64 s[22:23], s[24:25], exec
.LBB129_76:
	s_or_b64 exec, exec, s[20:21]
	s_and_b64 s[24:25], s[4:5], exec
	s_and_b64 s[20:21], s[22:23], exec
.LBB129_77:
	s_or_b64 exec, exec, s[18:19]
	s_and_b64 s[4:5], s[24:25], exec
	s_and_b64 s[18:19], s[20:21], exec
.LBB129_78:
	s_or_b64 exec, exec, s[16:17]
	s_and_b64 s[16:17], s[4:5], exec
	s_and_b64 s[18:19], s[18:19], exec
.LBB129_79:
	s_or_b64 exec, exec, s[14:15]
	s_and_b64 vcc, exec, s[12:13]
	v_lshlrev_b32_e32 v52, 2, v0
	s_cbranch_vccnz .LBB129_81
	s_branch .LBB129_86
.LBB129_80:
	s_mov_b64 s[18:19], 0
                                        ; implicit-def: $sgpr16_sgpr17
                                        ; implicit-def: $vgpr2_vgpr3_vgpr4_vgpr5_vgpr6_vgpr7_vgpr8_vgpr9
                                        ; implicit-def: $vgpr10_vgpr11_vgpr12_vgpr13_vgpr14_vgpr15_vgpr16_vgpr17
                                        ; implicit-def: $vgpr18_vgpr19_vgpr20_vgpr21_vgpr22_vgpr23_vgpr24_vgpr25
                                        ; implicit-def: $vgpr34
                                        ; implicit-def: $vgpr40_vgpr41
	s_and_b64 vcc, exec, s[12:13]
	v_lshlrev_b32_e32 v52, 2, v0
	s_cbranch_vccz .LBB129_86
.LBB129_81:
	v_add_co_u32_e32 v2, vcc, v42, v52
	v_addc_co_u32_e32 v3, vcc, 0, v43, vcc
	v_add_co_u32_e32 v4, vcc, 0x1000, v2
	v_addc_co_u32_e32 v5, vcc, 0, v3, vcc
	flat_load_dword v6, v[2:3]
	flat_load_dword v7, v[2:3] offset:1024
	flat_load_dword v8, v[2:3] offset:2048
	;; [unrolled: 1-line block ×3, first 2 shown]
	flat_load_dword v10, v[4:5]
	flat_load_dword v11, v[4:5] offset:1024
	flat_load_dword v12, v[4:5] offset:2048
	;; [unrolled: 1-line block ×3, first 2 shown]
	v_add_co_u32_e32 v4, vcc, 0x2000, v2
	v_addc_co_u32_e32 v5, vcc, 0, v3, vcc
	v_add_co_u32_e32 v2, vcc, 0x3000, v2
	v_addc_co_u32_e32 v3, vcc, 0, v3, vcc
	flat_load_dword v14, v[4:5]
	flat_load_dword v15, v[4:5] offset:1024
	flat_load_dword v16, v[4:5] offset:2048
	;; [unrolled: 1-line block ×3, first 2 shown]
	flat_load_dword v18, v[2:3]
	flat_load_dword v19, v[2:3] offset:1024
	v_add_co_u32_e32 v2, vcc, 0x3000, v42
	v_addc_co_u32_e32 v3, vcc, 0, v43, vcc
	s_movk_i32 s6, 0xffcc
	s_movk_i32 s9, 0x1000
	s_mov_b32 s4, 0
	s_movk_i32 s8, 0x2000
	s_movk_i32 s5, 0x3000
	s_waitcnt vmcnt(0) lgkmcnt(0)
	ds_write2st64_b32 v52, v6, v7 offset1:4
	ds_write2st64_b32 v52, v8, v9 offset0:8 offset1:12
	ds_write2st64_b32 v52, v10, v11 offset0:16 offset1:20
	;; [unrolled: 1-line block ×6, first 2 shown]
	s_waitcnt lgkmcnt(0)
	s_barrier
	flat_load_dword v32, v[2:3] offset:2048
	v_mad_u32_u24 v8, v0, 52, v52
	ds_read_b64 v[2:3], v8
	ds_read2_b64 v[10:13], v8 offset0:1 offset1:2
	ds_read2_b64 v[18:21], v8 offset0:3 offset1:4
	;; [unrolled: 1-line block ×3, first 2 shown]
	v_mad_i32_i24 v4, v0, s6, v8
	s_movk_i32 s6, 0xff
	v_cmp_ne_u32_e32 vcc, s6, v0
	s_waitcnt lgkmcnt(0)
	ds_write_b32 v4, v2 offset:15360
	s_waitcnt lgkmcnt(0)
	s_barrier
	s_and_saveexec_b64 s[6:7], vcc
	s_cbranch_execz .LBB129_83
; %bb.82:
	s_waitcnt vmcnt(0)
	ds_read_b32 v32, v52 offset:15364
.LBB129_83:
	s_or_b64 exec, exec, s[6:7]
	v_add_co_u32_e32 v4, vcc, v1, v52
	v_addc_co_u32_e32 v5, vcc, 0, v46, vcc
	v_add_co_u32_e32 v6, vcc, s9, v4
	v_addc_co_u32_e32 v7, vcc, 0, v5, vcc
	s_waitcnt lgkmcnt(0)
	s_barrier
	flat_load_dword v1, v[4:5]
	flat_load_dword v2, v[4:5] offset:1024
	flat_load_dword v9, v[4:5] offset:2048
	;; [unrolled: 1-line block ×3, first 2 shown]
	flat_load_dword v15, v[6:7]
	flat_load_dword v16, v[6:7] offset:1024
	flat_load_dword v17, v[6:7] offset:2048
	;; [unrolled: 1-line block ×3, first 2 shown]
	v_add_co_u32_e32 v6, vcc, s8, v4
	v_addc_co_u32_e32 v7, vcc, 0, v5, vcc
	v_add_co_u32_e32 v4, vcc, s5, v4
	v_addc_co_u32_e32 v5, vcc, 0, v5, vcc
	flat_load_dword v23, v[6:7]
	flat_load_dword v24, v[6:7] offset:1024
	flat_load_dword v25, v[6:7] offset:2048
	;; [unrolled: 1-line block ×3, first 2 shown]
	flat_load_dword v31, v[4:5]
	flat_load_dword v33, v[4:5] offset:1024
	s_mov_b32 s5, 1
	v_cmp_eq_u32_e32 vcc, 0, v3
	v_pk_mov_b32 v[40:41], s[4:5], s[4:5] op_sel:[0,1]
	s_waitcnt vmcnt(0) lgkmcnt(0)
	ds_write2st64_b32 v52, v1, v2 offset1:4
	ds_write2st64_b32 v52, v9, v14 offset0:8 offset1:12
	ds_write2st64_b32 v52, v15, v16 offset0:16 offset1:20
	;; [unrolled: 1-line block ×6, first 2 shown]
	s_waitcnt lgkmcnt(0)
	s_barrier
	ds_read2_b32 v[24:25], v8 offset0:7 offset1:8
	ds_read2_b32 v[14:15], v8 offset0:5 offset1:6
	;; [unrolled: 1-line block ×4, first 2 shown]
	ds_read_b32 v1, v8 offset:52
	ds_read2_b32 v[22:23], v8 offset0:11 offset1:12
	ds_read2_b32 v[30:31], v8 offset0:9 offset1:10
	v_mov_b32_e32 v2, s54
	s_and_saveexec_b64 s[4:5], vcc
	s_cbranch_execz .LBB129_85
; %bb.84:
	ds_read_b32 v2, v8
	v_pk_mov_b32 v[40:41], 0, 0
.LBB129_85:
	s_or_b64 exec, exec, s[4:5]
	v_mov_b32_e32 v33, s54
	v_cmp_eq_u32_e32 vcc, 0, v10
	s_waitcnt lgkmcnt(3)
	v_cndmask_b32_e32 v8, v33, v6, vcc
	v_cmp_eq_u32_e32 vcc, 0, v11
	v_cndmask_b32_e32 v6, v33, v7, vcc
	v_cmp_eq_u32_e32 vcc, 0, v12
	;; [unrolled: 2-line block ×3, first 2 shown]
	s_waitcnt lgkmcnt(0)
	v_or_b32_e32 v40, v40, v2
	v_cndmask_b32_e32 v2, v33, v5, vcc
	v_cmp_ne_u32_e32 vcc, 0, v10
	v_cndmask_b32_e64 v9, 0, 1, vcc
	v_cmp_ne_u32_e32 vcc, 0, v11
	v_cndmask_b32_e64 v7, 0, 1, vcc
	v_cmp_ne_u32_e32 vcc, 0, v12
	v_cndmask_b32_e64 v5, 0, 1, vcc
	v_cmp_ne_u32_e32 vcc, 0, v13
	v_cndmask_b32_e64 v3, 0, 1, vcc
	v_cmp_eq_u32_e32 vcc, 0, v18
	v_cndmask_b32_e32 v16, v33, v14, vcc
	v_cmp_eq_u32_e32 vcc, 0, v19
	v_cndmask_b32_e32 v14, v33, v15, vcc
	;; [unrolled: 2-line block ×4, first 2 shown]
	v_cmp_ne_u32_e32 vcc, 0, v18
	v_cndmask_b32_e64 v17, 0, 1, vcc
	v_cmp_ne_u32_e32 vcc, 0, v19
	v_cndmask_b32_e64 v15, 0, 1, vcc
	;; [unrolled: 2-line block ×4, first 2 shown]
	v_cmp_eq_u32_e32 vcc, 0, v29
	v_cndmask_b32_e32 v24, v33, v23, vcc
	v_cmp_eq_u32_e32 vcc, 0, v28
	v_cndmask_b32_e32 v22, v33, v22, vcc
	;; [unrolled: 2-line block ×4, first 2 shown]
	v_cmp_ne_u32_e32 vcc, 0, v29
	v_cndmask_b32_e64 v25, 0, 1, vcc
	v_cmp_ne_u32_e32 vcc, 0, v28
	v_cndmask_b32_e64 v23, 0, 1, vcc
	;; [unrolled: 2-line block ×3, first 2 shown]
	v_cmp_ne_u32_e32 vcc, 0, v26
	v_cmp_ne_u32_e64 s[16:17], 0, v32
	v_cndmask_b32_e64 v19, 0, 1, vcc
	v_cndmask_b32_e64 v34, v1, v33, s[16:17]
	s_mov_b64 s[18:19], -1
                                        ; implicit-def: $sgpr12_sgpr13
.LBB129_86:
	v_pk_mov_b32 v[42:43], s[12:13], s[12:13] op_sel:[0,1]
	s_and_saveexec_b64 s[4:5], s[18:19]
; %bb.87:
	v_cndmask_b32_e64 v35, 0, 1, s[16:17]
	v_pk_mov_b32 v[42:43], v[34:35], v[34:35] op_sel:[0,1]
; %bb.88:
	s_or_b64 exec, exec, s[4:5]
	s_mov_b32 s28, 0
	s_cmp_lg_u32 s47, 0
	v_mbcnt_lo_u32_b32 v54, -1, 0
	v_lshrrev_b32_e32 v1, 6, v0
	v_or_b32_e32 v53, 63, v0
	s_barrier
	s_cbranch_scc0 .LBB129_133
; %bb.89:
	s_mov_b32 s29, 1
	v_cmp_gt_u64_e64 s[4:5], s[28:29], v[8:9]
	v_cndmask_b32_e64 v27, 0, v40, s[4:5]
	v_add_u32_e32 v27, v27, v8
	v_cmp_gt_u64_e64 s[6:7], s[28:29], v[6:7]
	v_cndmask_b32_e64 v27, 0, v27, s[6:7]
	v_add_u32_e32 v27, v27, v6
	;; [unrolled: 3-line block ×12, first 2 shown]
	v_cmp_gt_u64_e32 vcc, s[28:29], v[42:43]
	v_cndmask_b32_e32 v27, 0, v27, vcc
	v_add_u32_e32 v28, v27, v42
	v_or3_b32 v27, v43, v25, v23
	v_or3_b32 v27, v27, v21, v19
	;; [unrolled: 1-line block ×6, first 2 shown]
	v_mov_b32_e32 v26, 0
	v_and_b32_e32 v27, 1, v27
	v_cmp_eq_u64_e32 vcc, 0, v[26:27]
	v_cndmask_b32_e32 v27, 1, v41, vcc
	v_and_b32_e32 v29, 0xff, v27
	v_mov_b32_dpp v31, v28 row_shr:1 row_mask:0xf bank_mask:0xf
	v_cmp_eq_u16_e32 vcc, 0, v29
	v_mov_b32_dpp v32, v29 row_shr:1 row_mask:0xf bank_mask:0xf
	v_and_b32_e32 v33, 1, v27
	v_mbcnt_hi_u32_b32 v48, -1, v54
	v_cndmask_b32_e32 v31, 0, v31, vcc
	v_and_b32_e32 v32, 1, v32
	v_cmp_eq_u32_e32 vcc, 1, v33
	v_and_b32_e32 v30, 15, v48
	v_cndmask_b32_e64 v32, v32, 1, vcc
	v_and_b32_e32 v33, 0xffff, v32
	v_cmp_eq_u32_e32 vcc, 0, v30
	v_cndmask_b32_e32 v27, v32, v27, vcc
	v_cndmask_b32_e32 v29, v33, v29, vcc
	v_and_b32_e32 v33, 1, v27
	v_cndmask_b32_e64 v31, v31, 0, vcc
	v_mov_b32_dpp v32, v29 row_shr:2 row_mask:0xf bank_mask:0xf
	v_and_b32_e32 v32, 1, v32
	v_cmp_eq_u32_e32 vcc, 1, v33
	v_cndmask_b32_e64 v32, v32, 1, vcc
	v_and_b32_e32 v33, 0xffff, v32
	v_cmp_lt_u32_e32 vcc, 1, v30
	v_add_u32_e32 v28, v31, v28
	v_cmp_eq_u16_sdwa s[28:29], v27, v26 src0_sel:BYTE_0 src1_sel:DWORD
	v_cndmask_b32_e32 v27, v27, v32, vcc
	v_cndmask_b32_e32 v29, v29, v33, vcc
	v_mov_b32_dpp v31, v28 row_shr:2 row_mask:0xf bank_mask:0xf
	s_and_b64 vcc, vcc, s[28:29]
	v_mov_b32_dpp v32, v29 row_shr:4 row_mask:0xf bank_mask:0xf
	v_and_b32_e32 v33, 1, v27
	v_cndmask_b32_e32 v31, 0, v31, vcc
	v_and_b32_e32 v32, 1, v32
	v_cmp_eq_u32_e32 vcc, 1, v33
	v_cndmask_b32_e64 v32, v32, 1, vcc
	v_and_b32_e32 v33, 0xffff, v32
	v_cmp_lt_u32_e32 vcc, 3, v30
	v_add_u32_e32 v28, v31, v28
	v_cmp_eq_u16_sdwa s[28:29], v27, v26 src0_sel:BYTE_0 src1_sel:DWORD
	v_cndmask_b32_e32 v27, v27, v32, vcc
	v_cndmask_b32_e32 v29, v29, v33, vcc
	v_mov_b32_dpp v31, v28 row_shr:4 row_mask:0xf bank_mask:0xf
	s_and_b64 vcc, vcc, s[28:29]
	v_mov_b32_dpp v32, v29 row_shr:8 row_mask:0xf bank_mask:0xf
	v_and_b32_e32 v33, 1, v27
	v_cndmask_b32_e32 v31, 0, v31, vcc
	v_and_b32_e32 v32, 1, v32
	v_cmp_eq_u32_e32 vcc, 1, v33
	v_cndmask_b32_e64 v32, v32, 1, vcc
	v_add_u32_e32 v28, v31, v28
	v_cmp_eq_u16_sdwa s[28:29], v27, v26 src0_sel:BYTE_0 src1_sel:DWORD
	v_and_b32_e32 v33, 0xffff, v32
	v_cmp_lt_u32_e32 vcc, 7, v30
	v_mov_b32_dpp v31, v28 row_shr:8 row_mask:0xf bank_mask:0xf
	v_cndmask_b32_e32 v27, v27, v32, vcc
	v_cndmask_b32_e32 v29, v29, v33, vcc
	s_and_b64 vcc, vcc, s[28:29]
	v_cndmask_b32_e32 v30, 0, v31, vcc
	v_add_u32_e32 v28, v30, v28
	v_mov_b32_dpp v31, v29 row_bcast:15 row_mask:0xf bank_mask:0xf
	v_cmp_eq_u16_sdwa vcc, v27, v26 src0_sel:BYTE_0 src1_sel:DWORD
	v_mov_b32_dpp v30, v28 row_bcast:15 row_mask:0xf bank_mask:0xf
	v_and_b32_e32 v34, 1, v27
	v_cndmask_b32_e32 v30, 0, v30, vcc
	v_and_b32_e32 v31, 1, v31
	v_cmp_eq_u32_e32 vcc, 1, v34
	v_and_b32_e32 v33, 16, v48
	v_cndmask_b32_e64 v31, v31, 1, vcc
	v_and_b32_e32 v34, 0xffff, v31
	v_cmp_eq_u32_e32 vcc, 0, v33
	v_cndmask_b32_e32 v27, v31, v27, vcc
	v_cndmask_b32_e32 v29, v34, v29, vcc
	v_bfe_i32 v32, v48, 4, 1
	v_cmp_eq_u16_sdwa s[28:29], v27, v26 src0_sel:BYTE_0 src1_sel:DWORD
	v_mov_b32_dpp v29, v29 row_bcast:31 row_mask:0xf bank_mask:0xf
	v_and_b32_e32 v26, 1, v27
	v_and_b32_e32 v30, v32, v30
	;; [unrolled: 1-line block ×3, first 2 shown]
	v_cmp_eq_u32_e32 vcc, 1, v26
	v_add_u32_e32 v28, v30, v28
	v_cndmask_b32_e64 v26, v29, 1, vcc
	v_cmp_lt_u32_e32 vcc, 31, v48
	v_mov_b32_dpp v30, v28 row_bcast:31 row_mask:0xf bank_mask:0xf
	v_cndmask_b32_e32 v29, v27, v26, vcc
	s_and_b64 vcc, vcc, s[28:29]
	v_cndmask_b32_e32 v26, 0, v30, vcc
	v_add_u32_e32 v28, v26, v28
	v_cmp_eq_u32_e32 vcc, v53, v0
	s_and_saveexec_b64 s[28:29], vcc
	s_cbranch_execz .LBB129_91
; %bb.90:
	v_lshlrev_b32_e32 v26, 3, v1
	ds_write_b32 v26, v28
	ds_write_b8 v26, v29 offset:4
.LBB129_91:
	s_or_b64 exec, exec, s[28:29]
	v_cmp_gt_u32_e32 vcc, 4, v0
	s_waitcnt lgkmcnt(0)
	s_barrier
	s_and_saveexec_b64 s[28:29], vcc
	s_cbranch_execz .LBB129_95
; %bb.92:
	v_lshlrev_b32_e32 v30, 3, v0
	ds_read_b64 v[26:27], v30
	v_and_b32_e32 v31, 3, v48
	v_cmp_ne_u32_e32 vcc, 0, v31
	s_waitcnt lgkmcnt(0)
	v_mov_b32_dpp v32, v26 row_shr:1 row_mask:0xf bank_mask:0xf
	v_mov_b32_dpp v34, v27 row_shr:1 row_mask:0xf bank_mask:0xf
	v_mov_b32_e32 v33, v27
	s_and_saveexec_b64 s[30:31], vcc
	s_cbranch_execz .LBB129_94
; %bb.93:
	v_and_b32_e32 v33, 1, v27
	v_and_b32_e32 v34, 1, v34
	v_cmp_eq_u32_e32 vcc, 1, v33
	v_mov_b32_e32 v33, 0
	v_cndmask_b32_e64 v34, v34, 1, vcc
	v_cmp_eq_u16_sdwa vcc, v27, v33 src0_sel:BYTE_0 src1_sel:DWORD
	v_cndmask_b32_e32 v32, 0, v32, vcc
	v_add_u32_e32 v26, v32, v26
	v_and_b32_e32 v32, 0xffff, v34
	s_movk_i32 s36, 0xff00
	v_and_or_b32 v33, v27, s36, v32
	v_mov_b32_e32 v27, v34
.LBB129_94:
	s_or_b64 exec, exec, s[30:31]
	v_mov_b32_dpp v33, v33 row_shr:2 row_mask:0xf bank_mask:0xf
	v_and_b32_e32 v34, 1, v27
	v_and_b32_e32 v33, 1, v33
	v_cmp_eq_u32_e32 vcc, 1, v34
	v_mov_b32_e32 v34, 0
	v_cndmask_b32_e64 v33, v33, 1, vcc
	v_cmp_eq_u16_sdwa s[30:31], v27, v34 src0_sel:BYTE_0 src1_sel:DWORD
	v_cmp_lt_u32_e32 vcc, 1, v31
	v_mov_b32_dpp v32, v26 row_shr:2 row_mask:0xf bank_mask:0xf
	v_cndmask_b32_e32 v27, v27, v33, vcc
	s_and_b64 vcc, vcc, s[30:31]
	v_cndmask_b32_e32 v31, 0, v32, vcc
	v_add_u32_e32 v26, v31, v26
	ds_write_b32 v30, v26
	ds_write_b8 v30, v27 offset:4
.LBB129_95:
	s_or_b64 exec, exec, s[28:29]
	v_cmp_gt_u32_e32 vcc, 64, v0
	v_cmp_lt_u32_e64 s[28:29], 63, v0
	v_mov_b32_e32 v44, 0
	v_mov_b32_e32 v45, 0
	s_waitcnt lgkmcnt(0)
	s_barrier
	s_and_saveexec_b64 s[30:31], s[28:29]
	s_cbranch_execz .LBB129_97
; %bb.96:
	v_lshl_add_u32 v26, v1, 3, -8
	ds_read_b32 v44, v26
	ds_read_u8 v45, v26 offset:4
	v_mov_b32_e32 v27, 0
	v_and_b32_e32 v30, 1, v29
	v_cmp_eq_u16_sdwa s[28:29], v29, v27 src0_sel:BYTE_0 src1_sel:DWORD
	s_waitcnt lgkmcnt(1)
	v_cndmask_b32_e64 v26, 0, v44, s[28:29]
	v_cmp_eq_u32_e64 s[28:29], 1, v30
	v_add_u32_e32 v28, v26, v28
	s_waitcnt lgkmcnt(0)
	v_cndmask_b32_e64 v29, v45, 1, s[28:29]
.LBB129_97:
	s_or_b64 exec, exec, s[30:31]
	v_and_b32_e32 v26, 0xff, v29
	v_add_u32_e32 v27, -1, v48
	v_and_b32_e32 v29, 64, v48
	v_cmp_lt_i32_e64 s[28:29], v27, v29
	v_cndmask_b32_e64 v27, v27, v48, s[28:29]
	v_lshlrev_b32_e32 v27, 2, v27
	ds_bpermute_b32 v46, v27, v28
	ds_bpermute_b32 v47, v27, v26
	v_cmp_eq_u32_e64 s[28:29], 0, v48
	s_and_saveexec_b64 s[36:37], vcc
	s_cbranch_execz .LBB129_120
; %bb.98:
	v_mov_b32_e32 v29, 0
	ds_read_b64 v[26:27], v29 offset:24
	s_waitcnt lgkmcnt(0)
	v_readfirstlane_b32 s48, v27
	s_and_saveexec_b64 s[30:31], s[28:29]
	s_cbranch_execz .LBB129_100
; %bb.99:
	s_add_i32 s38, s47, 64
	s_mov_b32 s39, 0
	s_lshl_b64 s[40:41], s[38:39], 4
	s_add_u32 s40, s44, s40
	s_addc_u32 s41, s45, s41
	s_and_b32 s57, s48, 0xff000000
	s_mov_b32 s56, s39
	s_and_b32 s59, s48, 0xff0000
	s_mov_b32 s58, s39
	s_or_b64 s[56:57], s[58:59], s[56:57]
	s_and_b32 s59, s48, 0xff00
	s_or_b64 s[56:57], s[56:57], s[58:59]
	s_and_b32 s59, s48, 0xff
	s_or_b64 s[38:39], s[56:57], s[58:59]
	v_mov_b32_e32 v27, s39
	v_mov_b32_e32 v28, 1
	v_pk_mov_b32 v[30:31], s[40:41], s[40:41] op_sel:[0,1]
	;;#ASMSTART
	global_store_dwordx4 v[30:31], v[26:29] off	
s_waitcnt vmcnt(0)
	;;#ASMEND
.LBB129_100:
	s_or_b64 exec, exec, s[30:31]
	v_xad_u32 v34, v48, -1, s47
	v_add_u32_e32 v28, 64, v34
	v_lshlrev_b64 v[30:31], 4, v[28:29]
	v_mov_b32_e32 v27, s45
	v_add_co_u32_e32 v36, vcc, s44, v30
	v_addc_co_u32_e32 v37, vcc, v27, v31, vcc
	;;#ASMSTART
	global_load_dwordx4 v[30:33], v[36:37] off glc	
s_waitcnt vmcnt(0)
	;;#ASMEND
	v_and_b32_e32 v27, 0xff0000, v30
	v_or_b32_sdwa v27, v30, v27 dst_sel:DWORD dst_unused:UNUSED_PAD src0_sel:WORD_0 src1_sel:DWORD
	v_and_b32_e32 v28, 0xff000000, v30
	v_and_b32_e32 v30, 0xff, v31
	v_or3_b32 v31, 0, 0, v30
	v_or3_b32 v30, v27, v28, 0
	v_cmp_eq_u16_sdwa s[38:39], v32, v29 src0_sel:BYTE_0 src1_sel:DWORD
	s_and_saveexec_b64 s[30:31], s[38:39]
	s_cbranch_execz .LBB129_106
; %bb.101:
	s_mov_b32 s40, 1
	s_mov_b64 s[38:39], 0
	v_mov_b32_e32 v27, 0
.LBB129_102:                            ; =>This Loop Header: Depth=1
                                        ;     Child Loop BB129_103 Depth 2
	s_max_u32 s41, s40, 1
.LBB129_103:                            ;   Parent Loop BB129_102 Depth=1
                                        ; =>  This Inner Loop Header: Depth=2
	s_add_i32 s41, s41, -1
	s_cmp_eq_u32 s41, 0
	s_sleep 1
	s_cbranch_scc0 .LBB129_103
; %bb.104:                              ;   in Loop: Header=BB129_102 Depth=1
	s_cmp_lt_u32 s40, 32
	s_cselect_b64 s[56:57], -1, 0
	s_cmp_lg_u64 s[56:57], 0
	s_addc_u32 s40, s40, 0
	;;#ASMSTART
	global_load_dwordx4 v[30:33], v[36:37] off glc	
s_waitcnt vmcnt(0)
	;;#ASMEND
	v_cmp_ne_u16_sdwa s[56:57], v32, v27 src0_sel:BYTE_0 src1_sel:DWORD
	s_or_b64 s[38:39], s[56:57], s[38:39]
	s_andn2_b64 exec, exec, s[38:39]
	s_cbranch_execnz .LBB129_102
; %bb.105:
	s_or_b64 exec, exec, s[38:39]
	v_and_b32_e32 v31, 0xff, v31
.LBB129_106:
	s_or_b64 exec, exec, s[30:31]
	v_mov_b32_e32 v27, 2
	v_cmp_eq_u16_sdwa s[30:31], v32, v27 src0_sel:BYTE_0 src1_sel:DWORD
	v_lshlrev_b64 v[28:29], v48, -1
	v_and_b32_e32 v33, s31, v29
	v_or_b32_e32 v33, 0x80000000, v33
	v_and_b32_e32 v35, s30, v28
	v_ffbl_b32_e32 v33, v33
	v_and_b32_e32 v49, 63, v48
	v_add_u32_e32 v33, 32, v33
	v_ffbl_b32_e32 v35, v35
	v_cmp_ne_u32_e32 vcc, 63, v49
	v_min_u32_e32 v33, v35, v33
	v_addc_co_u32_e32 v35, vcc, 0, v48, vcc
	v_lshlrev_b32_e32 v50, 2, v35
	ds_bpermute_b32 v35, v50, v31
	ds_bpermute_b32 v36, v50, v30
	s_mov_b32 s38, 0
	v_and_b32_e32 v37, 1, v31
	s_mov_b32 s39, 1
	s_waitcnt lgkmcnt(1)
	v_and_b32_e32 v35, 1, v35
	v_cmp_eq_u32_e32 vcc, 1, v37
	v_cndmask_b32_e64 v35, v35, 1, vcc
	v_cmp_gt_u64_e32 vcc, s[38:39], v[30:31]
	v_cmp_lt_u32_e64 s[30:31], v49, v33
	s_and_b64 vcc, s[30:31], vcc
	v_and_b32_e32 v37, 0xffff, v35
	v_cndmask_b32_e64 v56, v31, v35, s[30:31]
	s_waitcnt lgkmcnt(0)
	v_cndmask_b32_e32 v35, 0, v36, vcc
	v_cmp_gt_u32_e32 vcc, 62, v49
	v_cndmask_b32_e64 v36, 0, 1, vcc
	v_lshlrev_b32_e32 v36, 1, v36
	v_cndmask_b32_e64 v31, v31, v37, s[30:31]
	v_add_lshl_u32 v51, v36, v48, 2
	ds_bpermute_b32 v36, v51, v31
	v_add_u32_e32 v30, v35, v30
	ds_bpermute_b32 v37, v51, v30
	v_and_b32_e32 v35, 1, v56
	v_cmp_eq_u32_e32 vcc, 1, v35
	s_waitcnt lgkmcnt(1)
	v_and_b32_e32 v36, 1, v36
	v_mov_b32_e32 v35, 0
	v_add_u32_e32 v55, 2, v49
	v_cndmask_b32_e64 v36, v36, 1, vcc
	v_cmp_eq_u16_sdwa vcc, v56, v35 src0_sel:BYTE_0 src1_sel:DWORD
	v_and_b32_e32 v57, 0xffff, v36
	s_waitcnt lgkmcnt(0)
	v_cndmask_b32_e32 v37, 0, v37, vcc
	v_cmp_gt_u32_e32 vcc, v55, v33
	v_cndmask_b32_e32 v36, v36, v56, vcc
	v_cndmask_b32_e64 v37, v37, 0, vcc
	v_cndmask_b32_e32 v31, v57, v31, vcc
	v_cmp_gt_u32_e32 vcc, 60, v49
	v_cndmask_b32_e64 v56, 0, 1, vcc
	v_lshlrev_b32_e32 v56, 2, v56
	v_add_lshl_u32 v56, v56, v48, 2
	ds_bpermute_b32 v58, v56, v31
	v_add_u32_e32 v30, v37, v30
	ds_bpermute_b32 v37, v56, v30
	v_and_b32_e32 v59, 1, v36
	v_cmp_eq_u32_e32 vcc, 1, v59
	s_waitcnt lgkmcnt(1)
	v_and_b32_e32 v58, 1, v58
	v_add_u32_e32 v57, 4, v49
	v_cndmask_b32_e64 v58, v58, 1, vcc
	v_cmp_eq_u16_sdwa vcc, v36, v35 src0_sel:BYTE_0 src1_sel:DWORD
	v_and_b32_e32 v59, 0xffff, v58
	s_waitcnt lgkmcnt(0)
	v_cndmask_b32_e32 v37, 0, v37, vcc
	v_cmp_gt_u32_e32 vcc, v57, v33
	v_cndmask_b32_e32 v36, v58, v36, vcc
	v_cndmask_b32_e64 v37, v37, 0, vcc
	v_cndmask_b32_e32 v31, v59, v31, vcc
	v_cmp_gt_u32_e32 vcc, 56, v49
	v_cndmask_b32_e64 v58, 0, 1, vcc
	v_lshlrev_b32_e32 v58, 3, v58
	v_add_lshl_u32 v58, v58, v48, 2
	ds_bpermute_b32 v60, v58, v31
	v_add_u32_e32 v30, v37, v30
	ds_bpermute_b32 v37, v58, v30
	v_and_b32_e32 v61, 1, v36
	v_cmp_eq_u32_e32 vcc, 1, v61
	s_waitcnt lgkmcnt(1)
	v_and_b32_e32 v60, 1, v60
	;; [unrolled: 21-line block ×4, first 2 shown]
	v_add_u32_e32 v64, 32, v49
	v_cndmask_b32_e64 v31, v31, 1, vcc
	v_cmp_eq_u16_sdwa vcc, v36, v35 src0_sel:BYTE_0 src1_sel:DWORD
	s_waitcnt lgkmcnt(0)
	v_cndmask_b32_e32 v37, 0, v37, vcc
	v_cmp_gt_u32_e32 vcc, v64, v33
	v_cndmask_b32_e64 v33, v37, 0, vcc
	v_cndmask_b32_e32 v31, v31, v36, vcc
	v_add_u32_e32 v30, v33, v30
	s_branch .LBB129_108
.LBB129_107:                            ;   in Loop: Header=BB129_108 Depth=1
	s_or_b64 exec, exec, s[30:31]
	v_cmp_eq_u16_sdwa s[30:31], v32, v27 src0_sel:BYTE_0 src1_sel:DWORD
	v_and_b32_e32 v33, s31, v29
	ds_bpermute_b32 v37, v50, v31
	v_or_b32_e32 v33, 0x80000000, v33
	v_and_b32_e32 v36, s30, v28
	v_ffbl_b32_e32 v33, v33
	v_add_u32_e32 v33, 32, v33
	v_ffbl_b32_e32 v36, v36
	v_min_u32_e32 v33, v36, v33
	ds_bpermute_b32 v36, v50, v30
	v_and_b32_e32 v65, 1, v31
	s_waitcnt lgkmcnt(1)
	v_and_b32_e32 v37, 1, v37
	v_cmp_eq_u32_e32 vcc, 1, v65
	v_cndmask_b32_e64 v37, v37, 1, vcc
	v_cmp_gt_u64_e32 vcc, s[38:39], v[30:31]
	v_and_b32_e32 v65, 0xffff, v37
	v_cmp_lt_u32_e64 s[30:31], v49, v33
	v_cndmask_b32_e64 v37, v31, v37, s[30:31]
	v_cndmask_b32_e64 v31, v31, v65, s[30:31]
	s_and_b64 vcc, s[30:31], vcc
	ds_bpermute_b32 v65, v51, v31
	s_waitcnt lgkmcnt(1)
	v_cndmask_b32_e32 v36, 0, v36, vcc
	v_add_u32_e32 v30, v36, v30
	ds_bpermute_b32 v36, v51, v30
	v_and_b32_e32 v66, 1, v37
	s_waitcnt lgkmcnt(1)
	v_and_b32_e32 v65, 1, v65
	v_cmp_eq_u32_e32 vcc, 1, v66
	v_cndmask_b32_e64 v65, v65, 1, vcc
	v_cmp_eq_u16_sdwa vcc, v37, v35 src0_sel:BYTE_0 src1_sel:DWORD
	v_and_b32_e32 v66, 0xffff, v65
	s_waitcnt lgkmcnt(0)
	v_cndmask_b32_e32 v36, 0, v36, vcc
	v_cmp_gt_u32_e32 vcc, v55, v33
	v_cndmask_b32_e32 v31, v66, v31, vcc
	v_cndmask_b32_e32 v37, v65, v37, vcc
	ds_bpermute_b32 v65, v56, v31
	v_cndmask_b32_e64 v36, v36, 0, vcc
	v_add_u32_e32 v30, v36, v30
	ds_bpermute_b32 v36, v56, v30
	v_and_b32_e32 v66, 1, v37
	s_waitcnt lgkmcnt(1)
	v_and_b32_e32 v65, 1, v65
	v_cmp_eq_u32_e32 vcc, 1, v66
	v_cndmask_b32_e64 v65, v65, 1, vcc
	v_cmp_eq_u16_sdwa vcc, v37, v35 src0_sel:BYTE_0 src1_sel:DWORD
	v_and_b32_e32 v66, 0xffff, v65
	s_waitcnt lgkmcnt(0)
	v_cndmask_b32_e32 v36, 0, v36, vcc
	v_cmp_gt_u32_e32 vcc, v57, v33
	v_cndmask_b32_e32 v31, v66, v31, vcc
	v_cndmask_b32_e32 v37, v65, v37, vcc
	ds_bpermute_b32 v65, v58, v31
	v_cndmask_b32_e64 v36, v36, 0, vcc
	;; [unrolled: 16-line block ×3, first 2 shown]
	v_add_u32_e32 v30, v36, v30
	ds_bpermute_b32 v36, v60, v30
	v_and_b32_e32 v66, 1, v37
	s_waitcnt lgkmcnt(1)
	v_and_b32_e32 v65, 1, v65
	v_cmp_eq_u32_e32 vcc, 1, v66
	v_cndmask_b32_e64 v65, v65, 1, vcc
	v_cmp_eq_u16_sdwa vcc, v37, v35 src0_sel:BYTE_0 src1_sel:DWORD
	v_and_b32_e32 v66, 0xffff, v65
	s_waitcnt lgkmcnt(0)
	v_cndmask_b32_e32 v36, 0, v36, vcc
	v_cmp_gt_u32_e32 vcc, v61, v33
	v_cndmask_b32_e64 v36, v36, 0, vcc
	v_cndmask_b32_e32 v31, v66, v31, vcc
	ds_bpermute_b32 v31, v63, v31
	v_add_u32_e32 v30, v36, v30
	ds_bpermute_b32 v36, v63, v30
	v_cndmask_b32_e32 v37, v65, v37, vcc
	v_and_b32_e32 v65, 1, v37
	v_cmp_eq_u32_e32 vcc, 1, v65
	s_waitcnt lgkmcnt(1)
	v_cndmask_b32_e64 v31, v31, 1, vcc
	v_cmp_eq_u16_sdwa vcc, v37, v35 src0_sel:BYTE_0 src1_sel:DWORD
	s_waitcnt lgkmcnt(0)
	v_cndmask_b32_e32 v36, 0, v36, vcc
	v_cmp_gt_u32_e32 vcc, v64, v33
	v_cndmask_b32_e64 v33, v36, 0, vcc
	v_cndmask_b32_e32 v31, v31, v37, vcc
	v_add_u32_e32 v30, v33, v30
	v_cmp_eq_u16_sdwa vcc, v48, v35 src0_sel:BYTE_0 src1_sel:DWORD
	v_and_b32_e32 v33, 1, v48
	v_cndmask_b32_e32 v30, 0, v30, vcc
	v_and_b32_e32 v31, 1, v31
	v_cmp_eq_u32_e32 vcc, 1, v33
	v_subrev_u32_e32 v34, 64, v34
	v_add_u32_e32 v30, v30, v62
	v_cndmask_b32_e64 v31, v31, 1, vcc
.LBB129_108:                            ; =>This Loop Header: Depth=1
                                        ;     Child Loop BB129_111 Depth 2
                                        ;       Child Loop BB129_112 Depth 3
	v_cmp_ne_u16_sdwa s[30:31], v32, v27 src0_sel:BYTE_0 src1_sel:DWORD
	v_mov_b32_e32 v48, v31
	v_cndmask_b32_e64 v31, 0, 1, s[30:31]
	;;#ASMSTART
	;;#ASMEND
	v_cmp_ne_u32_e32 vcc, 0, v31
	s_cmp_lg_u64 vcc, exec
	v_mov_b32_e32 v62, v30
	s_cbranch_scc1 .LBB129_115
; %bb.109:                              ;   in Loop: Header=BB129_108 Depth=1
	v_lshlrev_b64 v[30:31], 4, v[34:35]
	v_mov_b32_e32 v32, s45
	v_add_co_u32_e32 v36, vcc, s44, v30
	v_addc_co_u32_e32 v37, vcc, v32, v31, vcc
	;;#ASMSTART
	global_load_dwordx4 v[30:33], v[36:37] off glc	
s_waitcnt vmcnt(0)
	;;#ASMEND
	v_and_b32_e32 v33, 0xff0000, v30
	v_or_b32_sdwa v33, v30, v33 dst_sel:DWORD dst_unused:UNUSED_PAD src0_sel:WORD_0 src1_sel:DWORD
	v_and_b32_e32 v30, 0xff000000, v30
	v_and_b32_e32 v31, 0xff, v31
	v_or3_b32 v31, 0, 0, v31
	v_or3_b32 v30, v33, v30, 0
	v_cmp_eq_u16_sdwa s[40:41], v32, v35 src0_sel:BYTE_0 src1_sel:DWORD
	s_and_saveexec_b64 s[30:31], s[40:41]
	s_cbranch_execz .LBB129_107
; %bb.110:                              ;   in Loop: Header=BB129_108 Depth=1
	s_mov_b32 s49, 1
	s_mov_b64 s[40:41], 0
.LBB129_111:                            ;   Parent Loop BB129_108 Depth=1
                                        ; =>  This Loop Header: Depth=2
                                        ;       Child Loop BB129_112 Depth 3
	s_max_u32 s55, s49, 1
.LBB129_112:                            ;   Parent Loop BB129_108 Depth=1
                                        ;     Parent Loop BB129_111 Depth=2
                                        ; =>    This Inner Loop Header: Depth=3
	s_add_i32 s55, s55, -1
	s_cmp_eq_u32 s55, 0
	s_sleep 1
	s_cbranch_scc0 .LBB129_112
; %bb.113:                              ;   in Loop: Header=BB129_111 Depth=2
	s_cmp_lt_u32 s49, 32
	s_cselect_b64 s[56:57], -1, 0
	s_cmp_lg_u64 s[56:57], 0
	s_addc_u32 s49, s49, 0
	;;#ASMSTART
	global_load_dwordx4 v[30:33], v[36:37] off glc	
s_waitcnt vmcnt(0)
	;;#ASMEND
	v_cmp_ne_u16_sdwa s[56:57], v32, v35 src0_sel:BYTE_0 src1_sel:DWORD
	s_or_b64 s[40:41], s[56:57], s[40:41]
	s_andn2_b64 exec, exec, s[40:41]
	s_cbranch_execnz .LBB129_111
; %bb.114:                              ;   in Loop: Header=BB129_108 Depth=1
	s_or_b64 exec, exec, s[40:41]
	v_and_b32_e32 v31, 0xff, v31
	s_branch .LBB129_107
.LBB129_115:                            ;   in Loop: Header=BB129_108 Depth=1
                                        ; implicit-def: $vgpr31
                                        ; implicit-def: $vgpr30
                                        ; implicit-def: $vgpr32
	s_cbranch_execz .LBB129_108
; %bb.116:
	s_and_saveexec_b64 s[30:31], s[28:29]
	s_cbranch_execz .LBB129_118
; %bb.117:
	s_and_b32 s38, s48, 0xff
	s_cmp_eq_u32 s38, 0
	s_cselect_b64 vcc, -1, 0
	s_bitcmp1_b32 s48, 0
	s_mov_b32 s39, 0
	s_cselect_b64 s[40:41], -1, 0
	s_add_i32 s38, s47, 64
	s_lshl_b64 s[38:39], s[38:39], 4
	v_cndmask_b32_e32 v27, 0, v62, vcc
	s_add_u32 s38, s44, s38
	v_add_u32_e32 v26, v27, v26
	v_and_b32_e32 v27, 1, v48
	s_addc_u32 s39, s45, s39
	v_mov_b32_e32 v29, 0
	v_cndmask_b32_e64 v27, v27, 1, s[40:41]
	v_mov_b32_e32 v28, 2
	v_pk_mov_b32 v[30:31], s[38:39], s[38:39] op_sel:[0,1]
	;;#ASMSTART
	global_store_dwordx4 v[30:31], v[26:29] off	
s_waitcnt vmcnt(0)
	;;#ASMEND
.LBB129_118:
	s_or_b64 exec, exec, s[30:31]
	s_and_b64 exec, exec, s[0:1]
	s_cbranch_execz .LBB129_120
; %bb.119:
	v_mov_b32_e32 v26, 0
	ds_write_b32 v26, v62 offset:24
	ds_write_b8 v26, v48 offset:28
.LBB129_120:
	s_or_b64 exec, exec, s[36:37]
	v_mov_b32_e32 v28, 0
	s_waitcnt lgkmcnt(0)
	s_barrier
	ds_read_b32 v26, v28 offset:24
	v_cndmask_b32_e64 v27, v47, v45, s[28:29]
	v_cmp_eq_u16_sdwa vcc, v27, v28 src0_sel:BYTE_0 src1_sel:DWORD
	v_cndmask_b32_e64 v29, v46, v44, s[28:29]
	s_waitcnt lgkmcnt(0)
	v_cndmask_b32_e32 v27, 0, v26, vcc
	v_add_u32_e32 v27, v27, v29
	v_and_b32_e32 v29, 0xff, v41
	v_cndmask_b32_e64 v26, v27, v26, s[0:1]
	v_cmp_eq_u64_e32 vcc, 0, v[28:29]
	v_cndmask_b32_e32 v27, 0, v26, vcc
	v_add_u32_e32 v27, v27, v40
	v_cndmask_b32_e64 v28, 0, v27, s[4:5]
	v_add_u32_e32 v44, v28, v8
	v_cndmask_b32_e64 v28, 0, v44, s[6:7]
	;; [unrolled: 2-line block ×12, first 2 shown]
	v_add_u32_e32 v51, v28, v24
	s_branch .LBB129_147
.LBB129_121:
	s_or_b64 exec, exec, s[30:31]
                                        ; implicit-def: $vgpr14
	s_and_saveexec_b64 s[30:31], s[4:5]
	s_cbranch_execz .LBB129_37
.LBB129_122:
	v_add_co_u32_e32 v14, vcc, v1, v12
	v_addc_co_u32_e32 v15, vcc, 0, v46, vcc
	flat_load_dword v14, v[14:15] offset:1024
	s_or_b64 exec, exec, s[30:31]
                                        ; implicit-def: $vgpr15
	s_and_saveexec_b64 s[4:5], s[6:7]
	s_cbranch_execnz .LBB129_38
.LBB129_123:
	s_or_b64 exec, exec, s[4:5]
                                        ; implicit-def: $vgpr16
	s_and_saveexec_b64 s[4:5], s[8:9]
	s_cbranch_execz .LBB129_39
.LBB129_124:
	v_add_co_u32_e32 v16, vcc, v1, v12
	v_addc_co_u32_e32 v17, vcc, 0, v46, vcc
	flat_load_dword v16, v[16:17] offset:3072
	s_or_b64 exec, exec, s[4:5]
                                        ; implicit-def: $vgpr17
	s_and_saveexec_b64 s[4:5], s[10:11]
	s_cbranch_execnz .LBB129_40
.LBB129_125:
	s_or_b64 exec, exec, s[4:5]
                                        ; implicit-def: $vgpr2
	s_and_saveexec_b64 s[4:5], s[12:13]
	s_cbranch_execz .LBB129_41
.LBB129_126:
	v_lshlrev_b32_e32 v2, 2, v3
	v_add_co_u32_e32 v2, vcc, v1, v2
	v_addc_co_u32_e32 v3, vcc, 0, v46, vcc
	flat_load_dword v2, v[2:3]
	s_or_b64 exec, exec, s[4:5]
                                        ; implicit-def: $vgpr3
	s_and_saveexec_b64 s[4:5], s[14:15]
	s_cbranch_execnz .LBB129_42
.LBB129_127:
	s_or_b64 exec, exec, s[4:5]
                                        ; implicit-def: $vgpr4
	s_and_saveexec_b64 s[4:5], s[16:17]
	s_cbranch_execz .LBB129_43
.LBB129_128:
	v_lshlrev_b32_e32 v4, 2, v5
	v_add_co_u32_e32 v4, vcc, v1, v4
	v_addc_co_u32_e32 v5, vcc, 0, v46, vcc
	flat_load_dword v4, v[4:5]
	s_or_b64 exec, exec, s[4:5]
                                        ; implicit-def: $vgpr5
	s_and_saveexec_b64 s[4:5], s[18:19]
	s_cbranch_execnz .LBB129_44
.LBB129_129:
	s_or_b64 exec, exec, s[4:5]
                                        ; implicit-def: $vgpr6
	s_and_saveexec_b64 s[4:5], s[20:21]
	s_cbranch_execz .LBB129_45
.LBB129_130:
	v_lshlrev_b32_e32 v6, 2, v7
	v_add_co_u32_e32 v6, vcc, v1, v6
	v_addc_co_u32_e32 v7, vcc, 0, v46, vcc
	flat_load_dword v6, v[6:7]
	s_or_b64 exec, exec, s[4:5]
                                        ; implicit-def: $vgpr7
	s_and_saveexec_b64 s[4:5], s[22:23]
	s_cbranch_execnz .LBB129_46
.LBB129_131:
	s_or_b64 exec, exec, s[4:5]
                                        ; implicit-def: $vgpr8
	s_and_saveexec_b64 s[4:5], s[24:25]
	s_cbranch_execz .LBB129_47
.LBB129_132:
	v_lshlrev_b32_e32 v8, 2, v9
	v_add_co_u32_e32 v8, vcc, v1, v8
	v_addc_co_u32_e32 v9, vcc, 0, v46, vcc
	flat_load_dword v8, v[8:9]
	s_or_b64 exec, exec, s[4:5]
                                        ; implicit-def: $vgpr9
	s_and_saveexec_b64 s[4:5], s[26:27]
	s_cbranch_execz .LBB129_49
	s_branch .LBB129_48
.LBB129_133:
                                        ; implicit-def: $vgpr51
                                        ; implicit-def: $vgpr49
                                        ; implicit-def: $vgpr47
                                        ; implicit-def: $vgpr45
                                        ; implicit-def: $vgpr34_vgpr35_vgpr36_vgpr37
                                        ; implicit-def: $vgpr30_vgpr31_vgpr32_vgpr33
                                        ; implicit-def: $vgpr26_vgpr27_vgpr28_vgpr29
	s_cbranch_execz .LBB129_147
; %bb.134:
	s_cmp_lg_u64 s[52:53], 0
	s_cselect_b32 s5, s51, 0
	s_cselect_b32 s4, s50, 0
	s_mov_b32 s26, 0
	s_cmp_eq_u64 s[4:5], 0
	v_mov_b32_e32 v32, s54
	s_cbranch_scc1 .LBB129_136
; %bb.135:
	v_mov_b32_e32 v26, 0
	global_load_dword v32, v26, s[4:5]
.LBB129_136:
	s_mov_b32 s27, 1
	v_cmp_gt_u64_e32 vcc, s[26:27], v[8:9]
	v_cndmask_b32_e32 v27, 0, v40, vcc
	v_add_u32_e32 v27, v27, v8
	v_cmp_gt_u64_e64 s[4:5], s[26:27], v[6:7]
	v_cndmask_b32_e64 v27, 0, v27, s[4:5]
	v_add_u32_e32 v27, v27, v6
	v_cmp_gt_u64_e64 s[6:7], s[26:27], v[4:5]
	v_cndmask_b32_e64 v27, 0, v27, s[6:7]
	;; [unrolled: 3-line block ×11, first 2 shown]
	v_mov_b32_e32 v26, 0
	v_add_u32_e32 v27, v27, v24
	v_cmp_gt_u64_e64 s[26:27], s[26:27], v[42:43]
	v_or3_b32 v7, v23, v15, v7
	v_cndmask_b32_e64 v27, 0, v27, s[26:27]
	v_or3_b32 v9, v25, v17, v9
	v_and_b32_e32 v35, 1, v7
	v_mov_b32_e32 v34, v26
	v_add_u32_e32 v33, v27, v42
	v_and_b32_e32 v27, 1, v43
	v_or3_b32 v3, v19, v11, v3
	v_and_b32_e32 v31, 1, v9
	v_mov_b32_e32 v30, v26
	v_cmp_ne_u64_e64 s[28:29], 0, v[34:35]
	v_cmp_eq_u32_e64 s[26:27], 1, v27
	v_or3_b32 v5, v21, v13, v5
	v_and_b32_e32 v27, 1, v3
	v_cndmask_b32_e64 v3, 0, 1, s[28:29]
	v_cmp_ne_u64_e64 s[28:29], 0, v[30:31]
	v_and_b32_e32 v29, 1, v5
	v_mov_b32_e32 v28, v26
	v_cndmask_b32_e64 v5, 0, 1, s[28:29]
	v_lshlrev_b16_e32 v3, 2, v3
	v_lshlrev_b16_e32 v5, 3, v5
	v_cmp_ne_u64_e64 s[28:29], 0, v[28:29]
	v_or_b32_e32 v3, v5, v3
	v_cndmask_b32_e64 v5, 0, 1, s[28:29]
	v_cmp_ne_u64_e64 s[28:29], 0, v[26:27]
	v_lshlrev_b16_e32 v5, 1, v5
	v_cndmask_b32_e64 v7, 0, 1, s[28:29]
	v_or_b32_e32 v5, v7, v5
	v_and_b32_e32 v5, 3, v5
	v_or_b32_e32 v3, v5, v3
	v_and_b32_e32 v3, 15, v3
	v_cmp_ne_u16_e64 s[28:29], 0, v3
	s_or_b64 s[26:27], s[26:27], s[28:29]
	v_cndmask_b32_e64 v5, v41, 1, s[26:27]
	v_and_b32_e32 v7, 0xff, v5
	v_mov_b32_dpp v11, v33 row_shr:1 row_mask:0xf bank_mask:0xf
	v_cmp_eq_u16_e64 s[26:27], 0, v7
	v_mov_b32_dpp v13, v7 row_shr:1 row_mask:0xf bank_mask:0xf
	v_and_b32_e32 v15, 1, v5
	v_mbcnt_hi_u32_b32 v3, -1, v54
	v_cndmask_b32_e64 v11, 0, v11, s[26:27]
	v_and_b32_e32 v13, 1, v13
	v_cmp_eq_u32_e64 s[26:27], 1, v15
	v_and_b32_e32 v9, 15, v3
	v_cndmask_b32_e64 v13, v13, 1, s[26:27]
	v_and_b32_e32 v15, 0xffff, v13
	v_cmp_eq_u32_e64 s[26:27], 0, v9
	v_cndmask_b32_e64 v5, v13, v5, s[26:27]
	v_cndmask_b32_e64 v7, v15, v7, s[26:27]
	v_and_b32_e32 v17, 1, v5
	v_cndmask_b32_e64 v11, v11, 0, s[26:27]
	v_mov_b32_dpp v15, v7 row_shr:2 row_mask:0xf bank_mask:0xf
	v_and_b32_e32 v15, 1, v15
	v_cmp_eq_u32_e64 s[26:27], 1, v17
	v_cndmask_b32_e64 v15, v15, 1, s[26:27]
	v_and_b32_e32 v17, 0xffff, v15
	v_cmp_lt_u32_e64 s[26:27], 1, v9
	v_add_u32_e32 v11, v11, v33
	v_cmp_eq_u16_sdwa s[28:29], v5, v26 src0_sel:BYTE_0 src1_sel:DWORD
	v_cndmask_b32_e64 v5, v5, v15, s[26:27]
	v_cndmask_b32_e64 v7, v7, v17, s[26:27]
	v_mov_b32_dpp v13, v11 row_shr:2 row_mask:0xf bank_mask:0xf
	s_and_b64 s[26:27], s[26:27], s[28:29]
	v_mov_b32_dpp v15, v7 row_shr:4 row_mask:0xf bank_mask:0xf
	v_and_b32_e32 v17, 1, v5
	v_cndmask_b32_e64 v13, 0, v13, s[26:27]
	v_and_b32_e32 v15, 1, v15
	v_cmp_eq_u32_e64 s[26:27], 1, v17
	v_cndmask_b32_e64 v15, v15, 1, s[26:27]
	v_and_b32_e32 v17, 0xffff, v15
	v_cmp_lt_u32_e64 s[26:27], 3, v9
	v_add_u32_e32 v11, v13, v11
	v_cmp_eq_u16_sdwa s[28:29], v5, v26 src0_sel:BYTE_0 src1_sel:DWORD
	v_cndmask_b32_e64 v5, v5, v15, s[26:27]
	v_cndmask_b32_e64 v7, v7, v17, s[26:27]
	v_mov_b32_dpp v13, v11 row_shr:4 row_mask:0xf bank_mask:0xf
	s_and_b64 s[26:27], s[26:27], s[28:29]
	v_mov_b32_dpp v15, v7 row_shr:8 row_mask:0xf bank_mask:0xf
	v_and_b32_e32 v17, 1, v5
	v_cndmask_b32_e64 v13, 0, v13, s[26:27]
	v_and_b32_e32 v15, 1, v15
	v_cmp_eq_u32_e64 s[26:27], 1, v17
	v_cndmask_b32_e64 v15, v15, 1, s[26:27]
	v_add_u32_e32 v11, v13, v11
	v_cmp_eq_u16_sdwa s[28:29], v5, v26 src0_sel:BYTE_0 src1_sel:DWORD
	v_and_b32_e32 v17, 0xffff, v15
	v_cmp_lt_u32_e64 s[26:27], 7, v9
	v_mov_b32_dpp v13, v11 row_shr:8 row_mask:0xf bank_mask:0xf
	v_cndmask_b32_e64 v5, v5, v15, s[26:27]
	v_cndmask_b32_e64 v7, v7, v17, s[26:27]
	s_and_b64 s[26:27], s[26:27], s[28:29]
	v_cndmask_b32_e64 v9, 0, v13, s[26:27]
	v_add_u32_e32 v9, v9, v11
	v_mov_b32_dpp v13, v7 row_bcast:15 row_mask:0xf bank_mask:0xf
	v_cmp_eq_u16_sdwa s[26:27], v5, v26 src0_sel:BYTE_0 src1_sel:DWORD
	v_mov_b32_dpp v11, v9 row_bcast:15 row_mask:0xf bank_mask:0xf
	v_and_b32_e32 v19, 1, v5
	v_cndmask_b32_e64 v11, 0, v11, s[26:27]
	v_and_b32_e32 v13, 1, v13
	v_cmp_eq_u32_e64 s[26:27], 1, v19
	v_and_b32_e32 v17, 16, v3
	v_cndmask_b32_e64 v13, v13, 1, s[26:27]
	v_and_b32_e32 v19, 0xffff, v13
	v_cmp_eq_u32_e64 s[26:27], 0, v17
	v_cndmask_b32_e64 v5, v13, v5, s[26:27]
	v_cndmask_b32_e64 v7, v19, v7, s[26:27]
	v_bfe_i32 v15, v3, 4, 1
	v_and_b32_e32 v13, 1, v5
	v_mov_b32_dpp v7, v7 row_bcast:31 row_mask:0xf bank_mask:0xf
	v_and_b32_e32 v11, v15, v11
	v_and_b32_e32 v7, 1, v7
	v_cmp_eq_u32_e64 s[26:27], 1, v13
	v_add_u32_e32 v9, v11, v9
	v_cmp_eq_u16_sdwa s[28:29], v5, v26 src0_sel:BYTE_0 src1_sel:DWORD
	v_cndmask_b32_e64 v7, v7, 1, s[26:27]
	v_cmp_lt_u32_e64 s[26:27], 31, v3
	v_mov_b32_dpp v11, v9 row_bcast:31 row_mask:0xf bank_mask:0xf
	v_cndmask_b32_e64 v5, v5, v7, s[26:27]
	s_and_b64 s[26:27], s[26:27], s[28:29]
	v_cndmask_b32_e64 v7, 0, v11, s[26:27]
	v_add_u32_e32 v7, v7, v9
	v_cmp_eq_u32_e64 s[26:27], v53, v0
	s_and_saveexec_b64 s[28:29], s[26:27]
	s_cbranch_execz .LBB129_138
; %bb.137:
	v_lshlrev_b32_e32 v9, 3, v1
	ds_write_b32 v9, v7
	ds_write_b8 v9, v5 offset:4
.LBB129_138:
	s_or_b64 exec, exec, s[28:29]
	v_cmp_gt_u32_e64 s[26:27], 4, v0
	s_waitcnt lgkmcnt(0)
	s_barrier
	s_and_saveexec_b64 s[28:29], s[26:27]
	s_cbranch_execz .LBB129_142
; %bb.139:
	v_lshlrev_b32_e32 v9, 3, v0
	ds_read_b64 v[26:27], v9
	v_and_b32_e32 v11, 3, v3
	v_cmp_ne_u32_e64 s[26:27], 0, v11
	s_waitcnt lgkmcnt(0)
	v_mov_b32_dpp v13, v26 row_shr:1 row_mask:0xf bank_mask:0xf
	v_mov_b32_dpp v17, v27 row_shr:1 row_mask:0xf bank_mask:0xf
	v_mov_b32_e32 v15, v27
	s_and_saveexec_b64 s[30:31], s[26:27]
	s_cbranch_execz .LBB129_141
; %bb.140:
	v_and_b32_e32 v15, 1, v27
	v_and_b32_e32 v17, 1, v17
	v_cmp_eq_u32_e64 s[26:27], 1, v15
	v_mov_b32_e32 v15, 0
	v_cndmask_b32_e64 v17, v17, 1, s[26:27]
	v_cmp_eq_u16_sdwa s[26:27], v27, v15 src0_sel:BYTE_0 src1_sel:DWORD
	v_cndmask_b32_e64 v13, 0, v13, s[26:27]
	v_add_u32_e32 v26, v13, v26
	v_and_b32_e32 v13, 0xffff, v17
	s_movk_i32 s26, 0xff00
	v_and_or_b32 v15, v27, s26, v13
	v_mov_b32_e32 v27, v17
.LBB129_141:
	s_or_b64 exec, exec, s[30:31]
	v_mov_b32_dpp v15, v15 row_shr:2 row_mask:0xf bank_mask:0xf
	v_and_b32_e32 v17, 1, v27
	v_and_b32_e32 v15, 1, v15
	v_cmp_eq_u32_e64 s[26:27], 1, v17
	v_mov_b32_e32 v17, 0
	v_cndmask_b32_e64 v15, v15, 1, s[26:27]
	v_cmp_eq_u16_sdwa s[30:31], v27, v17 src0_sel:BYTE_0 src1_sel:DWORD
	v_cmp_lt_u32_e64 s[26:27], 1, v11
	v_mov_b32_dpp v13, v26 row_shr:2 row_mask:0xf bank_mask:0xf
	v_cndmask_b32_e64 v11, v27, v15, s[26:27]
	s_and_b64 s[26:27], s[26:27], s[30:31]
	v_cndmask_b32_e64 v13, 0, v13, s[26:27]
	v_add_u32_e32 v13, v13, v26
	ds_write_b32 v9, v13
	ds_write_b8 v9, v11 offset:4
.LBB129_142:
	s_or_b64 exec, exec, s[28:29]
	v_cmp_lt_u32_e64 s[26:27], 63, v0
	s_waitcnt vmcnt(0)
	v_mov_b32_e32 v9, v32
	s_waitcnt lgkmcnt(0)
	s_barrier
	s_and_saveexec_b64 s[28:29], s[26:27]
	s_cbranch_execz .LBB129_144
; %bb.143:
	v_lshl_add_u32 v1, v1, 3, -8
	ds_read_u8 v9, v1 offset:4
	ds_read_b32 v1, v1
	s_waitcnt lgkmcnt(1)
	v_cmp_eq_u16_e64 s[26:27], 0, v9
	v_cndmask_b32_e64 v9, 0, v32, s[26:27]
	s_waitcnt lgkmcnt(0)
	v_add_u32_e32 v9, v9, v1
.LBB129_144:
	s_or_b64 exec, exec, s[28:29]
	v_mov_b32_e32 v28, 0
	v_cmp_eq_u16_sdwa s[26:27], v5, v28 src0_sel:BYTE_0 src1_sel:DWORD
	v_cndmask_b32_e64 v1, 0, v9, s[26:27]
	v_add_u32_e32 v1, v1, v7
	v_add_u32_e32 v5, -1, v3
	v_and_b32_e32 v7, 64, v3
	v_cmp_lt_i32_e64 s[26:27], v5, v7
	v_cndmask_b32_e64 v5, v5, v3, s[26:27]
	v_lshlrev_b32_e32 v5, 2, v5
	ds_bpermute_b32 v1, v5, v1
	v_cmp_eq_u32_e64 s[26:27], 0, v3
	v_and_b32_e32 v29, 0xff, v41
	s_waitcnt lgkmcnt(0)
	v_cndmask_b32_e64 v26, v1, v9, s[26:27]
	v_cndmask_b32_e64 v1, v26, v32, s[0:1]
	v_cmp_eq_u64_e64 s[26:27], 0, v[28:29]
	v_cndmask_b32_e64 v1, 0, v1, s[26:27]
	v_add_u32_e32 v27, v1, v40
	v_cndmask_b32_e32 v1, 0, v27, vcc
	v_add_u32_e32 v44, v1, v8
	v_cndmask_b32_e64 v1, 0, v44, s[4:5]
	v_add_u32_e32 v45, v1, v6
	v_cndmask_b32_e64 v1, 0, v45, s[6:7]
	;; [unrolled: 2-line block ×11, first 2 shown]
	s_and_saveexec_b64 s[4:5], s[0:1]
	s_cbranch_execz .LBB129_146
; %bb.145:
	ds_read_u8 v3, v28 offset:28
	ds_read_b32 v2, v28 offset:24
	s_add_u32 s0, s44, 0x400
	s_addc_u32 s1, s45, 0
	v_mov_b32_e32 v5, v28
	s_waitcnt lgkmcnt(1)
	v_cmp_eq_u16_e32 vcc, 0, v3
	v_cndmask_b32_e32 v4, 0, v32, vcc
	s_waitcnt lgkmcnt(0)
	v_add_u32_e32 v2, v4, v2
	v_and_b32_e32 v3, 0xffff, v3
	v_mov_b32_e32 v4, 2
	v_pk_mov_b32 v[6:7], s[0:1], s[0:1] op_sel:[0,1]
	;;#ASMSTART
	global_store_dwordx4 v[6:7], v[2:5] off	
s_waitcnt vmcnt(0)
	;;#ASMEND
	v_mov_b32_e32 v26, v32
.LBB129_146:
	s_or_b64 exec, exec, s[4:5]
	v_add_u32_e32 v51, v1, v24
.LBB129_147:
	s_add_u32 s0, s42, s34
	s_addc_u32 s1, s43, s35
	v_mov_b32_e32 v1, s1
	v_add_co_u32_e32 v18, vcc, s0, v38
	v_addc_co_u32_e32 v19, vcc, v1, v39, vcc
	v_mul_u32_u24_e32 v1, 14, v0
	s_and_b64 vcc, exec, s[2:3]
	v_lshlrev_b32_e32 v2, 2, v1
	s_cbranch_vccz .LBB129_175
; %bb.148:
	s_movk_i32 s0, 0xffcc
	v_mad_i32_i24 v3, v0, s0, v2
	s_barrier
	ds_write2_b64 v2, v[26:27], v[44:45] offset1:1
	ds_write2_b64 v2, v[30:31], v[46:47] offset0:2 offset1:3
	ds_write2_b64 v2, v[34:35], v[48:49] offset0:4 offset1:5
	ds_write_b64 v2, v[50:51] offset:48
	s_waitcnt lgkmcnt(0)
	s_barrier
	ds_read2st64_b32 v[16:17], v3 offset0:4 offset1:8
	ds_read2st64_b32 v[14:15], v3 offset0:12 offset1:16
	;; [unrolled: 1-line block ×6, first 2 shown]
	ds_read_b32 v3, v3 offset:13312
	v_add_co_u32_e32 v6, vcc, v18, v52
	s_add_i32 s33, s33, s46
	v_addc_co_u32_e32 v7, vcc, 0, v19, vcc
	v_mov_b32_e32 v1, 0
	v_cmp_gt_u32_e32 vcc, s33, v0
	s_and_saveexec_b64 s[0:1], vcc
	s_cbranch_execz .LBB129_150
; %bb.149:
	v_mul_i32_i24_e32 v20, 0xffffffcc, v0
	v_add_u32_e32 v20, v2, v20
	ds_read_b32 v20, v20
	s_waitcnt lgkmcnt(0)
	flat_store_dword v[6:7], v20
.LBB129_150:
	s_or_b64 exec, exec, s[0:1]
	v_or_b32_e32 v20, 0x100, v0
	v_cmp_gt_u32_e32 vcc, s33, v20
	s_and_saveexec_b64 s[0:1], vcc
	s_cbranch_execz .LBB129_152
; %bb.151:
	s_waitcnt lgkmcnt(0)
	flat_store_dword v[6:7], v16 offset:1024
.LBB129_152:
	s_or_b64 exec, exec, s[0:1]
	s_waitcnt lgkmcnt(0)
	v_or_b32_e32 v16, 0x200, v0
	v_cmp_gt_u32_e32 vcc, s33, v16
	s_and_saveexec_b64 s[0:1], vcc
	s_cbranch_execz .LBB129_154
; %bb.153:
	flat_store_dword v[6:7], v17 offset:2048
.LBB129_154:
	s_or_b64 exec, exec, s[0:1]
	v_or_b32_e32 v16, 0x300, v0
	v_cmp_gt_u32_e32 vcc, s33, v16
	s_and_saveexec_b64 s[0:1], vcc
	s_cbranch_execz .LBB129_156
; %bb.155:
	flat_store_dword v[6:7], v14 offset:3072
.LBB129_156:
	s_or_b64 exec, exec, s[0:1]
	v_or_b32_e32 v14, 0x400, v0
	v_cmp_gt_u32_e32 vcc, s33, v14
	s_and_saveexec_b64 s[0:1], vcc
	s_cbranch_execz .LBB129_158
; %bb.157:
	v_add_co_u32_e32 v16, vcc, 0x1000, v6
	v_addc_co_u32_e32 v17, vcc, 0, v7, vcc
	flat_store_dword v[16:17], v15
.LBB129_158:
	s_or_b64 exec, exec, s[0:1]
	v_or_b32_e32 v14, 0x500, v0
	v_cmp_gt_u32_e32 vcc, s33, v14
	s_and_saveexec_b64 s[0:1], vcc
	s_cbranch_execz .LBB129_160
; %bb.159:
	v_add_co_u32_e32 v14, vcc, 0x1000, v6
	v_addc_co_u32_e32 v15, vcc, 0, v7, vcc
	flat_store_dword v[14:15], v12 offset:1024
.LBB129_160:
	s_or_b64 exec, exec, s[0:1]
	v_or_b32_e32 v12, 0x600, v0
	v_cmp_gt_u32_e32 vcc, s33, v12
	s_and_saveexec_b64 s[0:1], vcc
	s_cbranch_execz .LBB129_162
; %bb.161:
	v_add_co_u32_e32 v14, vcc, 0x1000, v6
	v_addc_co_u32_e32 v15, vcc, 0, v7, vcc
	flat_store_dword v[14:15], v13 offset:2048
.LBB129_162:
	;; [unrolled: 10-line block ×3, first 2 shown]
	s_or_b64 exec, exec, s[0:1]
	v_or_b32_e32 v10, 0x800, v0
	v_cmp_gt_u32_e32 vcc, s33, v10
	s_and_saveexec_b64 s[0:1], vcc
	s_cbranch_execz .LBB129_166
; %bb.165:
	v_add_co_u32_e32 v12, vcc, 0x2000, v6
	v_addc_co_u32_e32 v13, vcc, 0, v7, vcc
	flat_store_dword v[12:13], v11
.LBB129_166:
	s_or_b64 exec, exec, s[0:1]
	v_or_b32_e32 v10, 0x900, v0
	v_cmp_gt_u32_e32 vcc, s33, v10
	s_and_saveexec_b64 s[0:1], vcc
	s_cbranch_execz .LBB129_168
; %bb.167:
	v_add_co_u32_e32 v10, vcc, 0x2000, v6
	v_addc_co_u32_e32 v11, vcc, 0, v7, vcc
	flat_store_dword v[10:11], v8 offset:1024
.LBB129_168:
	s_or_b64 exec, exec, s[0:1]
	v_or_b32_e32 v8, 0xa00, v0
	v_cmp_gt_u32_e32 vcc, s33, v8
	s_and_saveexec_b64 s[0:1], vcc
	s_cbranch_execz .LBB129_170
; %bb.169:
	v_add_co_u32_e32 v10, vcc, 0x2000, v6
	v_addc_co_u32_e32 v11, vcc, 0, v7, vcc
	flat_store_dword v[10:11], v9 offset:2048
.LBB129_170:
	s_or_b64 exec, exec, s[0:1]
	v_or_b32_e32 v8, 0xb00, v0
	v_cmp_gt_u32_e32 vcc, s33, v8
	s_and_saveexec_b64 s[0:1], vcc
	s_cbranch_execz .LBB129_172
; %bb.171:
	v_add_co_u32_e32 v8, vcc, 0x2000, v6
	v_addc_co_u32_e32 v9, vcc, 0, v7, vcc
	flat_store_dword v[8:9], v4 offset:3072
.LBB129_172:
	s_or_b64 exec, exec, s[0:1]
	v_or_b32_e32 v4, 0xc00, v0
	v_cmp_gt_u32_e32 vcc, s33, v4
	s_and_saveexec_b64 s[0:1], vcc
	s_cbranch_execz .LBB129_174
; %bb.173:
	v_add_co_u32_e32 v6, vcc, 0x3000, v6
	v_addc_co_u32_e32 v7, vcc, 0, v7, vcc
	flat_store_dword v[6:7], v5
.LBB129_174:
	s_or_b64 exec, exec, s[0:1]
	v_or_b32_e32 v4, 0xd00, v0
	v_cmp_gt_u32_e64 s[0:1], s33, v4
	s_branch .LBB129_177
.LBB129_175:
	s_mov_b64 s[0:1], 0
                                        ; implicit-def: $vgpr3
	s_cbranch_execz .LBB129_177
; %bb.176:
	s_movk_i32 s2, 0xffcc
	s_waitcnt lgkmcnt(0)
	s_barrier
	ds_write2_b64 v2, v[26:27], v[44:45] offset1:1
	ds_write2_b64 v2, v[30:31], v[46:47] offset0:2 offset1:3
	ds_write2_b64 v2, v[34:35], v[48:49] offset0:4 offset1:5
	ds_write_b64 v2, v[50:51] offset:48
	v_mad_i32_i24 v2, v0, s2, v2
	v_add_co_u32_e32 v16, vcc, v18, v52
	s_waitcnt lgkmcnt(0)
	s_barrier
	ds_read2st64_b32 v[4:5], v2 offset1:4
	ds_read2st64_b32 v[6:7], v2 offset0:8 offset1:12
	ds_read2st64_b32 v[8:9], v2 offset0:16 offset1:20
	;; [unrolled: 1-line block ×6, first 2 shown]
	v_addc_co_u32_e32 v17, vcc, 0, v19, vcc
	s_movk_i32 s2, 0x1000
	s_waitcnt lgkmcnt(0)
	flat_store_dword v[16:17], v4
	flat_store_dword v[16:17], v5 offset:1024
	flat_store_dword v[16:17], v6 offset:2048
	;; [unrolled: 1-line block ×3, first 2 shown]
	v_add_co_u32_e32 v4, vcc, s2, v16
	v_addc_co_u32_e32 v5, vcc, 0, v17, vcc
	flat_store_dword v[4:5], v8
	flat_store_dword v[4:5], v9 offset:1024
	flat_store_dword v[4:5], v10 offset:2048
	;; [unrolled: 1-line block ×3, first 2 shown]
	v_add_co_u32_e32 v4, vcc, 0x2000, v16
	v_addc_co_u32_e32 v5, vcc, 0, v17, vcc
	flat_store_dword v[4:5], v12
	flat_store_dword v[4:5], v13 offset:1024
	flat_store_dword v[4:5], v14 offset:2048
	;; [unrolled: 1-line block ×3, first 2 shown]
	v_add_co_u32_e32 v4, vcc, 0x3000, v16
	v_mov_b32_e32 v1, 0
	v_addc_co_u32_e32 v5, vcc, 0, v17, vcc
	s_or_b64 s[0:1], s[0:1], exec
	flat_store_dword v[4:5], v2
.LBB129_177:
	s_and_saveexec_b64 s[2:3], s[0:1]
	s_cbranch_execz .LBB129_179
; %bb.178:
	v_lshlrev_b64 v[0:1], 2, v[0:1]
	v_add_co_u32_e32 v0, vcc, v18, v0
	v_addc_co_u32_e32 v1, vcc, v19, v1, vcc
	v_add_co_u32_e32 v0, vcc, 0x3000, v0
	v_addc_co_u32_e32 v1, vcc, 0, v1, vcc
	flat_store_dword v[0:1], v3 offset:1024
	s_endpgm
.LBB129_179:
	s_endpgm
	.section	.rodata,"a",@progbits
	.p2align	6, 0x0
	.amdhsa_kernel _ZN7rocprim17ROCPRIM_400000_NS6detail17trampoline_kernelINS0_14default_configENS1_27scan_by_key_config_selectorIiiEEZZNS1_16scan_by_key_implILNS1_25lookback_scan_determinismE0ELb1ES3_N6thrust23THRUST_200600_302600_NS6detail15normal_iteratorINS9_10device_ptrIiEEEESE_SE_iNS9_4plusIvEE19head_flag_predicateIiEiEE10hipError_tPvRmT2_T3_T4_T5_mT6_T7_P12ihipStream_tbENKUlT_T0_E_clISt17integral_constantIbLb1EESZ_EEDaSU_SV_EUlSU_E_NS1_11comp_targetILNS1_3genE4ELNS1_11target_archE910ELNS1_3gpuE8ELNS1_3repE0EEENS1_30default_config_static_selectorELNS0_4arch9wavefront6targetE1EEEvT1_
		.amdhsa_group_segment_fixed_size 16384
		.amdhsa_private_segment_fixed_size 0
		.amdhsa_kernarg_size 112
		.amdhsa_user_sgpr_count 6
		.amdhsa_user_sgpr_private_segment_buffer 1
		.amdhsa_user_sgpr_dispatch_ptr 0
		.amdhsa_user_sgpr_queue_ptr 0
		.amdhsa_user_sgpr_kernarg_segment_ptr 1
		.amdhsa_user_sgpr_dispatch_id 0
		.amdhsa_user_sgpr_flat_scratch_init 0
		.amdhsa_user_sgpr_kernarg_preload_length 0
		.amdhsa_user_sgpr_kernarg_preload_offset 0
		.amdhsa_user_sgpr_private_segment_size 0
		.amdhsa_uses_dynamic_stack 0
		.amdhsa_system_sgpr_private_segment_wavefront_offset 0
		.amdhsa_system_sgpr_workgroup_id_x 1
		.amdhsa_system_sgpr_workgroup_id_y 0
		.amdhsa_system_sgpr_workgroup_id_z 0
		.amdhsa_system_sgpr_workgroup_info 0
		.amdhsa_system_vgpr_workitem_id 0
		.amdhsa_next_free_vgpr 67
		.amdhsa_next_free_sgpr 60
		.amdhsa_accum_offset 68
		.amdhsa_reserve_vcc 1
		.amdhsa_reserve_flat_scratch 0
		.amdhsa_float_round_mode_32 0
		.amdhsa_float_round_mode_16_64 0
		.amdhsa_float_denorm_mode_32 3
		.amdhsa_float_denorm_mode_16_64 3
		.amdhsa_dx10_clamp 1
		.amdhsa_ieee_mode 1
		.amdhsa_fp16_overflow 0
		.amdhsa_tg_split 0
		.amdhsa_exception_fp_ieee_invalid_op 0
		.amdhsa_exception_fp_denorm_src 0
		.amdhsa_exception_fp_ieee_div_zero 0
		.amdhsa_exception_fp_ieee_overflow 0
		.amdhsa_exception_fp_ieee_underflow 0
		.amdhsa_exception_fp_ieee_inexact 0
		.amdhsa_exception_int_div_zero 0
	.end_amdhsa_kernel
	.section	.text._ZN7rocprim17ROCPRIM_400000_NS6detail17trampoline_kernelINS0_14default_configENS1_27scan_by_key_config_selectorIiiEEZZNS1_16scan_by_key_implILNS1_25lookback_scan_determinismE0ELb1ES3_N6thrust23THRUST_200600_302600_NS6detail15normal_iteratorINS9_10device_ptrIiEEEESE_SE_iNS9_4plusIvEE19head_flag_predicateIiEiEE10hipError_tPvRmT2_T3_T4_T5_mT6_T7_P12ihipStream_tbENKUlT_T0_E_clISt17integral_constantIbLb1EESZ_EEDaSU_SV_EUlSU_E_NS1_11comp_targetILNS1_3genE4ELNS1_11target_archE910ELNS1_3gpuE8ELNS1_3repE0EEENS1_30default_config_static_selectorELNS0_4arch9wavefront6targetE1EEEvT1_,"axG",@progbits,_ZN7rocprim17ROCPRIM_400000_NS6detail17trampoline_kernelINS0_14default_configENS1_27scan_by_key_config_selectorIiiEEZZNS1_16scan_by_key_implILNS1_25lookback_scan_determinismE0ELb1ES3_N6thrust23THRUST_200600_302600_NS6detail15normal_iteratorINS9_10device_ptrIiEEEESE_SE_iNS9_4plusIvEE19head_flag_predicateIiEiEE10hipError_tPvRmT2_T3_T4_T5_mT6_T7_P12ihipStream_tbENKUlT_T0_E_clISt17integral_constantIbLb1EESZ_EEDaSU_SV_EUlSU_E_NS1_11comp_targetILNS1_3genE4ELNS1_11target_archE910ELNS1_3gpuE8ELNS1_3repE0EEENS1_30default_config_static_selectorELNS0_4arch9wavefront6targetE1EEEvT1_,comdat
.Lfunc_end129:
	.size	_ZN7rocprim17ROCPRIM_400000_NS6detail17trampoline_kernelINS0_14default_configENS1_27scan_by_key_config_selectorIiiEEZZNS1_16scan_by_key_implILNS1_25lookback_scan_determinismE0ELb1ES3_N6thrust23THRUST_200600_302600_NS6detail15normal_iteratorINS9_10device_ptrIiEEEESE_SE_iNS9_4plusIvEE19head_flag_predicateIiEiEE10hipError_tPvRmT2_T3_T4_T5_mT6_T7_P12ihipStream_tbENKUlT_T0_E_clISt17integral_constantIbLb1EESZ_EEDaSU_SV_EUlSU_E_NS1_11comp_targetILNS1_3genE4ELNS1_11target_archE910ELNS1_3gpuE8ELNS1_3repE0EEENS1_30default_config_static_selectorELNS0_4arch9wavefront6targetE1EEEvT1_, .Lfunc_end129-_ZN7rocprim17ROCPRIM_400000_NS6detail17trampoline_kernelINS0_14default_configENS1_27scan_by_key_config_selectorIiiEEZZNS1_16scan_by_key_implILNS1_25lookback_scan_determinismE0ELb1ES3_N6thrust23THRUST_200600_302600_NS6detail15normal_iteratorINS9_10device_ptrIiEEEESE_SE_iNS9_4plusIvEE19head_flag_predicateIiEiEE10hipError_tPvRmT2_T3_T4_T5_mT6_T7_P12ihipStream_tbENKUlT_T0_E_clISt17integral_constantIbLb1EESZ_EEDaSU_SV_EUlSU_E_NS1_11comp_targetILNS1_3genE4ELNS1_11target_archE910ELNS1_3gpuE8ELNS1_3repE0EEENS1_30default_config_static_selectorELNS0_4arch9wavefront6targetE1EEEvT1_
                                        ; -- End function
	.section	.AMDGPU.csdata,"",@progbits
; Kernel info:
; codeLenInByte = 11264
; NumSgprs: 64
; NumVgprs: 67
; NumAgprs: 0
; TotalNumVgprs: 67
; ScratchSize: 0
; MemoryBound: 0
; FloatMode: 240
; IeeeMode: 1
; LDSByteSize: 16384 bytes/workgroup (compile time only)
; SGPRBlocks: 7
; VGPRBlocks: 8
; NumSGPRsForWavesPerEU: 64
; NumVGPRsForWavesPerEU: 67
; AccumOffset: 68
; Occupancy: 4
; WaveLimiterHint : 1
; COMPUTE_PGM_RSRC2:SCRATCH_EN: 0
; COMPUTE_PGM_RSRC2:USER_SGPR: 6
; COMPUTE_PGM_RSRC2:TRAP_HANDLER: 0
; COMPUTE_PGM_RSRC2:TGID_X_EN: 1
; COMPUTE_PGM_RSRC2:TGID_Y_EN: 0
; COMPUTE_PGM_RSRC2:TGID_Z_EN: 0
; COMPUTE_PGM_RSRC2:TIDIG_COMP_CNT: 0
; COMPUTE_PGM_RSRC3_GFX90A:ACCUM_OFFSET: 16
; COMPUTE_PGM_RSRC3_GFX90A:TG_SPLIT: 0
	.section	.text._ZN7rocprim17ROCPRIM_400000_NS6detail17trampoline_kernelINS0_14default_configENS1_27scan_by_key_config_selectorIiiEEZZNS1_16scan_by_key_implILNS1_25lookback_scan_determinismE0ELb1ES3_N6thrust23THRUST_200600_302600_NS6detail15normal_iteratorINS9_10device_ptrIiEEEESE_SE_iNS9_4plusIvEE19head_flag_predicateIiEiEE10hipError_tPvRmT2_T3_T4_T5_mT6_T7_P12ihipStream_tbENKUlT_T0_E_clISt17integral_constantIbLb1EESZ_EEDaSU_SV_EUlSU_E_NS1_11comp_targetILNS1_3genE3ELNS1_11target_archE908ELNS1_3gpuE7ELNS1_3repE0EEENS1_30default_config_static_selectorELNS0_4arch9wavefront6targetE1EEEvT1_,"axG",@progbits,_ZN7rocprim17ROCPRIM_400000_NS6detail17trampoline_kernelINS0_14default_configENS1_27scan_by_key_config_selectorIiiEEZZNS1_16scan_by_key_implILNS1_25lookback_scan_determinismE0ELb1ES3_N6thrust23THRUST_200600_302600_NS6detail15normal_iteratorINS9_10device_ptrIiEEEESE_SE_iNS9_4plusIvEE19head_flag_predicateIiEiEE10hipError_tPvRmT2_T3_T4_T5_mT6_T7_P12ihipStream_tbENKUlT_T0_E_clISt17integral_constantIbLb1EESZ_EEDaSU_SV_EUlSU_E_NS1_11comp_targetILNS1_3genE3ELNS1_11target_archE908ELNS1_3gpuE7ELNS1_3repE0EEENS1_30default_config_static_selectorELNS0_4arch9wavefront6targetE1EEEvT1_,comdat
	.protected	_ZN7rocprim17ROCPRIM_400000_NS6detail17trampoline_kernelINS0_14default_configENS1_27scan_by_key_config_selectorIiiEEZZNS1_16scan_by_key_implILNS1_25lookback_scan_determinismE0ELb1ES3_N6thrust23THRUST_200600_302600_NS6detail15normal_iteratorINS9_10device_ptrIiEEEESE_SE_iNS9_4plusIvEE19head_flag_predicateIiEiEE10hipError_tPvRmT2_T3_T4_T5_mT6_T7_P12ihipStream_tbENKUlT_T0_E_clISt17integral_constantIbLb1EESZ_EEDaSU_SV_EUlSU_E_NS1_11comp_targetILNS1_3genE3ELNS1_11target_archE908ELNS1_3gpuE7ELNS1_3repE0EEENS1_30default_config_static_selectorELNS0_4arch9wavefront6targetE1EEEvT1_ ; -- Begin function _ZN7rocprim17ROCPRIM_400000_NS6detail17trampoline_kernelINS0_14default_configENS1_27scan_by_key_config_selectorIiiEEZZNS1_16scan_by_key_implILNS1_25lookback_scan_determinismE0ELb1ES3_N6thrust23THRUST_200600_302600_NS6detail15normal_iteratorINS9_10device_ptrIiEEEESE_SE_iNS9_4plusIvEE19head_flag_predicateIiEiEE10hipError_tPvRmT2_T3_T4_T5_mT6_T7_P12ihipStream_tbENKUlT_T0_E_clISt17integral_constantIbLb1EESZ_EEDaSU_SV_EUlSU_E_NS1_11comp_targetILNS1_3genE3ELNS1_11target_archE908ELNS1_3gpuE7ELNS1_3repE0EEENS1_30default_config_static_selectorELNS0_4arch9wavefront6targetE1EEEvT1_
	.globl	_ZN7rocprim17ROCPRIM_400000_NS6detail17trampoline_kernelINS0_14default_configENS1_27scan_by_key_config_selectorIiiEEZZNS1_16scan_by_key_implILNS1_25lookback_scan_determinismE0ELb1ES3_N6thrust23THRUST_200600_302600_NS6detail15normal_iteratorINS9_10device_ptrIiEEEESE_SE_iNS9_4plusIvEE19head_flag_predicateIiEiEE10hipError_tPvRmT2_T3_T4_T5_mT6_T7_P12ihipStream_tbENKUlT_T0_E_clISt17integral_constantIbLb1EESZ_EEDaSU_SV_EUlSU_E_NS1_11comp_targetILNS1_3genE3ELNS1_11target_archE908ELNS1_3gpuE7ELNS1_3repE0EEENS1_30default_config_static_selectorELNS0_4arch9wavefront6targetE1EEEvT1_
	.p2align	8
	.type	_ZN7rocprim17ROCPRIM_400000_NS6detail17trampoline_kernelINS0_14default_configENS1_27scan_by_key_config_selectorIiiEEZZNS1_16scan_by_key_implILNS1_25lookback_scan_determinismE0ELb1ES3_N6thrust23THRUST_200600_302600_NS6detail15normal_iteratorINS9_10device_ptrIiEEEESE_SE_iNS9_4plusIvEE19head_flag_predicateIiEiEE10hipError_tPvRmT2_T3_T4_T5_mT6_T7_P12ihipStream_tbENKUlT_T0_E_clISt17integral_constantIbLb1EESZ_EEDaSU_SV_EUlSU_E_NS1_11comp_targetILNS1_3genE3ELNS1_11target_archE908ELNS1_3gpuE7ELNS1_3repE0EEENS1_30default_config_static_selectorELNS0_4arch9wavefront6targetE1EEEvT1_,@function
_ZN7rocprim17ROCPRIM_400000_NS6detail17trampoline_kernelINS0_14default_configENS1_27scan_by_key_config_selectorIiiEEZZNS1_16scan_by_key_implILNS1_25lookback_scan_determinismE0ELb1ES3_N6thrust23THRUST_200600_302600_NS6detail15normal_iteratorINS9_10device_ptrIiEEEESE_SE_iNS9_4plusIvEE19head_flag_predicateIiEiEE10hipError_tPvRmT2_T3_T4_T5_mT6_T7_P12ihipStream_tbENKUlT_T0_E_clISt17integral_constantIbLb1EESZ_EEDaSU_SV_EUlSU_E_NS1_11comp_targetILNS1_3genE3ELNS1_11target_archE908ELNS1_3gpuE7ELNS1_3repE0EEENS1_30default_config_static_selectorELNS0_4arch9wavefront6targetE1EEEvT1_: ; @_ZN7rocprim17ROCPRIM_400000_NS6detail17trampoline_kernelINS0_14default_configENS1_27scan_by_key_config_selectorIiiEEZZNS1_16scan_by_key_implILNS1_25lookback_scan_determinismE0ELb1ES3_N6thrust23THRUST_200600_302600_NS6detail15normal_iteratorINS9_10device_ptrIiEEEESE_SE_iNS9_4plusIvEE19head_flag_predicateIiEiEE10hipError_tPvRmT2_T3_T4_T5_mT6_T7_P12ihipStream_tbENKUlT_T0_E_clISt17integral_constantIbLb1EESZ_EEDaSU_SV_EUlSU_E_NS1_11comp_targetILNS1_3genE3ELNS1_11target_archE908ELNS1_3gpuE7ELNS1_3repE0EEENS1_30default_config_static_selectorELNS0_4arch9wavefront6targetE1EEEvT1_
; %bb.0:
	.section	.rodata,"a",@progbits
	.p2align	6, 0x0
	.amdhsa_kernel _ZN7rocprim17ROCPRIM_400000_NS6detail17trampoline_kernelINS0_14default_configENS1_27scan_by_key_config_selectorIiiEEZZNS1_16scan_by_key_implILNS1_25lookback_scan_determinismE0ELb1ES3_N6thrust23THRUST_200600_302600_NS6detail15normal_iteratorINS9_10device_ptrIiEEEESE_SE_iNS9_4plusIvEE19head_flag_predicateIiEiEE10hipError_tPvRmT2_T3_T4_T5_mT6_T7_P12ihipStream_tbENKUlT_T0_E_clISt17integral_constantIbLb1EESZ_EEDaSU_SV_EUlSU_E_NS1_11comp_targetILNS1_3genE3ELNS1_11target_archE908ELNS1_3gpuE7ELNS1_3repE0EEENS1_30default_config_static_selectorELNS0_4arch9wavefront6targetE1EEEvT1_
		.amdhsa_group_segment_fixed_size 0
		.amdhsa_private_segment_fixed_size 0
		.amdhsa_kernarg_size 112
		.amdhsa_user_sgpr_count 6
		.amdhsa_user_sgpr_private_segment_buffer 1
		.amdhsa_user_sgpr_dispatch_ptr 0
		.amdhsa_user_sgpr_queue_ptr 0
		.amdhsa_user_sgpr_kernarg_segment_ptr 1
		.amdhsa_user_sgpr_dispatch_id 0
		.amdhsa_user_sgpr_flat_scratch_init 0
		.amdhsa_user_sgpr_kernarg_preload_length 0
		.amdhsa_user_sgpr_kernarg_preload_offset 0
		.amdhsa_user_sgpr_private_segment_size 0
		.amdhsa_uses_dynamic_stack 0
		.amdhsa_system_sgpr_private_segment_wavefront_offset 0
		.amdhsa_system_sgpr_workgroup_id_x 1
		.amdhsa_system_sgpr_workgroup_id_y 0
		.amdhsa_system_sgpr_workgroup_id_z 0
		.amdhsa_system_sgpr_workgroup_info 0
		.amdhsa_system_vgpr_workitem_id 0
		.amdhsa_next_free_vgpr 1
		.amdhsa_next_free_sgpr 0
		.amdhsa_accum_offset 4
		.amdhsa_reserve_vcc 0
		.amdhsa_reserve_flat_scratch 0
		.amdhsa_float_round_mode_32 0
		.amdhsa_float_round_mode_16_64 0
		.amdhsa_float_denorm_mode_32 3
		.amdhsa_float_denorm_mode_16_64 3
		.amdhsa_dx10_clamp 1
		.amdhsa_ieee_mode 1
		.amdhsa_fp16_overflow 0
		.amdhsa_tg_split 0
		.amdhsa_exception_fp_ieee_invalid_op 0
		.amdhsa_exception_fp_denorm_src 0
		.amdhsa_exception_fp_ieee_div_zero 0
		.amdhsa_exception_fp_ieee_overflow 0
		.amdhsa_exception_fp_ieee_underflow 0
		.amdhsa_exception_fp_ieee_inexact 0
		.amdhsa_exception_int_div_zero 0
	.end_amdhsa_kernel
	.section	.text._ZN7rocprim17ROCPRIM_400000_NS6detail17trampoline_kernelINS0_14default_configENS1_27scan_by_key_config_selectorIiiEEZZNS1_16scan_by_key_implILNS1_25lookback_scan_determinismE0ELb1ES3_N6thrust23THRUST_200600_302600_NS6detail15normal_iteratorINS9_10device_ptrIiEEEESE_SE_iNS9_4plusIvEE19head_flag_predicateIiEiEE10hipError_tPvRmT2_T3_T4_T5_mT6_T7_P12ihipStream_tbENKUlT_T0_E_clISt17integral_constantIbLb1EESZ_EEDaSU_SV_EUlSU_E_NS1_11comp_targetILNS1_3genE3ELNS1_11target_archE908ELNS1_3gpuE7ELNS1_3repE0EEENS1_30default_config_static_selectorELNS0_4arch9wavefront6targetE1EEEvT1_,"axG",@progbits,_ZN7rocprim17ROCPRIM_400000_NS6detail17trampoline_kernelINS0_14default_configENS1_27scan_by_key_config_selectorIiiEEZZNS1_16scan_by_key_implILNS1_25lookback_scan_determinismE0ELb1ES3_N6thrust23THRUST_200600_302600_NS6detail15normal_iteratorINS9_10device_ptrIiEEEESE_SE_iNS9_4plusIvEE19head_flag_predicateIiEiEE10hipError_tPvRmT2_T3_T4_T5_mT6_T7_P12ihipStream_tbENKUlT_T0_E_clISt17integral_constantIbLb1EESZ_EEDaSU_SV_EUlSU_E_NS1_11comp_targetILNS1_3genE3ELNS1_11target_archE908ELNS1_3gpuE7ELNS1_3repE0EEENS1_30default_config_static_selectorELNS0_4arch9wavefront6targetE1EEEvT1_,comdat
.Lfunc_end130:
	.size	_ZN7rocprim17ROCPRIM_400000_NS6detail17trampoline_kernelINS0_14default_configENS1_27scan_by_key_config_selectorIiiEEZZNS1_16scan_by_key_implILNS1_25lookback_scan_determinismE0ELb1ES3_N6thrust23THRUST_200600_302600_NS6detail15normal_iteratorINS9_10device_ptrIiEEEESE_SE_iNS9_4plusIvEE19head_flag_predicateIiEiEE10hipError_tPvRmT2_T3_T4_T5_mT6_T7_P12ihipStream_tbENKUlT_T0_E_clISt17integral_constantIbLb1EESZ_EEDaSU_SV_EUlSU_E_NS1_11comp_targetILNS1_3genE3ELNS1_11target_archE908ELNS1_3gpuE7ELNS1_3repE0EEENS1_30default_config_static_selectorELNS0_4arch9wavefront6targetE1EEEvT1_, .Lfunc_end130-_ZN7rocprim17ROCPRIM_400000_NS6detail17trampoline_kernelINS0_14default_configENS1_27scan_by_key_config_selectorIiiEEZZNS1_16scan_by_key_implILNS1_25lookback_scan_determinismE0ELb1ES3_N6thrust23THRUST_200600_302600_NS6detail15normal_iteratorINS9_10device_ptrIiEEEESE_SE_iNS9_4plusIvEE19head_flag_predicateIiEiEE10hipError_tPvRmT2_T3_T4_T5_mT6_T7_P12ihipStream_tbENKUlT_T0_E_clISt17integral_constantIbLb1EESZ_EEDaSU_SV_EUlSU_E_NS1_11comp_targetILNS1_3genE3ELNS1_11target_archE908ELNS1_3gpuE7ELNS1_3repE0EEENS1_30default_config_static_selectorELNS0_4arch9wavefront6targetE1EEEvT1_
                                        ; -- End function
	.section	.AMDGPU.csdata,"",@progbits
; Kernel info:
; codeLenInByte = 0
; NumSgprs: 4
; NumVgprs: 0
; NumAgprs: 0
; TotalNumVgprs: 0
; ScratchSize: 0
; MemoryBound: 0
; FloatMode: 240
; IeeeMode: 1
; LDSByteSize: 0 bytes/workgroup (compile time only)
; SGPRBlocks: 0
; VGPRBlocks: 0
; NumSGPRsForWavesPerEU: 4
; NumVGPRsForWavesPerEU: 1
; AccumOffset: 4
; Occupancy: 8
; WaveLimiterHint : 0
; COMPUTE_PGM_RSRC2:SCRATCH_EN: 0
; COMPUTE_PGM_RSRC2:USER_SGPR: 6
; COMPUTE_PGM_RSRC2:TRAP_HANDLER: 0
; COMPUTE_PGM_RSRC2:TGID_X_EN: 1
; COMPUTE_PGM_RSRC2:TGID_Y_EN: 0
; COMPUTE_PGM_RSRC2:TGID_Z_EN: 0
; COMPUTE_PGM_RSRC2:TIDIG_COMP_CNT: 0
; COMPUTE_PGM_RSRC3_GFX90A:ACCUM_OFFSET: 0
; COMPUTE_PGM_RSRC3_GFX90A:TG_SPLIT: 0
	.section	.text._ZN7rocprim17ROCPRIM_400000_NS6detail17trampoline_kernelINS0_14default_configENS1_27scan_by_key_config_selectorIiiEEZZNS1_16scan_by_key_implILNS1_25lookback_scan_determinismE0ELb1ES3_N6thrust23THRUST_200600_302600_NS6detail15normal_iteratorINS9_10device_ptrIiEEEESE_SE_iNS9_4plusIvEE19head_flag_predicateIiEiEE10hipError_tPvRmT2_T3_T4_T5_mT6_T7_P12ihipStream_tbENKUlT_T0_E_clISt17integral_constantIbLb1EESZ_EEDaSU_SV_EUlSU_E_NS1_11comp_targetILNS1_3genE2ELNS1_11target_archE906ELNS1_3gpuE6ELNS1_3repE0EEENS1_30default_config_static_selectorELNS0_4arch9wavefront6targetE1EEEvT1_,"axG",@progbits,_ZN7rocprim17ROCPRIM_400000_NS6detail17trampoline_kernelINS0_14default_configENS1_27scan_by_key_config_selectorIiiEEZZNS1_16scan_by_key_implILNS1_25lookback_scan_determinismE0ELb1ES3_N6thrust23THRUST_200600_302600_NS6detail15normal_iteratorINS9_10device_ptrIiEEEESE_SE_iNS9_4plusIvEE19head_flag_predicateIiEiEE10hipError_tPvRmT2_T3_T4_T5_mT6_T7_P12ihipStream_tbENKUlT_T0_E_clISt17integral_constantIbLb1EESZ_EEDaSU_SV_EUlSU_E_NS1_11comp_targetILNS1_3genE2ELNS1_11target_archE906ELNS1_3gpuE6ELNS1_3repE0EEENS1_30default_config_static_selectorELNS0_4arch9wavefront6targetE1EEEvT1_,comdat
	.protected	_ZN7rocprim17ROCPRIM_400000_NS6detail17trampoline_kernelINS0_14default_configENS1_27scan_by_key_config_selectorIiiEEZZNS1_16scan_by_key_implILNS1_25lookback_scan_determinismE0ELb1ES3_N6thrust23THRUST_200600_302600_NS6detail15normal_iteratorINS9_10device_ptrIiEEEESE_SE_iNS9_4plusIvEE19head_flag_predicateIiEiEE10hipError_tPvRmT2_T3_T4_T5_mT6_T7_P12ihipStream_tbENKUlT_T0_E_clISt17integral_constantIbLb1EESZ_EEDaSU_SV_EUlSU_E_NS1_11comp_targetILNS1_3genE2ELNS1_11target_archE906ELNS1_3gpuE6ELNS1_3repE0EEENS1_30default_config_static_selectorELNS0_4arch9wavefront6targetE1EEEvT1_ ; -- Begin function _ZN7rocprim17ROCPRIM_400000_NS6detail17trampoline_kernelINS0_14default_configENS1_27scan_by_key_config_selectorIiiEEZZNS1_16scan_by_key_implILNS1_25lookback_scan_determinismE0ELb1ES3_N6thrust23THRUST_200600_302600_NS6detail15normal_iteratorINS9_10device_ptrIiEEEESE_SE_iNS9_4plusIvEE19head_flag_predicateIiEiEE10hipError_tPvRmT2_T3_T4_T5_mT6_T7_P12ihipStream_tbENKUlT_T0_E_clISt17integral_constantIbLb1EESZ_EEDaSU_SV_EUlSU_E_NS1_11comp_targetILNS1_3genE2ELNS1_11target_archE906ELNS1_3gpuE6ELNS1_3repE0EEENS1_30default_config_static_selectorELNS0_4arch9wavefront6targetE1EEEvT1_
	.globl	_ZN7rocprim17ROCPRIM_400000_NS6detail17trampoline_kernelINS0_14default_configENS1_27scan_by_key_config_selectorIiiEEZZNS1_16scan_by_key_implILNS1_25lookback_scan_determinismE0ELb1ES3_N6thrust23THRUST_200600_302600_NS6detail15normal_iteratorINS9_10device_ptrIiEEEESE_SE_iNS9_4plusIvEE19head_flag_predicateIiEiEE10hipError_tPvRmT2_T3_T4_T5_mT6_T7_P12ihipStream_tbENKUlT_T0_E_clISt17integral_constantIbLb1EESZ_EEDaSU_SV_EUlSU_E_NS1_11comp_targetILNS1_3genE2ELNS1_11target_archE906ELNS1_3gpuE6ELNS1_3repE0EEENS1_30default_config_static_selectorELNS0_4arch9wavefront6targetE1EEEvT1_
	.p2align	8
	.type	_ZN7rocprim17ROCPRIM_400000_NS6detail17trampoline_kernelINS0_14default_configENS1_27scan_by_key_config_selectorIiiEEZZNS1_16scan_by_key_implILNS1_25lookback_scan_determinismE0ELb1ES3_N6thrust23THRUST_200600_302600_NS6detail15normal_iteratorINS9_10device_ptrIiEEEESE_SE_iNS9_4plusIvEE19head_flag_predicateIiEiEE10hipError_tPvRmT2_T3_T4_T5_mT6_T7_P12ihipStream_tbENKUlT_T0_E_clISt17integral_constantIbLb1EESZ_EEDaSU_SV_EUlSU_E_NS1_11comp_targetILNS1_3genE2ELNS1_11target_archE906ELNS1_3gpuE6ELNS1_3repE0EEENS1_30default_config_static_selectorELNS0_4arch9wavefront6targetE1EEEvT1_,@function
_ZN7rocprim17ROCPRIM_400000_NS6detail17trampoline_kernelINS0_14default_configENS1_27scan_by_key_config_selectorIiiEEZZNS1_16scan_by_key_implILNS1_25lookback_scan_determinismE0ELb1ES3_N6thrust23THRUST_200600_302600_NS6detail15normal_iteratorINS9_10device_ptrIiEEEESE_SE_iNS9_4plusIvEE19head_flag_predicateIiEiEE10hipError_tPvRmT2_T3_T4_T5_mT6_T7_P12ihipStream_tbENKUlT_T0_E_clISt17integral_constantIbLb1EESZ_EEDaSU_SV_EUlSU_E_NS1_11comp_targetILNS1_3genE2ELNS1_11target_archE906ELNS1_3gpuE6ELNS1_3repE0EEENS1_30default_config_static_selectorELNS0_4arch9wavefront6targetE1EEEvT1_: ; @_ZN7rocprim17ROCPRIM_400000_NS6detail17trampoline_kernelINS0_14default_configENS1_27scan_by_key_config_selectorIiiEEZZNS1_16scan_by_key_implILNS1_25lookback_scan_determinismE0ELb1ES3_N6thrust23THRUST_200600_302600_NS6detail15normal_iteratorINS9_10device_ptrIiEEEESE_SE_iNS9_4plusIvEE19head_flag_predicateIiEiEE10hipError_tPvRmT2_T3_T4_T5_mT6_T7_P12ihipStream_tbENKUlT_T0_E_clISt17integral_constantIbLb1EESZ_EEDaSU_SV_EUlSU_E_NS1_11comp_targetILNS1_3genE2ELNS1_11target_archE906ELNS1_3gpuE6ELNS1_3repE0EEENS1_30default_config_static_selectorELNS0_4arch9wavefront6targetE1EEEvT1_
; %bb.0:
	.section	.rodata,"a",@progbits
	.p2align	6, 0x0
	.amdhsa_kernel _ZN7rocprim17ROCPRIM_400000_NS6detail17trampoline_kernelINS0_14default_configENS1_27scan_by_key_config_selectorIiiEEZZNS1_16scan_by_key_implILNS1_25lookback_scan_determinismE0ELb1ES3_N6thrust23THRUST_200600_302600_NS6detail15normal_iteratorINS9_10device_ptrIiEEEESE_SE_iNS9_4plusIvEE19head_flag_predicateIiEiEE10hipError_tPvRmT2_T3_T4_T5_mT6_T7_P12ihipStream_tbENKUlT_T0_E_clISt17integral_constantIbLb1EESZ_EEDaSU_SV_EUlSU_E_NS1_11comp_targetILNS1_3genE2ELNS1_11target_archE906ELNS1_3gpuE6ELNS1_3repE0EEENS1_30default_config_static_selectorELNS0_4arch9wavefront6targetE1EEEvT1_
		.amdhsa_group_segment_fixed_size 0
		.amdhsa_private_segment_fixed_size 0
		.amdhsa_kernarg_size 112
		.amdhsa_user_sgpr_count 6
		.amdhsa_user_sgpr_private_segment_buffer 1
		.amdhsa_user_sgpr_dispatch_ptr 0
		.amdhsa_user_sgpr_queue_ptr 0
		.amdhsa_user_sgpr_kernarg_segment_ptr 1
		.amdhsa_user_sgpr_dispatch_id 0
		.amdhsa_user_sgpr_flat_scratch_init 0
		.amdhsa_user_sgpr_kernarg_preload_length 0
		.amdhsa_user_sgpr_kernarg_preload_offset 0
		.amdhsa_user_sgpr_private_segment_size 0
		.amdhsa_uses_dynamic_stack 0
		.amdhsa_system_sgpr_private_segment_wavefront_offset 0
		.amdhsa_system_sgpr_workgroup_id_x 1
		.amdhsa_system_sgpr_workgroup_id_y 0
		.amdhsa_system_sgpr_workgroup_id_z 0
		.amdhsa_system_sgpr_workgroup_info 0
		.amdhsa_system_vgpr_workitem_id 0
		.amdhsa_next_free_vgpr 1
		.amdhsa_next_free_sgpr 0
		.amdhsa_accum_offset 4
		.amdhsa_reserve_vcc 0
		.amdhsa_reserve_flat_scratch 0
		.amdhsa_float_round_mode_32 0
		.amdhsa_float_round_mode_16_64 0
		.amdhsa_float_denorm_mode_32 3
		.amdhsa_float_denorm_mode_16_64 3
		.amdhsa_dx10_clamp 1
		.amdhsa_ieee_mode 1
		.amdhsa_fp16_overflow 0
		.amdhsa_tg_split 0
		.amdhsa_exception_fp_ieee_invalid_op 0
		.amdhsa_exception_fp_denorm_src 0
		.amdhsa_exception_fp_ieee_div_zero 0
		.amdhsa_exception_fp_ieee_overflow 0
		.amdhsa_exception_fp_ieee_underflow 0
		.amdhsa_exception_fp_ieee_inexact 0
		.amdhsa_exception_int_div_zero 0
	.end_amdhsa_kernel
	.section	.text._ZN7rocprim17ROCPRIM_400000_NS6detail17trampoline_kernelINS0_14default_configENS1_27scan_by_key_config_selectorIiiEEZZNS1_16scan_by_key_implILNS1_25lookback_scan_determinismE0ELb1ES3_N6thrust23THRUST_200600_302600_NS6detail15normal_iteratorINS9_10device_ptrIiEEEESE_SE_iNS9_4plusIvEE19head_flag_predicateIiEiEE10hipError_tPvRmT2_T3_T4_T5_mT6_T7_P12ihipStream_tbENKUlT_T0_E_clISt17integral_constantIbLb1EESZ_EEDaSU_SV_EUlSU_E_NS1_11comp_targetILNS1_3genE2ELNS1_11target_archE906ELNS1_3gpuE6ELNS1_3repE0EEENS1_30default_config_static_selectorELNS0_4arch9wavefront6targetE1EEEvT1_,"axG",@progbits,_ZN7rocprim17ROCPRIM_400000_NS6detail17trampoline_kernelINS0_14default_configENS1_27scan_by_key_config_selectorIiiEEZZNS1_16scan_by_key_implILNS1_25lookback_scan_determinismE0ELb1ES3_N6thrust23THRUST_200600_302600_NS6detail15normal_iteratorINS9_10device_ptrIiEEEESE_SE_iNS9_4plusIvEE19head_flag_predicateIiEiEE10hipError_tPvRmT2_T3_T4_T5_mT6_T7_P12ihipStream_tbENKUlT_T0_E_clISt17integral_constantIbLb1EESZ_EEDaSU_SV_EUlSU_E_NS1_11comp_targetILNS1_3genE2ELNS1_11target_archE906ELNS1_3gpuE6ELNS1_3repE0EEENS1_30default_config_static_selectorELNS0_4arch9wavefront6targetE1EEEvT1_,comdat
.Lfunc_end131:
	.size	_ZN7rocprim17ROCPRIM_400000_NS6detail17trampoline_kernelINS0_14default_configENS1_27scan_by_key_config_selectorIiiEEZZNS1_16scan_by_key_implILNS1_25lookback_scan_determinismE0ELb1ES3_N6thrust23THRUST_200600_302600_NS6detail15normal_iteratorINS9_10device_ptrIiEEEESE_SE_iNS9_4plusIvEE19head_flag_predicateIiEiEE10hipError_tPvRmT2_T3_T4_T5_mT6_T7_P12ihipStream_tbENKUlT_T0_E_clISt17integral_constantIbLb1EESZ_EEDaSU_SV_EUlSU_E_NS1_11comp_targetILNS1_3genE2ELNS1_11target_archE906ELNS1_3gpuE6ELNS1_3repE0EEENS1_30default_config_static_selectorELNS0_4arch9wavefront6targetE1EEEvT1_, .Lfunc_end131-_ZN7rocprim17ROCPRIM_400000_NS6detail17trampoline_kernelINS0_14default_configENS1_27scan_by_key_config_selectorIiiEEZZNS1_16scan_by_key_implILNS1_25lookback_scan_determinismE0ELb1ES3_N6thrust23THRUST_200600_302600_NS6detail15normal_iteratorINS9_10device_ptrIiEEEESE_SE_iNS9_4plusIvEE19head_flag_predicateIiEiEE10hipError_tPvRmT2_T3_T4_T5_mT6_T7_P12ihipStream_tbENKUlT_T0_E_clISt17integral_constantIbLb1EESZ_EEDaSU_SV_EUlSU_E_NS1_11comp_targetILNS1_3genE2ELNS1_11target_archE906ELNS1_3gpuE6ELNS1_3repE0EEENS1_30default_config_static_selectorELNS0_4arch9wavefront6targetE1EEEvT1_
                                        ; -- End function
	.section	.AMDGPU.csdata,"",@progbits
; Kernel info:
; codeLenInByte = 0
; NumSgprs: 4
; NumVgprs: 0
; NumAgprs: 0
; TotalNumVgprs: 0
; ScratchSize: 0
; MemoryBound: 0
; FloatMode: 240
; IeeeMode: 1
; LDSByteSize: 0 bytes/workgroup (compile time only)
; SGPRBlocks: 0
; VGPRBlocks: 0
; NumSGPRsForWavesPerEU: 4
; NumVGPRsForWavesPerEU: 1
; AccumOffset: 4
; Occupancy: 8
; WaveLimiterHint : 0
; COMPUTE_PGM_RSRC2:SCRATCH_EN: 0
; COMPUTE_PGM_RSRC2:USER_SGPR: 6
; COMPUTE_PGM_RSRC2:TRAP_HANDLER: 0
; COMPUTE_PGM_RSRC2:TGID_X_EN: 1
; COMPUTE_PGM_RSRC2:TGID_Y_EN: 0
; COMPUTE_PGM_RSRC2:TGID_Z_EN: 0
; COMPUTE_PGM_RSRC2:TIDIG_COMP_CNT: 0
; COMPUTE_PGM_RSRC3_GFX90A:ACCUM_OFFSET: 0
; COMPUTE_PGM_RSRC3_GFX90A:TG_SPLIT: 0
	.section	.text._ZN7rocprim17ROCPRIM_400000_NS6detail17trampoline_kernelINS0_14default_configENS1_27scan_by_key_config_selectorIiiEEZZNS1_16scan_by_key_implILNS1_25lookback_scan_determinismE0ELb1ES3_N6thrust23THRUST_200600_302600_NS6detail15normal_iteratorINS9_10device_ptrIiEEEESE_SE_iNS9_4plusIvEE19head_flag_predicateIiEiEE10hipError_tPvRmT2_T3_T4_T5_mT6_T7_P12ihipStream_tbENKUlT_T0_E_clISt17integral_constantIbLb1EESZ_EEDaSU_SV_EUlSU_E_NS1_11comp_targetILNS1_3genE10ELNS1_11target_archE1200ELNS1_3gpuE4ELNS1_3repE0EEENS1_30default_config_static_selectorELNS0_4arch9wavefront6targetE1EEEvT1_,"axG",@progbits,_ZN7rocprim17ROCPRIM_400000_NS6detail17trampoline_kernelINS0_14default_configENS1_27scan_by_key_config_selectorIiiEEZZNS1_16scan_by_key_implILNS1_25lookback_scan_determinismE0ELb1ES3_N6thrust23THRUST_200600_302600_NS6detail15normal_iteratorINS9_10device_ptrIiEEEESE_SE_iNS9_4plusIvEE19head_flag_predicateIiEiEE10hipError_tPvRmT2_T3_T4_T5_mT6_T7_P12ihipStream_tbENKUlT_T0_E_clISt17integral_constantIbLb1EESZ_EEDaSU_SV_EUlSU_E_NS1_11comp_targetILNS1_3genE10ELNS1_11target_archE1200ELNS1_3gpuE4ELNS1_3repE0EEENS1_30default_config_static_selectorELNS0_4arch9wavefront6targetE1EEEvT1_,comdat
	.protected	_ZN7rocprim17ROCPRIM_400000_NS6detail17trampoline_kernelINS0_14default_configENS1_27scan_by_key_config_selectorIiiEEZZNS1_16scan_by_key_implILNS1_25lookback_scan_determinismE0ELb1ES3_N6thrust23THRUST_200600_302600_NS6detail15normal_iteratorINS9_10device_ptrIiEEEESE_SE_iNS9_4plusIvEE19head_flag_predicateIiEiEE10hipError_tPvRmT2_T3_T4_T5_mT6_T7_P12ihipStream_tbENKUlT_T0_E_clISt17integral_constantIbLb1EESZ_EEDaSU_SV_EUlSU_E_NS1_11comp_targetILNS1_3genE10ELNS1_11target_archE1200ELNS1_3gpuE4ELNS1_3repE0EEENS1_30default_config_static_selectorELNS0_4arch9wavefront6targetE1EEEvT1_ ; -- Begin function _ZN7rocprim17ROCPRIM_400000_NS6detail17trampoline_kernelINS0_14default_configENS1_27scan_by_key_config_selectorIiiEEZZNS1_16scan_by_key_implILNS1_25lookback_scan_determinismE0ELb1ES3_N6thrust23THRUST_200600_302600_NS6detail15normal_iteratorINS9_10device_ptrIiEEEESE_SE_iNS9_4plusIvEE19head_flag_predicateIiEiEE10hipError_tPvRmT2_T3_T4_T5_mT6_T7_P12ihipStream_tbENKUlT_T0_E_clISt17integral_constantIbLb1EESZ_EEDaSU_SV_EUlSU_E_NS1_11comp_targetILNS1_3genE10ELNS1_11target_archE1200ELNS1_3gpuE4ELNS1_3repE0EEENS1_30default_config_static_selectorELNS0_4arch9wavefront6targetE1EEEvT1_
	.globl	_ZN7rocprim17ROCPRIM_400000_NS6detail17trampoline_kernelINS0_14default_configENS1_27scan_by_key_config_selectorIiiEEZZNS1_16scan_by_key_implILNS1_25lookback_scan_determinismE0ELb1ES3_N6thrust23THRUST_200600_302600_NS6detail15normal_iteratorINS9_10device_ptrIiEEEESE_SE_iNS9_4plusIvEE19head_flag_predicateIiEiEE10hipError_tPvRmT2_T3_T4_T5_mT6_T7_P12ihipStream_tbENKUlT_T0_E_clISt17integral_constantIbLb1EESZ_EEDaSU_SV_EUlSU_E_NS1_11comp_targetILNS1_3genE10ELNS1_11target_archE1200ELNS1_3gpuE4ELNS1_3repE0EEENS1_30default_config_static_selectorELNS0_4arch9wavefront6targetE1EEEvT1_
	.p2align	8
	.type	_ZN7rocprim17ROCPRIM_400000_NS6detail17trampoline_kernelINS0_14default_configENS1_27scan_by_key_config_selectorIiiEEZZNS1_16scan_by_key_implILNS1_25lookback_scan_determinismE0ELb1ES3_N6thrust23THRUST_200600_302600_NS6detail15normal_iteratorINS9_10device_ptrIiEEEESE_SE_iNS9_4plusIvEE19head_flag_predicateIiEiEE10hipError_tPvRmT2_T3_T4_T5_mT6_T7_P12ihipStream_tbENKUlT_T0_E_clISt17integral_constantIbLb1EESZ_EEDaSU_SV_EUlSU_E_NS1_11comp_targetILNS1_3genE10ELNS1_11target_archE1200ELNS1_3gpuE4ELNS1_3repE0EEENS1_30default_config_static_selectorELNS0_4arch9wavefront6targetE1EEEvT1_,@function
_ZN7rocprim17ROCPRIM_400000_NS6detail17trampoline_kernelINS0_14default_configENS1_27scan_by_key_config_selectorIiiEEZZNS1_16scan_by_key_implILNS1_25lookback_scan_determinismE0ELb1ES3_N6thrust23THRUST_200600_302600_NS6detail15normal_iteratorINS9_10device_ptrIiEEEESE_SE_iNS9_4plusIvEE19head_flag_predicateIiEiEE10hipError_tPvRmT2_T3_T4_T5_mT6_T7_P12ihipStream_tbENKUlT_T0_E_clISt17integral_constantIbLb1EESZ_EEDaSU_SV_EUlSU_E_NS1_11comp_targetILNS1_3genE10ELNS1_11target_archE1200ELNS1_3gpuE4ELNS1_3repE0EEENS1_30default_config_static_selectorELNS0_4arch9wavefront6targetE1EEEvT1_: ; @_ZN7rocprim17ROCPRIM_400000_NS6detail17trampoline_kernelINS0_14default_configENS1_27scan_by_key_config_selectorIiiEEZZNS1_16scan_by_key_implILNS1_25lookback_scan_determinismE0ELb1ES3_N6thrust23THRUST_200600_302600_NS6detail15normal_iteratorINS9_10device_ptrIiEEEESE_SE_iNS9_4plusIvEE19head_flag_predicateIiEiEE10hipError_tPvRmT2_T3_T4_T5_mT6_T7_P12ihipStream_tbENKUlT_T0_E_clISt17integral_constantIbLb1EESZ_EEDaSU_SV_EUlSU_E_NS1_11comp_targetILNS1_3genE10ELNS1_11target_archE1200ELNS1_3gpuE4ELNS1_3repE0EEENS1_30default_config_static_selectorELNS0_4arch9wavefront6targetE1EEEvT1_
; %bb.0:
	.section	.rodata,"a",@progbits
	.p2align	6, 0x0
	.amdhsa_kernel _ZN7rocprim17ROCPRIM_400000_NS6detail17trampoline_kernelINS0_14default_configENS1_27scan_by_key_config_selectorIiiEEZZNS1_16scan_by_key_implILNS1_25lookback_scan_determinismE0ELb1ES3_N6thrust23THRUST_200600_302600_NS6detail15normal_iteratorINS9_10device_ptrIiEEEESE_SE_iNS9_4plusIvEE19head_flag_predicateIiEiEE10hipError_tPvRmT2_T3_T4_T5_mT6_T7_P12ihipStream_tbENKUlT_T0_E_clISt17integral_constantIbLb1EESZ_EEDaSU_SV_EUlSU_E_NS1_11comp_targetILNS1_3genE10ELNS1_11target_archE1200ELNS1_3gpuE4ELNS1_3repE0EEENS1_30default_config_static_selectorELNS0_4arch9wavefront6targetE1EEEvT1_
		.amdhsa_group_segment_fixed_size 0
		.amdhsa_private_segment_fixed_size 0
		.amdhsa_kernarg_size 112
		.amdhsa_user_sgpr_count 6
		.amdhsa_user_sgpr_private_segment_buffer 1
		.amdhsa_user_sgpr_dispatch_ptr 0
		.amdhsa_user_sgpr_queue_ptr 0
		.amdhsa_user_sgpr_kernarg_segment_ptr 1
		.amdhsa_user_sgpr_dispatch_id 0
		.amdhsa_user_sgpr_flat_scratch_init 0
		.amdhsa_user_sgpr_kernarg_preload_length 0
		.amdhsa_user_sgpr_kernarg_preload_offset 0
		.amdhsa_user_sgpr_private_segment_size 0
		.amdhsa_uses_dynamic_stack 0
		.amdhsa_system_sgpr_private_segment_wavefront_offset 0
		.amdhsa_system_sgpr_workgroup_id_x 1
		.amdhsa_system_sgpr_workgroup_id_y 0
		.amdhsa_system_sgpr_workgroup_id_z 0
		.amdhsa_system_sgpr_workgroup_info 0
		.amdhsa_system_vgpr_workitem_id 0
		.amdhsa_next_free_vgpr 1
		.amdhsa_next_free_sgpr 0
		.amdhsa_accum_offset 4
		.amdhsa_reserve_vcc 0
		.amdhsa_reserve_flat_scratch 0
		.amdhsa_float_round_mode_32 0
		.amdhsa_float_round_mode_16_64 0
		.amdhsa_float_denorm_mode_32 3
		.amdhsa_float_denorm_mode_16_64 3
		.amdhsa_dx10_clamp 1
		.amdhsa_ieee_mode 1
		.amdhsa_fp16_overflow 0
		.amdhsa_tg_split 0
		.amdhsa_exception_fp_ieee_invalid_op 0
		.amdhsa_exception_fp_denorm_src 0
		.amdhsa_exception_fp_ieee_div_zero 0
		.amdhsa_exception_fp_ieee_overflow 0
		.amdhsa_exception_fp_ieee_underflow 0
		.amdhsa_exception_fp_ieee_inexact 0
		.amdhsa_exception_int_div_zero 0
	.end_amdhsa_kernel
	.section	.text._ZN7rocprim17ROCPRIM_400000_NS6detail17trampoline_kernelINS0_14default_configENS1_27scan_by_key_config_selectorIiiEEZZNS1_16scan_by_key_implILNS1_25lookback_scan_determinismE0ELb1ES3_N6thrust23THRUST_200600_302600_NS6detail15normal_iteratorINS9_10device_ptrIiEEEESE_SE_iNS9_4plusIvEE19head_flag_predicateIiEiEE10hipError_tPvRmT2_T3_T4_T5_mT6_T7_P12ihipStream_tbENKUlT_T0_E_clISt17integral_constantIbLb1EESZ_EEDaSU_SV_EUlSU_E_NS1_11comp_targetILNS1_3genE10ELNS1_11target_archE1200ELNS1_3gpuE4ELNS1_3repE0EEENS1_30default_config_static_selectorELNS0_4arch9wavefront6targetE1EEEvT1_,"axG",@progbits,_ZN7rocprim17ROCPRIM_400000_NS6detail17trampoline_kernelINS0_14default_configENS1_27scan_by_key_config_selectorIiiEEZZNS1_16scan_by_key_implILNS1_25lookback_scan_determinismE0ELb1ES3_N6thrust23THRUST_200600_302600_NS6detail15normal_iteratorINS9_10device_ptrIiEEEESE_SE_iNS9_4plusIvEE19head_flag_predicateIiEiEE10hipError_tPvRmT2_T3_T4_T5_mT6_T7_P12ihipStream_tbENKUlT_T0_E_clISt17integral_constantIbLb1EESZ_EEDaSU_SV_EUlSU_E_NS1_11comp_targetILNS1_3genE10ELNS1_11target_archE1200ELNS1_3gpuE4ELNS1_3repE0EEENS1_30default_config_static_selectorELNS0_4arch9wavefront6targetE1EEEvT1_,comdat
.Lfunc_end132:
	.size	_ZN7rocprim17ROCPRIM_400000_NS6detail17trampoline_kernelINS0_14default_configENS1_27scan_by_key_config_selectorIiiEEZZNS1_16scan_by_key_implILNS1_25lookback_scan_determinismE0ELb1ES3_N6thrust23THRUST_200600_302600_NS6detail15normal_iteratorINS9_10device_ptrIiEEEESE_SE_iNS9_4plusIvEE19head_flag_predicateIiEiEE10hipError_tPvRmT2_T3_T4_T5_mT6_T7_P12ihipStream_tbENKUlT_T0_E_clISt17integral_constantIbLb1EESZ_EEDaSU_SV_EUlSU_E_NS1_11comp_targetILNS1_3genE10ELNS1_11target_archE1200ELNS1_3gpuE4ELNS1_3repE0EEENS1_30default_config_static_selectorELNS0_4arch9wavefront6targetE1EEEvT1_, .Lfunc_end132-_ZN7rocprim17ROCPRIM_400000_NS6detail17trampoline_kernelINS0_14default_configENS1_27scan_by_key_config_selectorIiiEEZZNS1_16scan_by_key_implILNS1_25lookback_scan_determinismE0ELb1ES3_N6thrust23THRUST_200600_302600_NS6detail15normal_iteratorINS9_10device_ptrIiEEEESE_SE_iNS9_4plusIvEE19head_flag_predicateIiEiEE10hipError_tPvRmT2_T3_T4_T5_mT6_T7_P12ihipStream_tbENKUlT_T0_E_clISt17integral_constantIbLb1EESZ_EEDaSU_SV_EUlSU_E_NS1_11comp_targetILNS1_3genE10ELNS1_11target_archE1200ELNS1_3gpuE4ELNS1_3repE0EEENS1_30default_config_static_selectorELNS0_4arch9wavefront6targetE1EEEvT1_
                                        ; -- End function
	.section	.AMDGPU.csdata,"",@progbits
; Kernel info:
; codeLenInByte = 0
; NumSgprs: 4
; NumVgprs: 0
; NumAgprs: 0
; TotalNumVgprs: 0
; ScratchSize: 0
; MemoryBound: 0
; FloatMode: 240
; IeeeMode: 1
; LDSByteSize: 0 bytes/workgroup (compile time only)
; SGPRBlocks: 0
; VGPRBlocks: 0
; NumSGPRsForWavesPerEU: 4
; NumVGPRsForWavesPerEU: 1
; AccumOffset: 4
; Occupancy: 8
; WaveLimiterHint : 0
; COMPUTE_PGM_RSRC2:SCRATCH_EN: 0
; COMPUTE_PGM_RSRC2:USER_SGPR: 6
; COMPUTE_PGM_RSRC2:TRAP_HANDLER: 0
; COMPUTE_PGM_RSRC2:TGID_X_EN: 1
; COMPUTE_PGM_RSRC2:TGID_Y_EN: 0
; COMPUTE_PGM_RSRC2:TGID_Z_EN: 0
; COMPUTE_PGM_RSRC2:TIDIG_COMP_CNT: 0
; COMPUTE_PGM_RSRC3_GFX90A:ACCUM_OFFSET: 0
; COMPUTE_PGM_RSRC3_GFX90A:TG_SPLIT: 0
	.section	.text._ZN7rocprim17ROCPRIM_400000_NS6detail17trampoline_kernelINS0_14default_configENS1_27scan_by_key_config_selectorIiiEEZZNS1_16scan_by_key_implILNS1_25lookback_scan_determinismE0ELb1ES3_N6thrust23THRUST_200600_302600_NS6detail15normal_iteratorINS9_10device_ptrIiEEEESE_SE_iNS9_4plusIvEE19head_flag_predicateIiEiEE10hipError_tPvRmT2_T3_T4_T5_mT6_T7_P12ihipStream_tbENKUlT_T0_E_clISt17integral_constantIbLb1EESZ_EEDaSU_SV_EUlSU_E_NS1_11comp_targetILNS1_3genE9ELNS1_11target_archE1100ELNS1_3gpuE3ELNS1_3repE0EEENS1_30default_config_static_selectorELNS0_4arch9wavefront6targetE1EEEvT1_,"axG",@progbits,_ZN7rocprim17ROCPRIM_400000_NS6detail17trampoline_kernelINS0_14default_configENS1_27scan_by_key_config_selectorIiiEEZZNS1_16scan_by_key_implILNS1_25lookback_scan_determinismE0ELb1ES3_N6thrust23THRUST_200600_302600_NS6detail15normal_iteratorINS9_10device_ptrIiEEEESE_SE_iNS9_4plusIvEE19head_flag_predicateIiEiEE10hipError_tPvRmT2_T3_T4_T5_mT6_T7_P12ihipStream_tbENKUlT_T0_E_clISt17integral_constantIbLb1EESZ_EEDaSU_SV_EUlSU_E_NS1_11comp_targetILNS1_3genE9ELNS1_11target_archE1100ELNS1_3gpuE3ELNS1_3repE0EEENS1_30default_config_static_selectorELNS0_4arch9wavefront6targetE1EEEvT1_,comdat
	.protected	_ZN7rocprim17ROCPRIM_400000_NS6detail17trampoline_kernelINS0_14default_configENS1_27scan_by_key_config_selectorIiiEEZZNS1_16scan_by_key_implILNS1_25lookback_scan_determinismE0ELb1ES3_N6thrust23THRUST_200600_302600_NS6detail15normal_iteratorINS9_10device_ptrIiEEEESE_SE_iNS9_4plusIvEE19head_flag_predicateIiEiEE10hipError_tPvRmT2_T3_T4_T5_mT6_T7_P12ihipStream_tbENKUlT_T0_E_clISt17integral_constantIbLb1EESZ_EEDaSU_SV_EUlSU_E_NS1_11comp_targetILNS1_3genE9ELNS1_11target_archE1100ELNS1_3gpuE3ELNS1_3repE0EEENS1_30default_config_static_selectorELNS0_4arch9wavefront6targetE1EEEvT1_ ; -- Begin function _ZN7rocprim17ROCPRIM_400000_NS6detail17trampoline_kernelINS0_14default_configENS1_27scan_by_key_config_selectorIiiEEZZNS1_16scan_by_key_implILNS1_25lookback_scan_determinismE0ELb1ES3_N6thrust23THRUST_200600_302600_NS6detail15normal_iteratorINS9_10device_ptrIiEEEESE_SE_iNS9_4plusIvEE19head_flag_predicateIiEiEE10hipError_tPvRmT2_T3_T4_T5_mT6_T7_P12ihipStream_tbENKUlT_T0_E_clISt17integral_constantIbLb1EESZ_EEDaSU_SV_EUlSU_E_NS1_11comp_targetILNS1_3genE9ELNS1_11target_archE1100ELNS1_3gpuE3ELNS1_3repE0EEENS1_30default_config_static_selectorELNS0_4arch9wavefront6targetE1EEEvT1_
	.globl	_ZN7rocprim17ROCPRIM_400000_NS6detail17trampoline_kernelINS0_14default_configENS1_27scan_by_key_config_selectorIiiEEZZNS1_16scan_by_key_implILNS1_25lookback_scan_determinismE0ELb1ES3_N6thrust23THRUST_200600_302600_NS6detail15normal_iteratorINS9_10device_ptrIiEEEESE_SE_iNS9_4plusIvEE19head_flag_predicateIiEiEE10hipError_tPvRmT2_T3_T4_T5_mT6_T7_P12ihipStream_tbENKUlT_T0_E_clISt17integral_constantIbLb1EESZ_EEDaSU_SV_EUlSU_E_NS1_11comp_targetILNS1_3genE9ELNS1_11target_archE1100ELNS1_3gpuE3ELNS1_3repE0EEENS1_30default_config_static_selectorELNS0_4arch9wavefront6targetE1EEEvT1_
	.p2align	8
	.type	_ZN7rocprim17ROCPRIM_400000_NS6detail17trampoline_kernelINS0_14default_configENS1_27scan_by_key_config_selectorIiiEEZZNS1_16scan_by_key_implILNS1_25lookback_scan_determinismE0ELb1ES3_N6thrust23THRUST_200600_302600_NS6detail15normal_iteratorINS9_10device_ptrIiEEEESE_SE_iNS9_4plusIvEE19head_flag_predicateIiEiEE10hipError_tPvRmT2_T3_T4_T5_mT6_T7_P12ihipStream_tbENKUlT_T0_E_clISt17integral_constantIbLb1EESZ_EEDaSU_SV_EUlSU_E_NS1_11comp_targetILNS1_3genE9ELNS1_11target_archE1100ELNS1_3gpuE3ELNS1_3repE0EEENS1_30default_config_static_selectorELNS0_4arch9wavefront6targetE1EEEvT1_,@function
_ZN7rocprim17ROCPRIM_400000_NS6detail17trampoline_kernelINS0_14default_configENS1_27scan_by_key_config_selectorIiiEEZZNS1_16scan_by_key_implILNS1_25lookback_scan_determinismE0ELb1ES3_N6thrust23THRUST_200600_302600_NS6detail15normal_iteratorINS9_10device_ptrIiEEEESE_SE_iNS9_4plusIvEE19head_flag_predicateIiEiEE10hipError_tPvRmT2_T3_T4_T5_mT6_T7_P12ihipStream_tbENKUlT_T0_E_clISt17integral_constantIbLb1EESZ_EEDaSU_SV_EUlSU_E_NS1_11comp_targetILNS1_3genE9ELNS1_11target_archE1100ELNS1_3gpuE3ELNS1_3repE0EEENS1_30default_config_static_selectorELNS0_4arch9wavefront6targetE1EEEvT1_: ; @_ZN7rocprim17ROCPRIM_400000_NS6detail17trampoline_kernelINS0_14default_configENS1_27scan_by_key_config_selectorIiiEEZZNS1_16scan_by_key_implILNS1_25lookback_scan_determinismE0ELb1ES3_N6thrust23THRUST_200600_302600_NS6detail15normal_iteratorINS9_10device_ptrIiEEEESE_SE_iNS9_4plusIvEE19head_flag_predicateIiEiEE10hipError_tPvRmT2_T3_T4_T5_mT6_T7_P12ihipStream_tbENKUlT_T0_E_clISt17integral_constantIbLb1EESZ_EEDaSU_SV_EUlSU_E_NS1_11comp_targetILNS1_3genE9ELNS1_11target_archE1100ELNS1_3gpuE3ELNS1_3repE0EEENS1_30default_config_static_selectorELNS0_4arch9wavefront6targetE1EEEvT1_
; %bb.0:
	.section	.rodata,"a",@progbits
	.p2align	6, 0x0
	.amdhsa_kernel _ZN7rocprim17ROCPRIM_400000_NS6detail17trampoline_kernelINS0_14default_configENS1_27scan_by_key_config_selectorIiiEEZZNS1_16scan_by_key_implILNS1_25lookback_scan_determinismE0ELb1ES3_N6thrust23THRUST_200600_302600_NS6detail15normal_iteratorINS9_10device_ptrIiEEEESE_SE_iNS9_4plusIvEE19head_flag_predicateIiEiEE10hipError_tPvRmT2_T3_T4_T5_mT6_T7_P12ihipStream_tbENKUlT_T0_E_clISt17integral_constantIbLb1EESZ_EEDaSU_SV_EUlSU_E_NS1_11comp_targetILNS1_3genE9ELNS1_11target_archE1100ELNS1_3gpuE3ELNS1_3repE0EEENS1_30default_config_static_selectorELNS0_4arch9wavefront6targetE1EEEvT1_
		.amdhsa_group_segment_fixed_size 0
		.amdhsa_private_segment_fixed_size 0
		.amdhsa_kernarg_size 112
		.amdhsa_user_sgpr_count 6
		.amdhsa_user_sgpr_private_segment_buffer 1
		.amdhsa_user_sgpr_dispatch_ptr 0
		.amdhsa_user_sgpr_queue_ptr 0
		.amdhsa_user_sgpr_kernarg_segment_ptr 1
		.amdhsa_user_sgpr_dispatch_id 0
		.amdhsa_user_sgpr_flat_scratch_init 0
		.amdhsa_user_sgpr_kernarg_preload_length 0
		.amdhsa_user_sgpr_kernarg_preload_offset 0
		.amdhsa_user_sgpr_private_segment_size 0
		.amdhsa_uses_dynamic_stack 0
		.amdhsa_system_sgpr_private_segment_wavefront_offset 0
		.amdhsa_system_sgpr_workgroup_id_x 1
		.amdhsa_system_sgpr_workgroup_id_y 0
		.amdhsa_system_sgpr_workgroup_id_z 0
		.amdhsa_system_sgpr_workgroup_info 0
		.amdhsa_system_vgpr_workitem_id 0
		.amdhsa_next_free_vgpr 1
		.amdhsa_next_free_sgpr 0
		.amdhsa_accum_offset 4
		.amdhsa_reserve_vcc 0
		.amdhsa_reserve_flat_scratch 0
		.amdhsa_float_round_mode_32 0
		.amdhsa_float_round_mode_16_64 0
		.amdhsa_float_denorm_mode_32 3
		.amdhsa_float_denorm_mode_16_64 3
		.amdhsa_dx10_clamp 1
		.amdhsa_ieee_mode 1
		.amdhsa_fp16_overflow 0
		.amdhsa_tg_split 0
		.amdhsa_exception_fp_ieee_invalid_op 0
		.amdhsa_exception_fp_denorm_src 0
		.amdhsa_exception_fp_ieee_div_zero 0
		.amdhsa_exception_fp_ieee_overflow 0
		.amdhsa_exception_fp_ieee_underflow 0
		.amdhsa_exception_fp_ieee_inexact 0
		.amdhsa_exception_int_div_zero 0
	.end_amdhsa_kernel
	.section	.text._ZN7rocprim17ROCPRIM_400000_NS6detail17trampoline_kernelINS0_14default_configENS1_27scan_by_key_config_selectorIiiEEZZNS1_16scan_by_key_implILNS1_25lookback_scan_determinismE0ELb1ES3_N6thrust23THRUST_200600_302600_NS6detail15normal_iteratorINS9_10device_ptrIiEEEESE_SE_iNS9_4plusIvEE19head_flag_predicateIiEiEE10hipError_tPvRmT2_T3_T4_T5_mT6_T7_P12ihipStream_tbENKUlT_T0_E_clISt17integral_constantIbLb1EESZ_EEDaSU_SV_EUlSU_E_NS1_11comp_targetILNS1_3genE9ELNS1_11target_archE1100ELNS1_3gpuE3ELNS1_3repE0EEENS1_30default_config_static_selectorELNS0_4arch9wavefront6targetE1EEEvT1_,"axG",@progbits,_ZN7rocprim17ROCPRIM_400000_NS6detail17trampoline_kernelINS0_14default_configENS1_27scan_by_key_config_selectorIiiEEZZNS1_16scan_by_key_implILNS1_25lookback_scan_determinismE0ELb1ES3_N6thrust23THRUST_200600_302600_NS6detail15normal_iteratorINS9_10device_ptrIiEEEESE_SE_iNS9_4plusIvEE19head_flag_predicateIiEiEE10hipError_tPvRmT2_T3_T4_T5_mT6_T7_P12ihipStream_tbENKUlT_T0_E_clISt17integral_constantIbLb1EESZ_EEDaSU_SV_EUlSU_E_NS1_11comp_targetILNS1_3genE9ELNS1_11target_archE1100ELNS1_3gpuE3ELNS1_3repE0EEENS1_30default_config_static_selectorELNS0_4arch9wavefront6targetE1EEEvT1_,comdat
.Lfunc_end133:
	.size	_ZN7rocprim17ROCPRIM_400000_NS6detail17trampoline_kernelINS0_14default_configENS1_27scan_by_key_config_selectorIiiEEZZNS1_16scan_by_key_implILNS1_25lookback_scan_determinismE0ELb1ES3_N6thrust23THRUST_200600_302600_NS6detail15normal_iteratorINS9_10device_ptrIiEEEESE_SE_iNS9_4plusIvEE19head_flag_predicateIiEiEE10hipError_tPvRmT2_T3_T4_T5_mT6_T7_P12ihipStream_tbENKUlT_T0_E_clISt17integral_constantIbLb1EESZ_EEDaSU_SV_EUlSU_E_NS1_11comp_targetILNS1_3genE9ELNS1_11target_archE1100ELNS1_3gpuE3ELNS1_3repE0EEENS1_30default_config_static_selectorELNS0_4arch9wavefront6targetE1EEEvT1_, .Lfunc_end133-_ZN7rocprim17ROCPRIM_400000_NS6detail17trampoline_kernelINS0_14default_configENS1_27scan_by_key_config_selectorIiiEEZZNS1_16scan_by_key_implILNS1_25lookback_scan_determinismE0ELb1ES3_N6thrust23THRUST_200600_302600_NS6detail15normal_iteratorINS9_10device_ptrIiEEEESE_SE_iNS9_4plusIvEE19head_flag_predicateIiEiEE10hipError_tPvRmT2_T3_T4_T5_mT6_T7_P12ihipStream_tbENKUlT_T0_E_clISt17integral_constantIbLb1EESZ_EEDaSU_SV_EUlSU_E_NS1_11comp_targetILNS1_3genE9ELNS1_11target_archE1100ELNS1_3gpuE3ELNS1_3repE0EEENS1_30default_config_static_selectorELNS0_4arch9wavefront6targetE1EEEvT1_
                                        ; -- End function
	.section	.AMDGPU.csdata,"",@progbits
; Kernel info:
; codeLenInByte = 0
; NumSgprs: 4
; NumVgprs: 0
; NumAgprs: 0
; TotalNumVgprs: 0
; ScratchSize: 0
; MemoryBound: 0
; FloatMode: 240
; IeeeMode: 1
; LDSByteSize: 0 bytes/workgroup (compile time only)
; SGPRBlocks: 0
; VGPRBlocks: 0
; NumSGPRsForWavesPerEU: 4
; NumVGPRsForWavesPerEU: 1
; AccumOffset: 4
; Occupancy: 8
; WaveLimiterHint : 0
; COMPUTE_PGM_RSRC2:SCRATCH_EN: 0
; COMPUTE_PGM_RSRC2:USER_SGPR: 6
; COMPUTE_PGM_RSRC2:TRAP_HANDLER: 0
; COMPUTE_PGM_RSRC2:TGID_X_EN: 1
; COMPUTE_PGM_RSRC2:TGID_Y_EN: 0
; COMPUTE_PGM_RSRC2:TGID_Z_EN: 0
; COMPUTE_PGM_RSRC2:TIDIG_COMP_CNT: 0
; COMPUTE_PGM_RSRC3_GFX90A:ACCUM_OFFSET: 0
; COMPUTE_PGM_RSRC3_GFX90A:TG_SPLIT: 0
	.section	.text._ZN7rocprim17ROCPRIM_400000_NS6detail17trampoline_kernelINS0_14default_configENS1_27scan_by_key_config_selectorIiiEEZZNS1_16scan_by_key_implILNS1_25lookback_scan_determinismE0ELb1ES3_N6thrust23THRUST_200600_302600_NS6detail15normal_iteratorINS9_10device_ptrIiEEEESE_SE_iNS9_4plusIvEE19head_flag_predicateIiEiEE10hipError_tPvRmT2_T3_T4_T5_mT6_T7_P12ihipStream_tbENKUlT_T0_E_clISt17integral_constantIbLb1EESZ_EEDaSU_SV_EUlSU_E_NS1_11comp_targetILNS1_3genE8ELNS1_11target_archE1030ELNS1_3gpuE2ELNS1_3repE0EEENS1_30default_config_static_selectorELNS0_4arch9wavefront6targetE1EEEvT1_,"axG",@progbits,_ZN7rocprim17ROCPRIM_400000_NS6detail17trampoline_kernelINS0_14default_configENS1_27scan_by_key_config_selectorIiiEEZZNS1_16scan_by_key_implILNS1_25lookback_scan_determinismE0ELb1ES3_N6thrust23THRUST_200600_302600_NS6detail15normal_iteratorINS9_10device_ptrIiEEEESE_SE_iNS9_4plusIvEE19head_flag_predicateIiEiEE10hipError_tPvRmT2_T3_T4_T5_mT6_T7_P12ihipStream_tbENKUlT_T0_E_clISt17integral_constantIbLb1EESZ_EEDaSU_SV_EUlSU_E_NS1_11comp_targetILNS1_3genE8ELNS1_11target_archE1030ELNS1_3gpuE2ELNS1_3repE0EEENS1_30default_config_static_selectorELNS0_4arch9wavefront6targetE1EEEvT1_,comdat
	.protected	_ZN7rocprim17ROCPRIM_400000_NS6detail17trampoline_kernelINS0_14default_configENS1_27scan_by_key_config_selectorIiiEEZZNS1_16scan_by_key_implILNS1_25lookback_scan_determinismE0ELb1ES3_N6thrust23THRUST_200600_302600_NS6detail15normal_iteratorINS9_10device_ptrIiEEEESE_SE_iNS9_4plusIvEE19head_flag_predicateIiEiEE10hipError_tPvRmT2_T3_T4_T5_mT6_T7_P12ihipStream_tbENKUlT_T0_E_clISt17integral_constantIbLb1EESZ_EEDaSU_SV_EUlSU_E_NS1_11comp_targetILNS1_3genE8ELNS1_11target_archE1030ELNS1_3gpuE2ELNS1_3repE0EEENS1_30default_config_static_selectorELNS0_4arch9wavefront6targetE1EEEvT1_ ; -- Begin function _ZN7rocprim17ROCPRIM_400000_NS6detail17trampoline_kernelINS0_14default_configENS1_27scan_by_key_config_selectorIiiEEZZNS1_16scan_by_key_implILNS1_25lookback_scan_determinismE0ELb1ES3_N6thrust23THRUST_200600_302600_NS6detail15normal_iteratorINS9_10device_ptrIiEEEESE_SE_iNS9_4plusIvEE19head_flag_predicateIiEiEE10hipError_tPvRmT2_T3_T4_T5_mT6_T7_P12ihipStream_tbENKUlT_T0_E_clISt17integral_constantIbLb1EESZ_EEDaSU_SV_EUlSU_E_NS1_11comp_targetILNS1_3genE8ELNS1_11target_archE1030ELNS1_3gpuE2ELNS1_3repE0EEENS1_30default_config_static_selectorELNS0_4arch9wavefront6targetE1EEEvT1_
	.globl	_ZN7rocprim17ROCPRIM_400000_NS6detail17trampoline_kernelINS0_14default_configENS1_27scan_by_key_config_selectorIiiEEZZNS1_16scan_by_key_implILNS1_25lookback_scan_determinismE0ELb1ES3_N6thrust23THRUST_200600_302600_NS6detail15normal_iteratorINS9_10device_ptrIiEEEESE_SE_iNS9_4plusIvEE19head_flag_predicateIiEiEE10hipError_tPvRmT2_T3_T4_T5_mT6_T7_P12ihipStream_tbENKUlT_T0_E_clISt17integral_constantIbLb1EESZ_EEDaSU_SV_EUlSU_E_NS1_11comp_targetILNS1_3genE8ELNS1_11target_archE1030ELNS1_3gpuE2ELNS1_3repE0EEENS1_30default_config_static_selectorELNS0_4arch9wavefront6targetE1EEEvT1_
	.p2align	8
	.type	_ZN7rocprim17ROCPRIM_400000_NS6detail17trampoline_kernelINS0_14default_configENS1_27scan_by_key_config_selectorIiiEEZZNS1_16scan_by_key_implILNS1_25lookback_scan_determinismE0ELb1ES3_N6thrust23THRUST_200600_302600_NS6detail15normal_iteratorINS9_10device_ptrIiEEEESE_SE_iNS9_4plusIvEE19head_flag_predicateIiEiEE10hipError_tPvRmT2_T3_T4_T5_mT6_T7_P12ihipStream_tbENKUlT_T0_E_clISt17integral_constantIbLb1EESZ_EEDaSU_SV_EUlSU_E_NS1_11comp_targetILNS1_3genE8ELNS1_11target_archE1030ELNS1_3gpuE2ELNS1_3repE0EEENS1_30default_config_static_selectorELNS0_4arch9wavefront6targetE1EEEvT1_,@function
_ZN7rocprim17ROCPRIM_400000_NS6detail17trampoline_kernelINS0_14default_configENS1_27scan_by_key_config_selectorIiiEEZZNS1_16scan_by_key_implILNS1_25lookback_scan_determinismE0ELb1ES3_N6thrust23THRUST_200600_302600_NS6detail15normal_iteratorINS9_10device_ptrIiEEEESE_SE_iNS9_4plusIvEE19head_flag_predicateIiEiEE10hipError_tPvRmT2_T3_T4_T5_mT6_T7_P12ihipStream_tbENKUlT_T0_E_clISt17integral_constantIbLb1EESZ_EEDaSU_SV_EUlSU_E_NS1_11comp_targetILNS1_3genE8ELNS1_11target_archE1030ELNS1_3gpuE2ELNS1_3repE0EEENS1_30default_config_static_selectorELNS0_4arch9wavefront6targetE1EEEvT1_: ; @_ZN7rocprim17ROCPRIM_400000_NS6detail17trampoline_kernelINS0_14default_configENS1_27scan_by_key_config_selectorIiiEEZZNS1_16scan_by_key_implILNS1_25lookback_scan_determinismE0ELb1ES3_N6thrust23THRUST_200600_302600_NS6detail15normal_iteratorINS9_10device_ptrIiEEEESE_SE_iNS9_4plusIvEE19head_flag_predicateIiEiEE10hipError_tPvRmT2_T3_T4_T5_mT6_T7_P12ihipStream_tbENKUlT_T0_E_clISt17integral_constantIbLb1EESZ_EEDaSU_SV_EUlSU_E_NS1_11comp_targetILNS1_3genE8ELNS1_11target_archE1030ELNS1_3gpuE2ELNS1_3repE0EEENS1_30default_config_static_selectorELNS0_4arch9wavefront6targetE1EEEvT1_
; %bb.0:
	.section	.rodata,"a",@progbits
	.p2align	6, 0x0
	.amdhsa_kernel _ZN7rocprim17ROCPRIM_400000_NS6detail17trampoline_kernelINS0_14default_configENS1_27scan_by_key_config_selectorIiiEEZZNS1_16scan_by_key_implILNS1_25lookback_scan_determinismE0ELb1ES3_N6thrust23THRUST_200600_302600_NS6detail15normal_iteratorINS9_10device_ptrIiEEEESE_SE_iNS9_4plusIvEE19head_flag_predicateIiEiEE10hipError_tPvRmT2_T3_T4_T5_mT6_T7_P12ihipStream_tbENKUlT_T0_E_clISt17integral_constantIbLb1EESZ_EEDaSU_SV_EUlSU_E_NS1_11comp_targetILNS1_3genE8ELNS1_11target_archE1030ELNS1_3gpuE2ELNS1_3repE0EEENS1_30default_config_static_selectorELNS0_4arch9wavefront6targetE1EEEvT1_
		.amdhsa_group_segment_fixed_size 0
		.amdhsa_private_segment_fixed_size 0
		.amdhsa_kernarg_size 112
		.amdhsa_user_sgpr_count 6
		.amdhsa_user_sgpr_private_segment_buffer 1
		.amdhsa_user_sgpr_dispatch_ptr 0
		.amdhsa_user_sgpr_queue_ptr 0
		.amdhsa_user_sgpr_kernarg_segment_ptr 1
		.amdhsa_user_sgpr_dispatch_id 0
		.amdhsa_user_sgpr_flat_scratch_init 0
		.amdhsa_user_sgpr_kernarg_preload_length 0
		.amdhsa_user_sgpr_kernarg_preload_offset 0
		.amdhsa_user_sgpr_private_segment_size 0
		.amdhsa_uses_dynamic_stack 0
		.amdhsa_system_sgpr_private_segment_wavefront_offset 0
		.amdhsa_system_sgpr_workgroup_id_x 1
		.amdhsa_system_sgpr_workgroup_id_y 0
		.amdhsa_system_sgpr_workgroup_id_z 0
		.amdhsa_system_sgpr_workgroup_info 0
		.amdhsa_system_vgpr_workitem_id 0
		.amdhsa_next_free_vgpr 1
		.amdhsa_next_free_sgpr 0
		.amdhsa_accum_offset 4
		.amdhsa_reserve_vcc 0
		.amdhsa_reserve_flat_scratch 0
		.amdhsa_float_round_mode_32 0
		.amdhsa_float_round_mode_16_64 0
		.amdhsa_float_denorm_mode_32 3
		.amdhsa_float_denorm_mode_16_64 3
		.amdhsa_dx10_clamp 1
		.amdhsa_ieee_mode 1
		.amdhsa_fp16_overflow 0
		.amdhsa_tg_split 0
		.amdhsa_exception_fp_ieee_invalid_op 0
		.amdhsa_exception_fp_denorm_src 0
		.amdhsa_exception_fp_ieee_div_zero 0
		.amdhsa_exception_fp_ieee_overflow 0
		.amdhsa_exception_fp_ieee_underflow 0
		.amdhsa_exception_fp_ieee_inexact 0
		.amdhsa_exception_int_div_zero 0
	.end_amdhsa_kernel
	.section	.text._ZN7rocprim17ROCPRIM_400000_NS6detail17trampoline_kernelINS0_14default_configENS1_27scan_by_key_config_selectorIiiEEZZNS1_16scan_by_key_implILNS1_25lookback_scan_determinismE0ELb1ES3_N6thrust23THRUST_200600_302600_NS6detail15normal_iteratorINS9_10device_ptrIiEEEESE_SE_iNS9_4plusIvEE19head_flag_predicateIiEiEE10hipError_tPvRmT2_T3_T4_T5_mT6_T7_P12ihipStream_tbENKUlT_T0_E_clISt17integral_constantIbLb1EESZ_EEDaSU_SV_EUlSU_E_NS1_11comp_targetILNS1_3genE8ELNS1_11target_archE1030ELNS1_3gpuE2ELNS1_3repE0EEENS1_30default_config_static_selectorELNS0_4arch9wavefront6targetE1EEEvT1_,"axG",@progbits,_ZN7rocprim17ROCPRIM_400000_NS6detail17trampoline_kernelINS0_14default_configENS1_27scan_by_key_config_selectorIiiEEZZNS1_16scan_by_key_implILNS1_25lookback_scan_determinismE0ELb1ES3_N6thrust23THRUST_200600_302600_NS6detail15normal_iteratorINS9_10device_ptrIiEEEESE_SE_iNS9_4plusIvEE19head_flag_predicateIiEiEE10hipError_tPvRmT2_T3_T4_T5_mT6_T7_P12ihipStream_tbENKUlT_T0_E_clISt17integral_constantIbLb1EESZ_EEDaSU_SV_EUlSU_E_NS1_11comp_targetILNS1_3genE8ELNS1_11target_archE1030ELNS1_3gpuE2ELNS1_3repE0EEENS1_30default_config_static_selectorELNS0_4arch9wavefront6targetE1EEEvT1_,comdat
.Lfunc_end134:
	.size	_ZN7rocprim17ROCPRIM_400000_NS6detail17trampoline_kernelINS0_14default_configENS1_27scan_by_key_config_selectorIiiEEZZNS1_16scan_by_key_implILNS1_25lookback_scan_determinismE0ELb1ES3_N6thrust23THRUST_200600_302600_NS6detail15normal_iteratorINS9_10device_ptrIiEEEESE_SE_iNS9_4plusIvEE19head_flag_predicateIiEiEE10hipError_tPvRmT2_T3_T4_T5_mT6_T7_P12ihipStream_tbENKUlT_T0_E_clISt17integral_constantIbLb1EESZ_EEDaSU_SV_EUlSU_E_NS1_11comp_targetILNS1_3genE8ELNS1_11target_archE1030ELNS1_3gpuE2ELNS1_3repE0EEENS1_30default_config_static_selectorELNS0_4arch9wavefront6targetE1EEEvT1_, .Lfunc_end134-_ZN7rocprim17ROCPRIM_400000_NS6detail17trampoline_kernelINS0_14default_configENS1_27scan_by_key_config_selectorIiiEEZZNS1_16scan_by_key_implILNS1_25lookback_scan_determinismE0ELb1ES3_N6thrust23THRUST_200600_302600_NS6detail15normal_iteratorINS9_10device_ptrIiEEEESE_SE_iNS9_4plusIvEE19head_flag_predicateIiEiEE10hipError_tPvRmT2_T3_T4_T5_mT6_T7_P12ihipStream_tbENKUlT_T0_E_clISt17integral_constantIbLb1EESZ_EEDaSU_SV_EUlSU_E_NS1_11comp_targetILNS1_3genE8ELNS1_11target_archE1030ELNS1_3gpuE2ELNS1_3repE0EEENS1_30default_config_static_selectorELNS0_4arch9wavefront6targetE1EEEvT1_
                                        ; -- End function
	.section	.AMDGPU.csdata,"",@progbits
; Kernel info:
; codeLenInByte = 0
; NumSgprs: 4
; NumVgprs: 0
; NumAgprs: 0
; TotalNumVgprs: 0
; ScratchSize: 0
; MemoryBound: 0
; FloatMode: 240
; IeeeMode: 1
; LDSByteSize: 0 bytes/workgroup (compile time only)
; SGPRBlocks: 0
; VGPRBlocks: 0
; NumSGPRsForWavesPerEU: 4
; NumVGPRsForWavesPerEU: 1
; AccumOffset: 4
; Occupancy: 8
; WaveLimiterHint : 0
; COMPUTE_PGM_RSRC2:SCRATCH_EN: 0
; COMPUTE_PGM_RSRC2:USER_SGPR: 6
; COMPUTE_PGM_RSRC2:TRAP_HANDLER: 0
; COMPUTE_PGM_RSRC2:TGID_X_EN: 1
; COMPUTE_PGM_RSRC2:TGID_Y_EN: 0
; COMPUTE_PGM_RSRC2:TGID_Z_EN: 0
; COMPUTE_PGM_RSRC2:TIDIG_COMP_CNT: 0
; COMPUTE_PGM_RSRC3_GFX90A:ACCUM_OFFSET: 0
; COMPUTE_PGM_RSRC3_GFX90A:TG_SPLIT: 0
	.section	.text._ZN7rocprim17ROCPRIM_400000_NS6detail17trampoline_kernelINS0_14default_configENS1_27scan_by_key_config_selectorIiiEEZZNS1_16scan_by_key_implILNS1_25lookback_scan_determinismE0ELb1ES3_N6thrust23THRUST_200600_302600_NS6detail15normal_iteratorINS9_10device_ptrIiEEEESE_SE_iNS9_4plusIvEE19head_flag_predicateIiEiEE10hipError_tPvRmT2_T3_T4_T5_mT6_T7_P12ihipStream_tbENKUlT_T0_E_clISt17integral_constantIbLb1EESY_IbLb0EEEEDaSU_SV_EUlSU_E_NS1_11comp_targetILNS1_3genE0ELNS1_11target_archE4294967295ELNS1_3gpuE0ELNS1_3repE0EEENS1_30default_config_static_selectorELNS0_4arch9wavefront6targetE1EEEvT1_,"axG",@progbits,_ZN7rocprim17ROCPRIM_400000_NS6detail17trampoline_kernelINS0_14default_configENS1_27scan_by_key_config_selectorIiiEEZZNS1_16scan_by_key_implILNS1_25lookback_scan_determinismE0ELb1ES3_N6thrust23THRUST_200600_302600_NS6detail15normal_iteratorINS9_10device_ptrIiEEEESE_SE_iNS9_4plusIvEE19head_flag_predicateIiEiEE10hipError_tPvRmT2_T3_T4_T5_mT6_T7_P12ihipStream_tbENKUlT_T0_E_clISt17integral_constantIbLb1EESY_IbLb0EEEEDaSU_SV_EUlSU_E_NS1_11comp_targetILNS1_3genE0ELNS1_11target_archE4294967295ELNS1_3gpuE0ELNS1_3repE0EEENS1_30default_config_static_selectorELNS0_4arch9wavefront6targetE1EEEvT1_,comdat
	.protected	_ZN7rocprim17ROCPRIM_400000_NS6detail17trampoline_kernelINS0_14default_configENS1_27scan_by_key_config_selectorIiiEEZZNS1_16scan_by_key_implILNS1_25lookback_scan_determinismE0ELb1ES3_N6thrust23THRUST_200600_302600_NS6detail15normal_iteratorINS9_10device_ptrIiEEEESE_SE_iNS9_4plusIvEE19head_flag_predicateIiEiEE10hipError_tPvRmT2_T3_T4_T5_mT6_T7_P12ihipStream_tbENKUlT_T0_E_clISt17integral_constantIbLb1EESY_IbLb0EEEEDaSU_SV_EUlSU_E_NS1_11comp_targetILNS1_3genE0ELNS1_11target_archE4294967295ELNS1_3gpuE0ELNS1_3repE0EEENS1_30default_config_static_selectorELNS0_4arch9wavefront6targetE1EEEvT1_ ; -- Begin function _ZN7rocprim17ROCPRIM_400000_NS6detail17trampoline_kernelINS0_14default_configENS1_27scan_by_key_config_selectorIiiEEZZNS1_16scan_by_key_implILNS1_25lookback_scan_determinismE0ELb1ES3_N6thrust23THRUST_200600_302600_NS6detail15normal_iteratorINS9_10device_ptrIiEEEESE_SE_iNS9_4plusIvEE19head_flag_predicateIiEiEE10hipError_tPvRmT2_T3_T4_T5_mT6_T7_P12ihipStream_tbENKUlT_T0_E_clISt17integral_constantIbLb1EESY_IbLb0EEEEDaSU_SV_EUlSU_E_NS1_11comp_targetILNS1_3genE0ELNS1_11target_archE4294967295ELNS1_3gpuE0ELNS1_3repE0EEENS1_30default_config_static_selectorELNS0_4arch9wavefront6targetE1EEEvT1_
	.globl	_ZN7rocprim17ROCPRIM_400000_NS6detail17trampoline_kernelINS0_14default_configENS1_27scan_by_key_config_selectorIiiEEZZNS1_16scan_by_key_implILNS1_25lookback_scan_determinismE0ELb1ES3_N6thrust23THRUST_200600_302600_NS6detail15normal_iteratorINS9_10device_ptrIiEEEESE_SE_iNS9_4plusIvEE19head_flag_predicateIiEiEE10hipError_tPvRmT2_T3_T4_T5_mT6_T7_P12ihipStream_tbENKUlT_T0_E_clISt17integral_constantIbLb1EESY_IbLb0EEEEDaSU_SV_EUlSU_E_NS1_11comp_targetILNS1_3genE0ELNS1_11target_archE4294967295ELNS1_3gpuE0ELNS1_3repE0EEENS1_30default_config_static_selectorELNS0_4arch9wavefront6targetE1EEEvT1_
	.p2align	8
	.type	_ZN7rocprim17ROCPRIM_400000_NS6detail17trampoline_kernelINS0_14default_configENS1_27scan_by_key_config_selectorIiiEEZZNS1_16scan_by_key_implILNS1_25lookback_scan_determinismE0ELb1ES3_N6thrust23THRUST_200600_302600_NS6detail15normal_iteratorINS9_10device_ptrIiEEEESE_SE_iNS9_4plusIvEE19head_flag_predicateIiEiEE10hipError_tPvRmT2_T3_T4_T5_mT6_T7_P12ihipStream_tbENKUlT_T0_E_clISt17integral_constantIbLb1EESY_IbLb0EEEEDaSU_SV_EUlSU_E_NS1_11comp_targetILNS1_3genE0ELNS1_11target_archE4294967295ELNS1_3gpuE0ELNS1_3repE0EEENS1_30default_config_static_selectorELNS0_4arch9wavefront6targetE1EEEvT1_,@function
_ZN7rocprim17ROCPRIM_400000_NS6detail17trampoline_kernelINS0_14default_configENS1_27scan_by_key_config_selectorIiiEEZZNS1_16scan_by_key_implILNS1_25lookback_scan_determinismE0ELb1ES3_N6thrust23THRUST_200600_302600_NS6detail15normal_iteratorINS9_10device_ptrIiEEEESE_SE_iNS9_4plusIvEE19head_flag_predicateIiEiEE10hipError_tPvRmT2_T3_T4_T5_mT6_T7_P12ihipStream_tbENKUlT_T0_E_clISt17integral_constantIbLb1EESY_IbLb0EEEEDaSU_SV_EUlSU_E_NS1_11comp_targetILNS1_3genE0ELNS1_11target_archE4294967295ELNS1_3gpuE0ELNS1_3repE0EEENS1_30default_config_static_selectorELNS0_4arch9wavefront6targetE1EEEvT1_: ; @_ZN7rocprim17ROCPRIM_400000_NS6detail17trampoline_kernelINS0_14default_configENS1_27scan_by_key_config_selectorIiiEEZZNS1_16scan_by_key_implILNS1_25lookback_scan_determinismE0ELb1ES3_N6thrust23THRUST_200600_302600_NS6detail15normal_iteratorINS9_10device_ptrIiEEEESE_SE_iNS9_4plusIvEE19head_flag_predicateIiEiEE10hipError_tPvRmT2_T3_T4_T5_mT6_T7_P12ihipStream_tbENKUlT_T0_E_clISt17integral_constantIbLb1EESY_IbLb0EEEEDaSU_SV_EUlSU_E_NS1_11comp_targetILNS1_3genE0ELNS1_11target_archE4294967295ELNS1_3gpuE0ELNS1_3repE0EEENS1_30default_config_static_selectorELNS0_4arch9wavefront6targetE1EEEvT1_
; %bb.0:
	.section	.rodata,"a",@progbits
	.p2align	6, 0x0
	.amdhsa_kernel _ZN7rocprim17ROCPRIM_400000_NS6detail17trampoline_kernelINS0_14default_configENS1_27scan_by_key_config_selectorIiiEEZZNS1_16scan_by_key_implILNS1_25lookback_scan_determinismE0ELb1ES3_N6thrust23THRUST_200600_302600_NS6detail15normal_iteratorINS9_10device_ptrIiEEEESE_SE_iNS9_4plusIvEE19head_flag_predicateIiEiEE10hipError_tPvRmT2_T3_T4_T5_mT6_T7_P12ihipStream_tbENKUlT_T0_E_clISt17integral_constantIbLb1EESY_IbLb0EEEEDaSU_SV_EUlSU_E_NS1_11comp_targetILNS1_3genE0ELNS1_11target_archE4294967295ELNS1_3gpuE0ELNS1_3repE0EEENS1_30default_config_static_selectorELNS0_4arch9wavefront6targetE1EEEvT1_
		.amdhsa_group_segment_fixed_size 0
		.amdhsa_private_segment_fixed_size 0
		.amdhsa_kernarg_size 112
		.amdhsa_user_sgpr_count 6
		.amdhsa_user_sgpr_private_segment_buffer 1
		.amdhsa_user_sgpr_dispatch_ptr 0
		.amdhsa_user_sgpr_queue_ptr 0
		.amdhsa_user_sgpr_kernarg_segment_ptr 1
		.amdhsa_user_sgpr_dispatch_id 0
		.amdhsa_user_sgpr_flat_scratch_init 0
		.amdhsa_user_sgpr_kernarg_preload_length 0
		.amdhsa_user_sgpr_kernarg_preload_offset 0
		.amdhsa_user_sgpr_private_segment_size 0
		.amdhsa_uses_dynamic_stack 0
		.amdhsa_system_sgpr_private_segment_wavefront_offset 0
		.amdhsa_system_sgpr_workgroup_id_x 1
		.amdhsa_system_sgpr_workgroup_id_y 0
		.amdhsa_system_sgpr_workgroup_id_z 0
		.amdhsa_system_sgpr_workgroup_info 0
		.amdhsa_system_vgpr_workitem_id 0
		.amdhsa_next_free_vgpr 1
		.amdhsa_next_free_sgpr 0
		.amdhsa_accum_offset 4
		.amdhsa_reserve_vcc 0
		.amdhsa_reserve_flat_scratch 0
		.amdhsa_float_round_mode_32 0
		.amdhsa_float_round_mode_16_64 0
		.amdhsa_float_denorm_mode_32 3
		.amdhsa_float_denorm_mode_16_64 3
		.amdhsa_dx10_clamp 1
		.amdhsa_ieee_mode 1
		.amdhsa_fp16_overflow 0
		.amdhsa_tg_split 0
		.amdhsa_exception_fp_ieee_invalid_op 0
		.amdhsa_exception_fp_denorm_src 0
		.amdhsa_exception_fp_ieee_div_zero 0
		.amdhsa_exception_fp_ieee_overflow 0
		.amdhsa_exception_fp_ieee_underflow 0
		.amdhsa_exception_fp_ieee_inexact 0
		.amdhsa_exception_int_div_zero 0
	.end_amdhsa_kernel
	.section	.text._ZN7rocprim17ROCPRIM_400000_NS6detail17trampoline_kernelINS0_14default_configENS1_27scan_by_key_config_selectorIiiEEZZNS1_16scan_by_key_implILNS1_25lookback_scan_determinismE0ELb1ES3_N6thrust23THRUST_200600_302600_NS6detail15normal_iteratorINS9_10device_ptrIiEEEESE_SE_iNS9_4plusIvEE19head_flag_predicateIiEiEE10hipError_tPvRmT2_T3_T4_T5_mT6_T7_P12ihipStream_tbENKUlT_T0_E_clISt17integral_constantIbLb1EESY_IbLb0EEEEDaSU_SV_EUlSU_E_NS1_11comp_targetILNS1_3genE0ELNS1_11target_archE4294967295ELNS1_3gpuE0ELNS1_3repE0EEENS1_30default_config_static_selectorELNS0_4arch9wavefront6targetE1EEEvT1_,"axG",@progbits,_ZN7rocprim17ROCPRIM_400000_NS6detail17trampoline_kernelINS0_14default_configENS1_27scan_by_key_config_selectorIiiEEZZNS1_16scan_by_key_implILNS1_25lookback_scan_determinismE0ELb1ES3_N6thrust23THRUST_200600_302600_NS6detail15normal_iteratorINS9_10device_ptrIiEEEESE_SE_iNS9_4plusIvEE19head_flag_predicateIiEiEE10hipError_tPvRmT2_T3_T4_T5_mT6_T7_P12ihipStream_tbENKUlT_T0_E_clISt17integral_constantIbLb1EESY_IbLb0EEEEDaSU_SV_EUlSU_E_NS1_11comp_targetILNS1_3genE0ELNS1_11target_archE4294967295ELNS1_3gpuE0ELNS1_3repE0EEENS1_30default_config_static_selectorELNS0_4arch9wavefront6targetE1EEEvT1_,comdat
.Lfunc_end135:
	.size	_ZN7rocprim17ROCPRIM_400000_NS6detail17trampoline_kernelINS0_14default_configENS1_27scan_by_key_config_selectorIiiEEZZNS1_16scan_by_key_implILNS1_25lookback_scan_determinismE0ELb1ES3_N6thrust23THRUST_200600_302600_NS6detail15normal_iteratorINS9_10device_ptrIiEEEESE_SE_iNS9_4plusIvEE19head_flag_predicateIiEiEE10hipError_tPvRmT2_T3_T4_T5_mT6_T7_P12ihipStream_tbENKUlT_T0_E_clISt17integral_constantIbLb1EESY_IbLb0EEEEDaSU_SV_EUlSU_E_NS1_11comp_targetILNS1_3genE0ELNS1_11target_archE4294967295ELNS1_3gpuE0ELNS1_3repE0EEENS1_30default_config_static_selectorELNS0_4arch9wavefront6targetE1EEEvT1_, .Lfunc_end135-_ZN7rocprim17ROCPRIM_400000_NS6detail17trampoline_kernelINS0_14default_configENS1_27scan_by_key_config_selectorIiiEEZZNS1_16scan_by_key_implILNS1_25lookback_scan_determinismE0ELb1ES3_N6thrust23THRUST_200600_302600_NS6detail15normal_iteratorINS9_10device_ptrIiEEEESE_SE_iNS9_4plusIvEE19head_flag_predicateIiEiEE10hipError_tPvRmT2_T3_T4_T5_mT6_T7_P12ihipStream_tbENKUlT_T0_E_clISt17integral_constantIbLb1EESY_IbLb0EEEEDaSU_SV_EUlSU_E_NS1_11comp_targetILNS1_3genE0ELNS1_11target_archE4294967295ELNS1_3gpuE0ELNS1_3repE0EEENS1_30default_config_static_selectorELNS0_4arch9wavefront6targetE1EEEvT1_
                                        ; -- End function
	.section	.AMDGPU.csdata,"",@progbits
; Kernel info:
; codeLenInByte = 0
; NumSgprs: 4
; NumVgprs: 0
; NumAgprs: 0
; TotalNumVgprs: 0
; ScratchSize: 0
; MemoryBound: 0
; FloatMode: 240
; IeeeMode: 1
; LDSByteSize: 0 bytes/workgroup (compile time only)
; SGPRBlocks: 0
; VGPRBlocks: 0
; NumSGPRsForWavesPerEU: 4
; NumVGPRsForWavesPerEU: 1
; AccumOffset: 4
; Occupancy: 8
; WaveLimiterHint : 0
; COMPUTE_PGM_RSRC2:SCRATCH_EN: 0
; COMPUTE_PGM_RSRC2:USER_SGPR: 6
; COMPUTE_PGM_RSRC2:TRAP_HANDLER: 0
; COMPUTE_PGM_RSRC2:TGID_X_EN: 1
; COMPUTE_PGM_RSRC2:TGID_Y_EN: 0
; COMPUTE_PGM_RSRC2:TGID_Z_EN: 0
; COMPUTE_PGM_RSRC2:TIDIG_COMP_CNT: 0
; COMPUTE_PGM_RSRC3_GFX90A:ACCUM_OFFSET: 0
; COMPUTE_PGM_RSRC3_GFX90A:TG_SPLIT: 0
	.section	.text._ZN7rocprim17ROCPRIM_400000_NS6detail17trampoline_kernelINS0_14default_configENS1_27scan_by_key_config_selectorIiiEEZZNS1_16scan_by_key_implILNS1_25lookback_scan_determinismE0ELb1ES3_N6thrust23THRUST_200600_302600_NS6detail15normal_iteratorINS9_10device_ptrIiEEEESE_SE_iNS9_4plusIvEE19head_flag_predicateIiEiEE10hipError_tPvRmT2_T3_T4_T5_mT6_T7_P12ihipStream_tbENKUlT_T0_E_clISt17integral_constantIbLb1EESY_IbLb0EEEEDaSU_SV_EUlSU_E_NS1_11comp_targetILNS1_3genE10ELNS1_11target_archE1201ELNS1_3gpuE5ELNS1_3repE0EEENS1_30default_config_static_selectorELNS0_4arch9wavefront6targetE1EEEvT1_,"axG",@progbits,_ZN7rocprim17ROCPRIM_400000_NS6detail17trampoline_kernelINS0_14default_configENS1_27scan_by_key_config_selectorIiiEEZZNS1_16scan_by_key_implILNS1_25lookback_scan_determinismE0ELb1ES3_N6thrust23THRUST_200600_302600_NS6detail15normal_iteratorINS9_10device_ptrIiEEEESE_SE_iNS9_4plusIvEE19head_flag_predicateIiEiEE10hipError_tPvRmT2_T3_T4_T5_mT6_T7_P12ihipStream_tbENKUlT_T0_E_clISt17integral_constantIbLb1EESY_IbLb0EEEEDaSU_SV_EUlSU_E_NS1_11comp_targetILNS1_3genE10ELNS1_11target_archE1201ELNS1_3gpuE5ELNS1_3repE0EEENS1_30default_config_static_selectorELNS0_4arch9wavefront6targetE1EEEvT1_,comdat
	.protected	_ZN7rocprim17ROCPRIM_400000_NS6detail17trampoline_kernelINS0_14default_configENS1_27scan_by_key_config_selectorIiiEEZZNS1_16scan_by_key_implILNS1_25lookback_scan_determinismE0ELb1ES3_N6thrust23THRUST_200600_302600_NS6detail15normal_iteratorINS9_10device_ptrIiEEEESE_SE_iNS9_4plusIvEE19head_flag_predicateIiEiEE10hipError_tPvRmT2_T3_T4_T5_mT6_T7_P12ihipStream_tbENKUlT_T0_E_clISt17integral_constantIbLb1EESY_IbLb0EEEEDaSU_SV_EUlSU_E_NS1_11comp_targetILNS1_3genE10ELNS1_11target_archE1201ELNS1_3gpuE5ELNS1_3repE0EEENS1_30default_config_static_selectorELNS0_4arch9wavefront6targetE1EEEvT1_ ; -- Begin function _ZN7rocprim17ROCPRIM_400000_NS6detail17trampoline_kernelINS0_14default_configENS1_27scan_by_key_config_selectorIiiEEZZNS1_16scan_by_key_implILNS1_25lookback_scan_determinismE0ELb1ES3_N6thrust23THRUST_200600_302600_NS6detail15normal_iteratorINS9_10device_ptrIiEEEESE_SE_iNS9_4plusIvEE19head_flag_predicateIiEiEE10hipError_tPvRmT2_T3_T4_T5_mT6_T7_P12ihipStream_tbENKUlT_T0_E_clISt17integral_constantIbLb1EESY_IbLb0EEEEDaSU_SV_EUlSU_E_NS1_11comp_targetILNS1_3genE10ELNS1_11target_archE1201ELNS1_3gpuE5ELNS1_3repE0EEENS1_30default_config_static_selectorELNS0_4arch9wavefront6targetE1EEEvT1_
	.globl	_ZN7rocprim17ROCPRIM_400000_NS6detail17trampoline_kernelINS0_14default_configENS1_27scan_by_key_config_selectorIiiEEZZNS1_16scan_by_key_implILNS1_25lookback_scan_determinismE0ELb1ES3_N6thrust23THRUST_200600_302600_NS6detail15normal_iteratorINS9_10device_ptrIiEEEESE_SE_iNS9_4plusIvEE19head_flag_predicateIiEiEE10hipError_tPvRmT2_T3_T4_T5_mT6_T7_P12ihipStream_tbENKUlT_T0_E_clISt17integral_constantIbLb1EESY_IbLb0EEEEDaSU_SV_EUlSU_E_NS1_11comp_targetILNS1_3genE10ELNS1_11target_archE1201ELNS1_3gpuE5ELNS1_3repE0EEENS1_30default_config_static_selectorELNS0_4arch9wavefront6targetE1EEEvT1_
	.p2align	8
	.type	_ZN7rocprim17ROCPRIM_400000_NS6detail17trampoline_kernelINS0_14default_configENS1_27scan_by_key_config_selectorIiiEEZZNS1_16scan_by_key_implILNS1_25lookback_scan_determinismE0ELb1ES3_N6thrust23THRUST_200600_302600_NS6detail15normal_iteratorINS9_10device_ptrIiEEEESE_SE_iNS9_4plusIvEE19head_flag_predicateIiEiEE10hipError_tPvRmT2_T3_T4_T5_mT6_T7_P12ihipStream_tbENKUlT_T0_E_clISt17integral_constantIbLb1EESY_IbLb0EEEEDaSU_SV_EUlSU_E_NS1_11comp_targetILNS1_3genE10ELNS1_11target_archE1201ELNS1_3gpuE5ELNS1_3repE0EEENS1_30default_config_static_selectorELNS0_4arch9wavefront6targetE1EEEvT1_,@function
_ZN7rocprim17ROCPRIM_400000_NS6detail17trampoline_kernelINS0_14default_configENS1_27scan_by_key_config_selectorIiiEEZZNS1_16scan_by_key_implILNS1_25lookback_scan_determinismE0ELb1ES3_N6thrust23THRUST_200600_302600_NS6detail15normal_iteratorINS9_10device_ptrIiEEEESE_SE_iNS9_4plusIvEE19head_flag_predicateIiEiEE10hipError_tPvRmT2_T3_T4_T5_mT6_T7_P12ihipStream_tbENKUlT_T0_E_clISt17integral_constantIbLb1EESY_IbLb0EEEEDaSU_SV_EUlSU_E_NS1_11comp_targetILNS1_3genE10ELNS1_11target_archE1201ELNS1_3gpuE5ELNS1_3repE0EEENS1_30default_config_static_selectorELNS0_4arch9wavefront6targetE1EEEvT1_: ; @_ZN7rocprim17ROCPRIM_400000_NS6detail17trampoline_kernelINS0_14default_configENS1_27scan_by_key_config_selectorIiiEEZZNS1_16scan_by_key_implILNS1_25lookback_scan_determinismE0ELb1ES3_N6thrust23THRUST_200600_302600_NS6detail15normal_iteratorINS9_10device_ptrIiEEEESE_SE_iNS9_4plusIvEE19head_flag_predicateIiEiEE10hipError_tPvRmT2_T3_T4_T5_mT6_T7_P12ihipStream_tbENKUlT_T0_E_clISt17integral_constantIbLb1EESY_IbLb0EEEEDaSU_SV_EUlSU_E_NS1_11comp_targetILNS1_3genE10ELNS1_11target_archE1201ELNS1_3gpuE5ELNS1_3repE0EEENS1_30default_config_static_selectorELNS0_4arch9wavefront6targetE1EEEvT1_
; %bb.0:
	.section	.rodata,"a",@progbits
	.p2align	6, 0x0
	.amdhsa_kernel _ZN7rocprim17ROCPRIM_400000_NS6detail17trampoline_kernelINS0_14default_configENS1_27scan_by_key_config_selectorIiiEEZZNS1_16scan_by_key_implILNS1_25lookback_scan_determinismE0ELb1ES3_N6thrust23THRUST_200600_302600_NS6detail15normal_iteratorINS9_10device_ptrIiEEEESE_SE_iNS9_4plusIvEE19head_flag_predicateIiEiEE10hipError_tPvRmT2_T3_T4_T5_mT6_T7_P12ihipStream_tbENKUlT_T0_E_clISt17integral_constantIbLb1EESY_IbLb0EEEEDaSU_SV_EUlSU_E_NS1_11comp_targetILNS1_3genE10ELNS1_11target_archE1201ELNS1_3gpuE5ELNS1_3repE0EEENS1_30default_config_static_selectorELNS0_4arch9wavefront6targetE1EEEvT1_
		.amdhsa_group_segment_fixed_size 0
		.amdhsa_private_segment_fixed_size 0
		.amdhsa_kernarg_size 112
		.amdhsa_user_sgpr_count 6
		.amdhsa_user_sgpr_private_segment_buffer 1
		.amdhsa_user_sgpr_dispatch_ptr 0
		.amdhsa_user_sgpr_queue_ptr 0
		.amdhsa_user_sgpr_kernarg_segment_ptr 1
		.amdhsa_user_sgpr_dispatch_id 0
		.amdhsa_user_sgpr_flat_scratch_init 0
		.amdhsa_user_sgpr_kernarg_preload_length 0
		.amdhsa_user_sgpr_kernarg_preload_offset 0
		.amdhsa_user_sgpr_private_segment_size 0
		.amdhsa_uses_dynamic_stack 0
		.amdhsa_system_sgpr_private_segment_wavefront_offset 0
		.amdhsa_system_sgpr_workgroup_id_x 1
		.amdhsa_system_sgpr_workgroup_id_y 0
		.amdhsa_system_sgpr_workgroup_id_z 0
		.amdhsa_system_sgpr_workgroup_info 0
		.amdhsa_system_vgpr_workitem_id 0
		.amdhsa_next_free_vgpr 1
		.amdhsa_next_free_sgpr 0
		.amdhsa_accum_offset 4
		.amdhsa_reserve_vcc 0
		.amdhsa_reserve_flat_scratch 0
		.amdhsa_float_round_mode_32 0
		.amdhsa_float_round_mode_16_64 0
		.amdhsa_float_denorm_mode_32 3
		.amdhsa_float_denorm_mode_16_64 3
		.amdhsa_dx10_clamp 1
		.amdhsa_ieee_mode 1
		.amdhsa_fp16_overflow 0
		.amdhsa_tg_split 0
		.amdhsa_exception_fp_ieee_invalid_op 0
		.amdhsa_exception_fp_denorm_src 0
		.amdhsa_exception_fp_ieee_div_zero 0
		.amdhsa_exception_fp_ieee_overflow 0
		.amdhsa_exception_fp_ieee_underflow 0
		.amdhsa_exception_fp_ieee_inexact 0
		.amdhsa_exception_int_div_zero 0
	.end_amdhsa_kernel
	.section	.text._ZN7rocprim17ROCPRIM_400000_NS6detail17trampoline_kernelINS0_14default_configENS1_27scan_by_key_config_selectorIiiEEZZNS1_16scan_by_key_implILNS1_25lookback_scan_determinismE0ELb1ES3_N6thrust23THRUST_200600_302600_NS6detail15normal_iteratorINS9_10device_ptrIiEEEESE_SE_iNS9_4plusIvEE19head_flag_predicateIiEiEE10hipError_tPvRmT2_T3_T4_T5_mT6_T7_P12ihipStream_tbENKUlT_T0_E_clISt17integral_constantIbLb1EESY_IbLb0EEEEDaSU_SV_EUlSU_E_NS1_11comp_targetILNS1_3genE10ELNS1_11target_archE1201ELNS1_3gpuE5ELNS1_3repE0EEENS1_30default_config_static_selectorELNS0_4arch9wavefront6targetE1EEEvT1_,"axG",@progbits,_ZN7rocprim17ROCPRIM_400000_NS6detail17trampoline_kernelINS0_14default_configENS1_27scan_by_key_config_selectorIiiEEZZNS1_16scan_by_key_implILNS1_25lookback_scan_determinismE0ELb1ES3_N6thrust23THRUST_200600_302600_NS6detail15normal_iteratorINS9_10device_ptrIiEEEESE_SE_iNS9_4plusIvEE19head_flag_predicateIiEiEE10hipError_tPvRmT2_T3_T4_T5_mT6_T7_P12ihipStream_tbENKUlT_T0_E_clISt17integral_constantIbLb1EESY_IbLb0EEEEDaSU_SV_EUlSU_E_NS1_11comp_targetILNS1_3genE10ELNS1_11target_archE1201ELNS1_3gpuE5ELNS1_3repE0EEENS1_30default_config_static_selectorELNS0_4arch9wavefront6targetE1EEEvT1_,comdat
.Lfunc_end136:
	.size	_ZN7rocprim17ROCPRIM_400000_NS6detail17trampoline_kernelINS0_14default_configENS1_27scan_by_key_config_selectorIiiEEZZNS1_16scan_by_key_implILNS1_25lookback_scan_determinismE0ELb1ES3_N6thrust23THRUST_200600_302600_NS6detail15normal_iteratorINS9_10device_ptrIiEEEESE_SE_iNS9_4plusIvEE19head_flag_predicateIiEiEE10hipError_tPvRmT2_T3_T4_T5_mT6_T7_P12ihipStream_tbENKUlT_T0_E_clISt17integral_constantIbLb1EESY_IbLb0EEEEDaSU_SV_EUlSU_E_NS1_11comp_targetILNS1_3genE10ELNS1_11target_archE1201ELNS1_3gpuE5ELNS1_3repE0EEENS1_30default_config_static_selectorELNS0_4arch9wavefront6targetE1EEEvT1_, .Lfunc_end136-_ZN7rocprim17ROCPRIM_400000_NS6detail17trampoline_kernelINS0_14default_configENS1_27scan_by_key_config_selectorIiiEEZZNS1_16scan_by_key_implILNS1_25lookback_scan_determinismE0ELb1ES3_N6thrust23THRUST_200600_302600_NS6detail15normal_iteratorINS9_10device_ptrIiEEEESE_SE_iNS9_4plusIvEE19head_flag_predicateIiEiEE10hipError_tPvRmT2_T3_T4_T5_mT6_T7_P12ihipStream_tbENKUlT_T0_E_clISt17integral_constantIbLb1EESY_IbLb0EEEEDaSU_SV_EUlSU_E_NS1_11comp_targetILNS1_3genE10ELNS1_11target_archE1201ELNS1_3gpuE5ELNS1_3repE0EEENS1_30default_config_static_selectorELNS0_4arch9wavefront6targetE1EEEvT1_
                                        ; -- End function
	.section	.AMDGPU.csdata,"",@progbits
; Kernel info:
; codeLenInByte = 0
; NumSgprs: 4
; NumVgprs: 0
; NumAgprs: 0
; TotalNumVgprs: 0
; ScratchSize: 0
; MemoryBound: 0
; FloatMode: 240
; IeeeMode: 1
; LDSByteSize: 0 bytes/workgroup (compile time only)
; SGPRBlocks: 0
; VGPRBlocks: 0
; NumSGPRsForWavesPerEU: 4
; NumVGPRsForWavesPerEU: 1
; AccumOffset: 4
; Occupancy: 8
; WaveLimiterHint : 0
; COMPUTE_PGM_RSRC2:SCRATCH_EN: 0
; COMPUTE_PGM_RSRC2:USER_SGPR: 6
; COMPUTE_PGM_RSRC2:TRAP_HANDLER: 0
; COMPUTE_PGM_RSRC2:TGID_X_EN: 1
; COMPUTE_PGM_RSRC2:TGID_Y_EN: 0
; COMPUTE_PGM_RSRC2:TGID_Z_EN: 0
; COMPUTE_PGM_RSRC2:TIDIG_COMP_CNT: 0
; COMPUTE_PGM_RSRC3_GFX90A:ACCUM_OFFSET: 0
; COMPUTE_PGM_RSRC3_GFX90A:TG_SPLIT: 0
	.section	.text._ZN7rocprim17ROCPRIM_400000_NS6detail17trampoline_kernelINS0_14default_configENS1_27scan_by_key_config_selectorIiiEEZZNS1_16scan_by_key_implILNS1_25lookback_scan_determinismE0ELb1ES3_N6thrust23THRUST_200600_302600_NS6detail15normal_iteratorINS9_10device_ptrIiEEEESE_SE_iNS9_4plusIvEE19head_flag_predicateIiEiEE10hipError_tPvRmT2_T3_T4_T5_mT6_T7_P12ihipStream_tbENKUlT_T0_E_clISt17integral_constantIbLb1EESY_IbLb0EEEEDaSU_SV_EUlSU_E_NS1_11comp_targetILNS1_3genE5ELNS1_11target_archE942ELNS1_3gpuE9ELNS1_3repE0EEENS1_30default_config_static_selectorELNS0_4arch9wavefront6targetE1EEEvT1_,"axG",@progbits,_ZN7rocprim17ROCPRIM_400000_NS6detail17trampoline_kernelINS0_14default_configENS1_27scan_by_key_config_selectorIiiEEZZNS1_16scan_by_key_implILNS1_25lookback_scan_determinismE0ELb1ES3_N6thrust23THRUST_200600_302600_NS6detail15normal_iteratorINS9_10device_ptrIiEEEESE_SE_iNS9_4plusIvEE19head_flag_predicateIiEiEE10hipError_tPvRmT2_T3_T4_T5_mT6_T7_P12ihipStream_tbENKUlT_T0_E_clISt17integral_constantIbLb1EESY_IbLb0EEEEDaSU_SV_EUlSU_E_NS1_11comp_targetILNS1_3genE5ELNS1_11target_archE942ELNS1_3gpuE9ELNS1_3repE0EEENS1_30default_config_static_selectorELNS0_4arch9wavefront6targetE1EEEvT1_,comdat
	.protected	_ZN7rocprim17ROCPRIM_400000_NS6detail17trampoline_kernelINS0_14default_configENS1_27scan_by_key_config_selectorIiiEEZZNS1_16scan_by_key_implILNS1_25lookback_scan_determinismE0ELb1ES3_N6thrust23THRUST_200600_302600_NS6detail15normal_iteratorINS9_10device_ptrIiEEEESE_SE_iNS9_4plusIvEE19head_flag_predicateIiEiEE10hipError_tPvRmT2_T3_T4_T5_mT6_T7_P12ihipStream_tbENKUlT_T0_E_clISt17integral_constantIbLb1EESY_IbLb0EEEEDaSU_SV_EUlSU_E_NS1_11comp_targetILNS1_3genE5ELNS1_11target_archE942ELNS1_3gpuE9ELNS1_3repE0EEENS1_30default_config_static_selectorELNS0_4arch9wavefront6targetE1EEEvT1_ ; -- Begin function _ZN7rocprim17ROCPRIM_400000_NS6detail17trampoline_kernelINS0_14default_configENS1_27scan_by_key_config_selectorIiiEEZZNS1_16scan_by_key_implILNS1_25lookback_scan_determinismE0ELb1ES3_N6thrust23THRUST_200600_302600_NS6detail15normal_iteratorINS9_10device_ptrIiEEEESE_SE_iNS9_4plusIvEE19head_flag_predicateIiEiEE10hipError_tPvRmT2_T3_T4_T5_mT6_T7_P12ihipStream_tbENKUlT_T0_E_clISt17integral_constantIbLb1EESY_IbLb0EEEEDaSU_SV_EUlSU_E_NS1_11comp_targetILNS1_3genE5ELNS1_11target_archE942ELNS1_3gpuE9ELNS1_3repE0EEENS1_30default_config_static_selectorELNS0_4arch9wavefront6targetE1EEEvT1_
	.globl	_ZN7rocprim17ROCPRIM_400000_NS6detail17trampoline_kernelINS0_14default_configENS1_27scan_by_key_config_selectorIiiEEZZNS1_16scan_by_key_implILNS1_25lookback_scan_determinismE0ELb1ES3_N6thrust23THRUST_200600_302600_NS6detail15normal_iteratorINS9_10device_ptrIiEEEESE_SE_iNS9_4plusIvEE19head_flag_predicateIiEiEE10hipError_tPvRmT2_T3_T4_T5_mT6_T7_P12ihipStream_tbENKUlT_T0_E_clISt17integral_constantIbLb1EESY_IbLb0EEEEDaSU_SV_EUlSU_E_NS1_11comp_targetILNS1_3genE5ELNS1_11target_archE942ELNS1_3gpuE9ELNS1_3repE0EEENS1_30default_config_static_selectorELNS0_4arch9wavefront6targetE1EEEvT1_
	.p2align	8
	.type	_ZN7rocprim17ROCPRIM_400000_NS6detail17trampoline_kernelINS0_14default_configENS1_27scan_by_key_config_selectorIiiEEZZNS1_16scan_by_key_implILNS1_25lookback_scan_determinismE0ELb1ES3_N6thrust23THRUST_200600_302600_NS6detail15normal_iteratorINS9_10device_ptrIiEEEESE_SE_iNS9_4plusIvEE19head_flag_predicateIiEiEE10hipError_tPvRmT2_T3_T4_T5_mT6_T7_P12ihipStream_tbENKUlT_T0_E_clISt17integral_constantIbLb1EESY_IbLb0EEEEDaSU_SV_EUlSU_E_NS1_11comp_targetILNS1_3genE5ELNS1_11target_archE942ELNS1_3gpuE9ELNS1_3repE0EEENS1_30default_config_static_selectorELNS0_4arch9wavefront6targetE1EEEvT1_,@function
_ZN7rocprim17ROCPRIM_400000_NS6detail17trampoline_kernelINS0_14default_configENS1_27scan_by_key_config_selectorIiiEEZZNS1_16scan_by_key_implILNS1_25lookback_scan_determinismE0ELb1ES3_N6thrust23THRUST_200600_302600_NS6detail15normal_iteratorINS9_10device_ptrIiEEEESE_SE_iNS9_4plusIvEE19head_flag_predicateIiEiEE10hipError_tPvRmT2_T3_T4_T5_mT6_T7_P12ihipStream_tbENKUlT_T0_E_clISt17integral_constantIbLb1EESY_IbLb0EEEEDaSU_SV_EUlSU_E_NS1_11comp_targetILNS1_3genE5ELNS1_11target_archE942ELNS1_3gpuE9ELNS1_3repE0EEENS1_30default_config_static_selectorELNS0_4arch9wavefront6targetE1EEEvT1_: ; @_ZN7rocprim17ROCPRIM_400000_NS6detail17trampoline_kernelINS0_14default_configENS1_27scan_by_key_config_selectorIiiEEZZNS1_16scan_by_key_implILNS1_25lookback_scan_determinismE0ELb1ES3_N6thrust23THRUST_200600_302600_NS6detail15normal_iteratorINS9_10device_ptrIiEEEESE_SE_iNS9_4plusIvEE19head_flag_predicateIiEiEE10hipError_tPvRmT2_T3_T4_T5_mT6_T7_P12ihipStream_tbENKUlT_T0_E_clISt17integral_constantIbLb1EESY_IbLb0EEEEDaSU_SV_EUlSU_E_NS1_11comp_targetILNS1_3genE5ELNS1_11target_archE942ELNS1_3gpuE9ELNS1_3repE0EEENS1_30default_config_static_selectorELNS0_4arch9wavefront6targetE1EEEvT1_
; %bb.0:
	.section	.rodata,"a",@progbits
	.p2align	6, 0x0
	.amdhsa_kernel _ZN7rocprim17ROCPRIM_400000_NS6detail17trampoline_kernelINS0_14default_configENS1_27scan_by_key_config_selectorIiiEEZZNS1_16scan_by_key_implILNS1_25lookback_scan_determinismE0ELb1ES3_N6thrust23THRUST_200600_302600_NS6detail15normal_iteratorINS9_10device_ptrIiEEEESE_SE_iNS9_4plusIvEE19head_flag_predicateIiEiEE10hipError_tPvRmT2_T3_T4_T5_mT6_T7_P12ihipStream_tbENKUlT_T0_E_clISt17integral_constantIbLb1EESY_IbLb0EEEEDaSU_SV_EUlSU_E_NS1_11comp_targetILNS1_3genE5ELNS1_11target_archE942ELNS1_3gpuE9ELNS1_3repE0EEENS1_30default_config_static_selectorELNS0_4arch9wavefront6targetE1EEEvT1_
		.amdhsa_group_segment_fixed_size 0
		.amdhsa_private_segment_fixed_size 0
		.amdhsa_kernarg_size 112
		.amdhsa_user_sgpr_count 6
		.amdhsa_user_sgpr_private_segment_buffer 1
		.amdhsa_user_sgpr_dispatch_ptr 0
		.amdhsa_user_sgpr_queue_ptr 0
		.amdhsa_user_sgpr_kernarg_segment_ptr 1
		.amdhsa_user_sgpr_dispatch_id 0
		.amdhsa_user_sgpr_flat_scratch_init 0
		.amdhsa_user_sgpr_kernarg_preload_length 0
		.amdhsa_user_sgpr_kernarg_preload_offset 0
		.amdhsa_user_sgpr_private_segment_size 0
		.amdhsa_uses_dynamic_stack 0
		.amdhsa_system_sgpr_private_segment_wavefront_offset 0
		.amdhsa_system_sgpr_workgroup_id_x 1
		.amdhsa_system_sgpr_workgroup_id_y 0
		.amdhsa_system_sgpr_workgroup_id_z 0
		.amdhsa_system_sgpr_workgroup_info 0
		.amdhsa_system_vgpr_workitem_id 0
		.amdhsa_next_free_vgpr 1
		.amdhsa_next_free_sgpr 0
		.amdhsa_accum_offset 4
		.amdhsa_reserve_vcc 0
		.amdhsa_reserve_flat_scratch 0
		.amdhsa_float_round_mode_32 0
		.amdhsa_float_round_mode_16_64 0
		.amdhsa_float_denorm_mode_32 3
		.amdhsa_float_denorm_mode_16_64 3
		.amdhsa_dx10_clamp 1
		.amdhsa_ieee_mode 1
		.amdhsa_fp16_overflow 0
		.amdhsa_tg_split 0
		.amdhsa_exception_fp_ieee_invalid_op 0
		.amdhsa_exception_fp_denorm_src 0
		.amdhsa_exception_fp_ieee_div_zero 0
		.amdhsa_exception_fp_ieee_overflow 0
		.amdhsa_exception_fp_ieee_underflow 0
		.amdhsa_exception_fp_ieee_inexact 0
		.amdhsa_exception_int_div_zero 0
	.end_amdhsa_kernel
	.section	.text._ZN7rocprim17ROCPRIM_400000_NS6detail17trampoline_kernelINS0_14default_configENS1_27scan_by_key_config_selectorIiiEEZZNS1_16scan_by_key_implILNS1_25lookback_scan_determinismE0ELb1ES3_N6thrust23THRUST_200600_302600_NS6detail15normal_iteratorINS9_10device_ptrIiEEEESE_SE_iNS9_4plusIvEE19head_flag_predicateIiEiEE10hipError_tPvRmT2_T3_T4_T5_mT6_T7_P12ihipStream_tbENKUlT_T0_E_clISt17integral_constantIbLb1EESY_IbLb0EEEEDaSU_SV_EUlSU_E_NS1_11comp_targetILNS1_3genE5ELNS1_11target_archE942ELNS1_3gpuE9ELNS1_3repE0EEENS1_30default_config_static_selectorELNS0_4arch9wavefront6targetE1EEEvT1_,"axG",@progbits,_ZN7rocprim17ROCPRIM_400000_NS6detail17trampoline_kernelINS0_14default_configENS1_27scan_by_key_config_selectorIiiEEZZNS1_16scan_by_key_implILNS1_25lookback_scan_determinismE0ELb1ES3_N6thrust23THRUST_200600_302600_NS6detail15normal_iteratorINS9_10device_ptrIiEEEESE_SE_iNS9_4plusIvEE19head_flag_predicateIiEiEE10hipError_tPvRmT2_T3_T4_T5_mT6_T7_P12ihipStream_tbENKUlT_T0_E_clISt17integral_constantIbLb1EESY_IbLb0EEEEDaSU_SV_EUlSU_E_NS1_11comp_targetILNS1_3genE5ELNS1_11target_archE942ELNS1_3gpuE9ELNS1_3repE0EEENS1_30default_config_static_selectorELNS0_4arch9wavefront6targetE1EEEvT1_,comdat
.Lfunc_end137:
	.size	_ZN7rocprim17ROCPRIM_400000_NS6detail17trampoline_kernelINS0_14default_configENS1_27scan_by_key_config_selectorIiiEEZZNS1_16scan_by_key_implILNS1_25lookback_scan_determinismE0ELb1ES3_N6thrust23THRUST_200600_302600_NS6detail15normal_iteratorINS9_10device_ptrIiEEEESE_SE_iNS9_4plusIvEE19head_flag_predicateIiEiEE10hipError_tPvRmT2_T3_T4_T5_mT6_T7_P12ihipStream_tbENKUlT_T0_E_clISt17integral_constantIbLb1EESY_IbLb0EEEEDaSU_SV_EUlSU_E_NS1_11comp_targetILNS1_3genE5ELNS1_11target_archE942ELNS1_3gpuE9ELNS1_3repE0EEENS1_30default_config_static_selectorELNS0_4arch9wavefront6targetE1EEEvT1_, .Lfunc_end137-_ZN7rocprim17ROCPRIM_400000_NS6detail17trampoline_kernelINS0_14default_configENS1_27scan_by_key_config_selectorIiiEEZZNS1_16scan_by_key_implILNS1_25lookback_scan_determinismE0ELb1ES3_N6thrust23THRUST_200600_302600_NS6detail15normal_iteratorINS9_10device_ptrIiEEEESE_SE_iNS9_4plusIvEE19head_flag_predicateIiEiEE10hipError_tPvRmT2_T3_T4_T5_mT6_T7_P12ihipStream_tbENKUlT_T0_E_clISt17integral_constantIbLb1EESY_IbLb0EEEEDaSU_SV_EUlSU_E_NS1_11comp_targetILNS1_3genE5ELNS1_11target_archE942ELNS1_3gpuE9ELNS1_3repE0EEENS1_30default_config_static_selectorELNS0_4arch9wavefront6targetE1EEEvT1_
                                        ; -- End function
	.section	.AMDGPU.csdata,"",@progbits
; Kernel info:
; codeLenInByte = 0
; NumSgprs: 4
; NumVgprs: 0
; NumAgprs: 0
; TotalNumVgprs: 0
; ScratchSize: 0
; MemoryBound: 0
; FloatMode: 240
; IeeeMode: 1
; LDSByteSize: 0 bytes/workgroup (compile time only)
; SGPRBlocks: 0
; VGPRBlocks: 0
; NumSGPRsForWavesPerEU: 4
; NumVGPRsForWavesPerEU: 1
; AccumOffset: 4
; Occupancy: 8
; WaveLimiterHint : 0
; COMPUTE_PGM_RSRC2:SCRATCH_EN: 0
; COMPUTE_PGM_RSRC2:USER_SGPR: 6
; COMPUTE_PGM_RSRC2:TRAP_HANDLER: 0
; COMPUTE_PGM_RSRC2:TGID_X_EN: 1
; COMPUTE_PGM_RSRC2:TGID_Y_EN: 0
; COMPUTE_PGM_RSRC2:TGID_Z_EN: 0
; COMPUTE_PGM_RSRC2:TIDIG_COMP_CNT: 0
; COMPUTE_PGM_RSRC3_GFX90A:ACCUM_OFFSET: 0
; COMPUTE_PGM_RSRC3_GFX90A:TG_SPLIT: 0
	.section	.text._ZN7rocprim17ROCPRIM_400000_NS6detail17trampoline_kernelINS0_14default_configENS1_27scan_by_key_config_selectorIiiEEZZNS1_16scan_by_key_implILNS1_25lookback_scan_determinismE0ELb1ES3_N6thrust23THRUST_200600_302600_NS6detail15normal_iteratorINS9_10device_ptrIiEEEESE_SE_iNS9_4plusIvEE19head_flag_predicateIiEiEE10hipError_tPvRmT2_T3_T4_T5_mT6_T7_P12ihipStream_tbENKUlT_T0_E_clISt17integral_constantIbLb1EESY_IbLb0EEEEDaSU_SV_EUlSU_E_NS1_11comp_targetILNS1_3genE4ELNS1_11target_archE910ELNS1_3gpuE8ELNS1_3repE0EEENS1_30default_config_static_selectorELNS0_4arch9wavefront6targetE1EEEvT1_,"axG",@progbits,_ZN7rocprim17ROCPRIM_400000_NS6detail17trampoline_kernelINS0_14default_configENS1_27scan_by_key_config_selectorIiiEEZZNS1_16scan_by_key_implILNS1_25lookback_scan_determinismE0ELb1ES3_N6thrust23THRUST_200600_302600_NS6detail15normal_iteratorINS9_10device_ptrIiEEEESE_SE_iNS9_4plusIvEE19head_flag_predicateIiEiEE10hipError_tPvRmT2_T3_T4_T5_mT6_T7_P12ihipStream_tbENKUlT_T0_E_clISt17integral_constantIbLb1EESY_IbLb0EEEEDaSU_SV_EUlSU_E_NS1_11comp_targetILNS1_3genE4ELNS1_11target_archE910ELNS1_3gpuE8ELNS1_3repE0EEENS1_30default_config_static_selectorELNS0_4arch9wavefront6targetE1EEEvT1_,comdat
	.protected	_ZN7rocprim17ROCPRIM_400000_NS6detail17trampoline_kernelINS0_14default_configENS1_27scan_by_key_config_selectorIiiEEZZNS1_16scan_by_key_implILNS1_25lookback_scan_determinismE0ELb1ES3_N6thrust23THRUST_200600_302600_NS6detail15normal_iteratorINS9_10device_ptrIiEEEESE_SE_iNS9_4plusIvEE19head_flag_predicateIiEiEE10hipError_tPvRmT2_T3_T4_T5_mT6_T7_P12ihipStream_tbENKUlT_T0_E_clISt17integral_constantIbLb1EESY_IbLb0EEEEDaSU_SV_EUlSU_E_NS1_11comp_targetILNS1_3genE4ELNS1_11target_archE910ELNS1_3gpuE8ELNS1_3repE0EEENS1_30default_config_static_selectorELNS0_4arch9wavefront6targetE1EEEvT1_ ; -- Begin function _ZN7rocprim17ROCPRIM_400000_NS6detail17trampoline_kernelINS0_14default_configENS1_27scan_by_key_config_selectorIiiEEZZNS1_16scan_by_key_implILNS1_25lookback_scan_determinismE0ELb1ES3_N6thrust23THRUST_200600_302600_NS6detail15normal_iteratorINS9_10device_ptrIiEEEESE_SE_iNS9_4plusIvEE19head_flag_predicateIiEiEE10hipError_tPvRmT2_T3_T4_T5_mT6_T7_P12ihipStream_tbENKUlT_T0_E_clISt17integral_constantIbLb1EESY_IbLb0EEEEDaSU_SV_EUlSU_E_NS1_11comp_targetILNS1_3genE4ELNS1_11target_archE910ELNS1_3gpuE8ELNS1_3repE0EEENS1_30default_config_static_selectorELNS0_4arch9wavefront6targetE1EEEvT1_
	.globl	_ZN7rocprim17ROCPRIM_400000_NS6detail17trampoline_kernelINS0_14default_configENS1_27scan_by_key_config_selectorIiiEEZZNS1_16scan_by_key_implILNS1_25lookback_scan_determinismE0ELb1ES3_N6thrust23THRUST_200600_302600_NS6detail15normal_iteratorINS9_10device_ptrIiEEEESE_SE_iNS9_4plusIvEE19head_flag_predicateIiEiEE10hipError_tPvRmT2_T3_T4_T5_mT6_T7_P12ihipStream_tbENKUlT_T0_E_clISt17integral_constantIbLb1EESY_IbLb0EEEEDaSU_SV_EUlSU_E_NS1_11comp_targetILNS1_3genE4ELNS1_11target_archE910ELNS1_3gpuE8ELNS1_3repE0EEENS1_30default_config_static_selectorELNS0_4arch9wavefront6targetE1EEEvT1_
	.p2align	8
	.type	_ZN7rocprim17ROCPRIM_400000_NS6detail17trampoline_kernelINS0_14default_configENS1_27scan_by_key_config_selectorIiiEEZZNS1_16scan_by_key_implILNS1_25lookback_scan_determinismE0ELb1ES3_N6thrust23THRUST_200600_302600_NS6detail15normal_iteratorINS9_10device_ptrIiEEEESE_SE_iNS9_4plusIvEE19head_flag_predicateIiEiEE10hipError_tPvRmT2_T3_T4_T5_mT6_T7_P12ihipStream_tbENKUlT_T0_E_clISt17integral_constantIbLb1EESY_IbLb0EEEEDaSU_SV_EUlSU_E_NS1_11comp_targetILNS1_3genE4ELNS1_11target_archE910ELNS1_3gpuE8ELNS1_3repE0EEENS1_30default_config_static_selectorELNS0_4arch9wavefront6targetE1EEEvT1_,@function
_ZN7rocprim17ROCPRIM_400000_NS6detail17trampoline_kernelINS0_14default_configENS1_27scan_by_key_config_selectorIiiEEZZNS1_16scan_by_key_implILNS1_25lookback_scan_determinismE0ELb1ES3_N6thrust23THRUST_200600_302600_NS6detail15normal_iteratorINS9_10device_ptrIiEEEESE_SE_iNS9_4plusIvEE19head_flag_predicateIiEiEE10hipError_tPvRmT2_T3_T4_T5_mT6_T7_P12ihipStream_tbENKUlT_T0_E_clISt17integral_constantIbLb1EESY_IbLb0EEEEDaSU_SV_EUlSU_E_NS1_11comp_targetILNS1_3genE4ELNS1_11target_archE910ELNS1_3gpuE8ELNS1_3repE0EEENS1_30default_config_static_selectorELNS0_4arch9wavefront6targetE1EEEvT1_: ; @_ZN7rocprim17ROCPRIM_400000_NS6detail17trampoline_kernelINS0_14default_configENS1_27scan_by_key_config_selectorIiiEEZZNS1_16scan_by_key_implILNS1_25lookback_scan_determinismE0ELb1ES3_N6thrust23THRUST_200600_302600_NS6detail15normal_iteratorINS9_10device_ptrIiEEEESE_SE_iNS9_4plusIvEE19head_flag_predicateIiEiEE10hipError_tPvRmT2_T3_T4_T5_mT6_T7_P12ihipStream_tbENKUlT_T0_E_clISt17integral_constantIbLb1EESY_IbLb0EEEEDaSU_SV_EUlSU_E_NS1_11comp_targetILNS1_3genE4ELNS1_11target_archE910ELNS1_3gpuE8ELNS1_3repE0EEENS1_30default_config_static_selectorELNS0_4arch9wavefront6targetE1EEEvT1_
; %bb.0:
	s_load_dwordx8 s[36:43], s[4:5], 0x0
	s_load_dword s56, s[4:5], 0x20
	s_load_dwordx4 s[44:47], s[4:5], 0x28
	s_load_dwordx2 s[52:53], s[4:5], 0x38
	s_load_dword s0, s[4:5], 0x40
	s_load_dwordx4 s[48:51], s[4:5], 0x48
	s_waitcnt lgkmcnt(0)
	s_lshl_b64 s[34:35], s[38:39], 2
	s_add_u32 s2, s36, s34
	s_addc_u32 s3, s37, s35
	s_add_u32 s4, s40, s34
	s_mul_i32 s1, s53, s0
	s_mul_hi_u32 s7, s52, s0
	s_addc_u32 s5, s41, s35
	s_add_i32 s8, s7, s1
	s_mul_i32 s9, s52, s0
	s_mul_i32 s0, s6, 0xe00
	s_mov_b32 s1, 0
	s_lshl_b64 s[36:37], s[0:1], 2
	s_add_u32 s38, s2, s36
	s_addc_u32 s39, s3, s37
	s_add_u32 s7, s4, s36
	s_addc_u32 s47, s5, s37
	;; [unrolled: 2-line block ×3, first 2 shown]
	s_add_u32 s4, s48, -1
	s_addc_u32 s5, s49, -1
	v_pk_mov_b32 v[2:3], s[4:5], s[4:5] op_sel:[0,1]
	v_cmp_ge_u64_e64 s[0:1], s[0:1], v[2:3]
	s_mov_b64 s[2:3], -1
	s_and_b64 vcc, exec, s[0:1]
	s_mul_i32 s33, s4, 0xfffff200
	s_barrier
	s_cbranch_vccz .LBB138_76
; %bb.1:
	v_pk_mov_b32 v[2:3], s[38:39], s[38:39] op_sel:[0,1]
	flat_load_dword v1, v[2:3]
	s_add_i32 s54, s33, s46
	v_cmp_gt_u32_e32 vcc, s54, v0
	s_waitcnt vmcnt(0) lgkmcnt(0)
	v_mov_b32_e32 v13, v1
	s_and_saveexec_b64 s[4:5], vcc
	s_cbranch_execz .LBB138_3
; %bb.2:
	v_lshlrev_b32_e32 v2, 2, v0
	v_mov_b32_e32 v3, s39
	v_add_co_u32_e64 v2, s[2:3], s38, v2
	v_addc_co_u32_e64 v3, s[2:3], 0, v3, s[2:3]
	flat_load_dword v13, v[2:3]
.LBB138_3:
	s_or_b64 exec, exec, s[4:5]
	v_or_b32_e32 v2, 0x100, v0
	v_cmp_gt_u32_e64 s[2:3], s54, v2
	v_mov_b32_e32 v14, v1
	s_and_saveexec_b64 s[8:9], s[2:3]
	s_cbranch_execz .LBB138_5
; %bb.4:
	v_lshlrev_b32_e32 v2, 2, v0
	v_mov_b32_e32 v3, s39
	v_add_co_u32_e64 v2, s[4:5], s38, v2
	v_addc_co_u32_e64 v3, s[4:5], 0, v3, s[4:5]
	flat_load_dword v14, v[2:3] offset:1024
.LBB138_5:
	s_or_b64 exec, exec, s[8:9]
	v_or_b32_e32 v2, 0x200, v0
	v_cmp_gt_u32_e64 s[4:5], s54, v2
	v_mov_b32_e32 v15, v1
	s_and_saveexec_b64 s[10:11], s[4:5]
	s_cbranch_execz .LBB138_7
; %bb.6:
	v_lshlrev_b32_e32 v2, 2, v0
	v_mov_b32_e32 v3, s39
	v_add_co_u32_e64 v2, s[8:9], s38, v2
	v_addc_co_u32_e64 v3, s[8:9], 0, v3, s[8:9]
	flat_load_dword v15, v[2:3] offset:2048
.LBB138_7:
	;; [unrolled: 13-line block ×3, first 2 shown]
	s_or_b64 exec, exec, s[10:11]
	v_or_b32_e32 v2, 0x400, v0
	v_cmp_gt_u32_e64 s[8:9], s54, v2
	v_mov_b32_e32 v17, v1
	s_and_saveexec_b64 s[12:13], s[8:9]
	s_cbranch_execz .LBB138_11
; %bb.10:
	v_lshlrev_b32_e32 v3, 2, v2
	v_mov_b32_e32 v5, s39
	v_add_co_u32_e64 v4, s[10:11], s38, v3
	v_addc_co_u32_e64 v5, s[10:11], 0, v5, s[10:11]
	flat_load_dword v17, v[4:5]
.LBB138_11:
	s_or_b64 exec, exec, s[12:13]
	v_or_b32_e32 v3, 0x500, v0
	v_cmp_gt_u32_e64 s[10:11], s54, v3
	v_mov_b32_e32 v18, v1
	s_and_saveexec_b64 s[14:15], s[10:11]
	s_cbranch_execz .LBB138_13
; %bb.12:
	v_lshlrev_b32_e32 v4, 2, v3
	v_mov_b32_e32 v5, s39
	v_add_co_u32_e64 v4, s[12:13], s38, v4
	v_addc_co_u32_e64 v5, s[12:13], 0, v5, s[12:13]
	flat_load_dword v18, v[4:5]
.LBB138_13:
	;; [unrolled: 13-line block ×9, first 2 shown]
	s_or_b64 exec, exec, s[30:31]
	v_or_b32_e32 v11, 0xd00, v0
	v_cmp_gt_u32_e64 s[26:27], s54, v11
	s_and_saveexec_b64 s[40:41], s[26:27]
	s_cbranch_execz .LBB138_29
; %bb.28:
	v_lshlrev_b32_e32 v1, 2, v11
	v_mov_b32_e32 v12, s39
	v_add_co_u32_e64 v26, s[30:31], s38, v1
	v_addc_co_u32_e64 v27, s[30:31], 0, v12, s[30:31]
	flat_load_dword v1, v[26:27]
.LBB138_29:
	s_or_b64 exec, exec, s[40:41]
	v_lshlrev_b32_e32 v12, 2, v0
	s_waitcnt vmcnt(0) lgkmcnt(0)
	ds_write2st64_b32 v12, v13, v14 offset1:4
	ds_write2st64_b32 v12, v15, v16 offset0:8 offset1:12
	ds_write2st64_b32 v12, v17, v18 offset0:16 offset1:20
	ds_write2st64_b32 v12, v19, v20 offset0:24 offset1:28
	ds_write2st64_b32 v12, v21, v22 offset0:32 offset1:36
	ds_write2st64_b32 v12, v23, v24 offset0:40 offset1:44
	ds_write2st64_b32 v12, v25, v1 offset0:48 offset1:52
	v_pk_mov_b32 v[14:15], s[38:39], s[38:39] op_sel:[0,1]
	s_waitcnt lgkmcnt(0)
	s_barrier
	flat_load_dword v1, v[14:15]
	v_mad_u32_u24 v42, v0, 52, v12
	s_movk_i32 s30, 0xffcc
	ds_read2_b64 v[34:37], v42 offset1:1
	ds_read2_b64 v[30:33], v42 offset0:2 offset1:3
	ds_read2_b64 v[26:29], v42 offset0:4 offset1:5
	ds_read_b64 v[40:41], v42 offset:48
	v_mad_i32_i24 v13, v0, s30, v42
	s_movk_i32 s30, 0xff
	v_cmp_ne_u32_e64 s[30:31], s30, v0
	s_waitcnt lgkmcnt(0)
	ds_write_b32 v13, v34 offset:15360
	s_waitcnt lgkmcnt(0)
	s_barrier
	s_and_saveexec_b64 s[40:41], s[30:31]
	s_cbranch_execz .LBB138_31
; %bb.30:
	s_waitcnt vmcnt(0)
	ds_read_b32 v1, v12 offset:15364
.LBB138_31:
	s_or_b64 exec, exec, s[40:41]
	s_waitcnt lgkmcnt(0)
	s_barrier
	s_waitcnt lgkmcnt(0)
                                        ; implicit-def: $vgpr13
	s_and_saveexec_b64 s[30:31], vcc
	s_cbranch_execz .LBB138_117
; %bb.32:
	v_mov_b32_e32 v13, s47
	v_add_co_u32_e32 v14, vcc, s7, v12
	v_addc_co_u32_e32 v15, vcc, 0, v13, vcc
	flat_load_dword v13, v[14:15]
	s_or_b64 exec, exec, s[30:31]
                                        ; implicit-def: $vgpr14
	s_and_saveexec_b64 s[30:31], s[2:3]
	s_cbranch_execnz .LBB138_118
.LBB138_33:
	s_or_b64 exec, exec, s[30:31]
                                        ; implicit-def: $vgpr15
	s_and_saveexec_b64 s[2:3], s[4:5]
	s_cbranch_execz .LBB138_119
.LBB138_34:
	v_mov_b32_e32 v15, s47
	v_add_co_u32_e32 v16, vcc, s7, v12
	v_addc_co_u32_e32 v17, vcc, 0, v15, vcc
	flat_load_dword v15, v[16:17] offset:2048
	s_or_b64 exec, exec, s[2:3]
                                        ; implicit-def: $vgpr16
	s_and_saveexec_b64 s[2:3], s[28:29]
	s_cbranch_execnz .LBB138_120
.LBB138_35:
	s_or_b64 exec, exec, s[2:3]
                                        ; implicit-def: $vgpr17
	s_and_saveexec_b64 s[2:3], s[8:9]
	s_cbranch_execz .LBB138_121
.LBB138_36:
	v_lshlrev_b32_e32 v2, 2, v2
	v_mov_b32_e32 v17, s47
	v_add_co_u32_e32 v18, vcc, s7, v2
	v_addc_co_u32_e32 v19, vcc, 0, v17, vcc
	flat_load_dword v17, v[18:19]
	s_or_b64 exec, exec, s[2:3]
                                        ; implicit-def: $vgpr2
	s_and_saveexec_b64 s[2:3], s[10:11]
	s_cbranch_execnz .LBB138_122
.LBB138_37:
	s_or_b64 exec, exec, s[2:3]
                                        ; implicit-def: $vgpr3
	s_and_saveexec_b64 s[2:3], s[12:13]
	s_cbranch_execz .LBB138_123
.LBB138_38:
	v_lshlrev_b32_e32 v3, 2, v4
	v_mov_b32_e32 v4, s47
	v_add_co_u32_e32 v18, vcc, s7, v3
	v_addc_co_u32_e32 v19, vcc, 0, v4, vcc
	flat_load_dword v3, v[18:19]
	s_or_b64 exec, exec, s[2:3]
                                        ; implicit-def: $vgpr4
	s_and_saveexec_b64 s[2:3], s[14:15]
	s_cbranch_execnz .LBB138_124
.LBB138_39:
	s_or_b64 exec, exec, s[2:3]
                                        ; implicit-def: $vgpr5
	s_and_saveexec_b64 s[2:3], s[16:17]
	s_cbranch_execz .LBB138_125
.LBB138_40:
	v_lshlrev_b32_e32 v5, 2, v6
	v_mov_b32_e32 v6, s47
	v_add_co_u32_e32 v18, vcc, s7, v5
	v_addc_co_u32_e32 v19, vcc, 0, v6, vcc
	flat_load_dword v5, v[18:19]
	s_or_b64 exec, exec, s[2:3]
                                        ; implicit-def: $vgpr6
	s_and_saveexec_b64 s[2:3], s[18:19]
	s_cbranch_execnz .LBB138_126
.LBB138_41:
	s_or_b64 exec, exec, s[2:3]
                                        ; implicit-def: $vgpr7
	s_and_saveexec_b64 s[2:3], s[20:21]
	s_cbranch_execz .LBB138_127
.LBB138_42:
	v_lshlrev_b32_e32 v7, 2, v8
	v_mov_b32_e32 v8, s47
	v_add_co_u32_e32 v18, vcc, s7, v7
	v_addc_co_u32_e32 v19, vcc, 0, v8, vcc
	flat_load_dword v7, v[18:19]
	s_or_b64 exec, exec, s[2:3]
                                        ; implicit-def: $vgpr8
	s_and_saveexec_b64 s[2:3], s[22:23]
	s_cbranch_execnz .LBB138_128
.LBB138_43:
	s_or_b64 exec, exec, s[2:3]
                                        ; implicit-def: $vgpr9
	s_and_saveexec_b64 s[2:3], s[24:25]
	s_cbranch_execz .LBB138_45
.LBB138_44:
	v_lshlrev_b32_e32 v9, 2, v10
	v_mov_b32_e32 v10, s47
	v_add_co_u32_e32 v18, vcc, s7, v9
	v_addc_co_u32_e32 v19, vcc, 0, v10, vcc
	flat_load_dword v9, v[18:19]
.LBB138_45:
	s_or_b64 exec, exec, s[2:3]
	v_mul_u32_u24_e32 v43, 14, v0
                                        ; implicit-def: $vgpr10
	s_and_saveexec_b64 s[2:3], s[26:27]
	s_cbranch_execz .LBB138_47
; %bb.46:
	v_lshlrev_b32_e32 v10, 2, v11
	v_mov_b32_e32 v11, s47
	v_add_co_u32_e32 v10, vcc, s7, v10
	v_addc_co_u32_e32 v11, vcc, 0, v11, vcc
	flat_load_dword v10, v[10:11]
.LBB138_47:
	s_or_b64 exec, exec, s[2:3]
	s_mov_b32 s8, 0
	s_mov_b32 s9, s8
	s_waitcnt vmcnt(0) lgkmcnt(0)
	ds_write2st64_b32 v12, v13, v14 offset1:4
	ds_write2st64_b32 v12, v15, v16 offset0:8 offset1:12
	ds_write2st64_b32 v12, v17, v2 offset0:16 offset1:20
	;; [unrolled: 1-line block ×6, first 2 shown]
	s_mov_b32 s10, s8
	s_mov_b32 s11, s8
	;; [unrolled: 1-line block ×6, first 2 shown]
	v_pk_mov_b32 v[2:3], s[8:9], s[8:9] op_sel:[0,1]
	v_pk_mov_b32 v[8:9], s[14:15], s[14:15] op_sel:[0,1]
	;; [unrolled: 1-line block ×6, first 2 shown]
	v_cmp_gt_u32_e32 vcc, s54, v43
	s_mov_b64 s[2:3], 0
	v_pk_mov_b32 v[38:39], 0, 0
	s_mov_b64 s[18:19], 0
	v_pk_mov_b32 v[14:15], v[6:7], v[6:7] op_sel:[0,1]
	v_pk_mov_b32 v[12:13], v[4:5], v[4:5] op_sel:[0,1]
	;; [unrolled: 1-line block ×6, first 2 shown]
	s_waitcnt lgkmcnt(0)
	s_barrier
	s_waitcnt lgkmcnt(0)
                                        ; implicit-def: $sgpr16_sgpr17
                                        ; implicit-def: $vgpr34
	s_and_saveexec_b64 s[4:5], vcc
	s_cbranch_execz .LBB138_75
; %bb.48:
	ds_read_b32 v2, v42
	v_mov_b32_e32 v4, s56
	v_cmp_eq_u32_e32 vcc, 0, v35
	v_or_b32_e32 v3, 1, v43
                                        ; implicit-def: $vgpr34
	s_waitcnt lgkmcnt(0)
	v_cndmask_b32_e32 v38, v4, v2, vcc
	v_cmp_ne_u32_e32 vcc, 0, v35
	v_cndmask_b32_e64 v39, 0, 1, vcc
	v_cmp_gt_u32_e32 vcc, s54, v3
	v_pk_mov_b32 v[2:3], s[8:9], s[8:9] op_sel:[0,1]
	v_pk_mov_b32 v[8:9], s[14:15], s[14:15] op_sel:[0,1]
	;; [unrolled: 1-line block ×12, first 2 shown]
                                        ; implicit-def: $sgpr8_sgpr9
	s_and_saveexec_b64 s[16:17], vcc
	s_cbranch_execz .LBB138_74
; %bb.49:
	ds_read2_b32 v[34:35], v42 offset0:1 offset1:2
	s_mov_b32 s8, 0
	v_mov_b32_e32 v3, s56
	v_cmp_eq_u32_e32 vcc, 0, v36
	s_mov_b32 s14, s8
	s_mov_b32 s15, s8
	v_add_u32_e32 v2, 2, v43
	s_waitcnt lgkmcnt(0)
	v_cndmask_b32_e32 v8, v3, v34, vcc
	v_cmp_ne_u32_e32 vcc, 0, v36
	s_mov_b32 s9, s8
	s_mov_b32 s10, s8
	;; [unrolled: 1-line block ×5, first 2 shown]
	v_pk_mov_b32 v[16:17], s[14:15], s[14:15] op_sel:[0,1]
	v_cndmask_b32_e64 v9, 0, 1, vcc
	v_cmp_gt_u32_e32 vcc, s54, v2
	v_mov_b32_e32 v2, 0
	v_pk_mov_b32 v[14:15], s[12:13], s[12:13] op_sel:[0,1]
	v_pk_mov_b32 v[12:13], s[10:11], s[10:11] op_sel:[0,1]
	;; [unrolled: 1-line block ×4, first 2 shown]
	v_mov_b32_e32 v3, v2
	v_mov_b32_e32 v4, v2
	;; [unrolled: 1-line block ×5, first 2 shown]
	s_mov_b64 s[20:21], 0
	v_pk_mov_b32 v[22:23], v[14:15], v[14:15] op_sel:[0,1]
	v_pk_mov_b32 v[20:21], v[12:13], v[12:13] op_sel:[0,1]
	v_pk_mov_b32 v[18:19], v[10:11], v[10:11] op_sel:[0,1]
                                        ; implicit-def: $sgpr24_sgpr25
                                        ; implicit-def: $vgpr34
	s_and_saveexec_b64 s[18:19], vcc
	s_cbranch_execz .LBB138_73
; %bb.50:
	v_mov_b32_e32 v4, s56
	v_cmp_eq_u32_e32 vcc, 0, v37
	v_pk_mov_b32 v[16:17], s[14:15], s[14:15] op_sel:[0,1]
	v_add_u32_e32 v3, 3, v43
	v_cndmask_b32_e32 v6, v4, v35, vcc
	v_cmp_ne_u32_e32 vcc, 0, v37
	v_pk_mov_b32 v[14:15], s[12:13], s[12:13] op_sel:[0,1]
	v_pk_mov_b32 v[12:13], s[10:11], s[10:11] op_sel:[0,1]
	;; [unrolled: 1-line block ×4, first 2 shown]
	v_cndmask_b32_e64 v7, 0, 1, vcc
	v_cmp_gt_u32_e32 vcc, s54, v3
	v_mov_b32_e32 v3, v2
	v_mov_b32_e32 v4, v2
	;; [unrolled: 1-line block ×3, first 2 shown]
	s_mov_b64 s[22:23], 0
	v_pk_mov_b32 v[22:23], v[14:15], v[14:15] op_sel:[0,1]
	v_pk_mov_b32 v[20:21], v[12:13], v[12:13] op_sel:[0,1]
	;; [unrolled: 1-line block ×3, first 2 shown]
                                        ; implicit-def: $sgpr8_sgpr9
                                        ; implicit-def: $vgpr34
	s_and_saveexec_b64 s[20:21], vcc
	s_cbranch_execz .LBB138_72
; %bb.51:
	ds_read2_b32 v[34:35], v42 offset0:3 offset1:4
	s_mov_b32 s8, 0
	s_mov_b32 s14, s8
	;; [unrolled: 1-line block ×3, first 2 shown]
	v_mov_b32_e32 v3, s56
	v_cmp_eq_u32_e32 vcc, 0, v30
	s_mov_b32 s9, s8
	s_mov_b32 s10, s8
	s_mov_b32 s11, s8
	s_mov_b32 s12, s8
	s_mov_b32 s13, s8
	v_pk_mov_b32 v[16:17], s[14:15], s[14:15] op_sel:[0,1]
	v_add_u32_e32 v2, 4, v43
	s_waitcnt lgkmcnt(0)
	v_cndmask_b32_e32 v4, v3, v34, vcc
	v_cmp_ne_u32_e32 vcc, 0, v30
	v_pk_mov_b32 v[14:15], s[12:13], s[12:13] op_sel:[0,1]
	v_pk_mov_b32 v[12:13], s[10:11], s[10:11] op_sel:[0,1]
	;; [unrolled: 1-line block ×4, first 2 shown]
	v_cndmask_b32_e64 v5, 0, 1, vcc
	v_cmp_gt_u32_e32 vcc, s54, v2
	v_mov_b32_e32 v2, s8
	v_mov_b32_e32 v3, s8
	s_mov_b64 s[24:25], 0
	v_pk_mov_b32 v[22:23], v[14:15], v[14:15] op_sel:[0,1]
	v_pk_mov_b32 v[20:21], v[12:13], v[12:13] op_sel:[0,1]
	;; [unrolled: 1-line block ×3, first 2 shown]
                                        ; implicit-def: $sgpr26_sgpr27
                                        ; implicit-def: $vgpr34
	s_and_saveexec_b64 s[22:23], vcc
	s_cbranch_execz .LBB138_71
; %bb.52:
	v_mov_b32_e32 v2, s56
	v_cmp_eq_u32_e32 vcc, 0, v31
	v_add_u32_e32 v10, 5, v43
	v_cndmask_b32_e32 v2, v2, v35, vcc
	v_cmp_ne_u32_e32 vcc, 0, v31
	v_cndmask_b32_e64 v3, 0, 1, vcc
	v_cmp_gt_u32_e32 vcc, s54, v10
	v_pk_mov_b32 v[16:17], s[14:15], s[14:15] op_sel:[0,1]
	v_pk_mov_b32 v[14:15], s[12:13], s[12:13] op_sel:[0,1]
	;; [unrolled: 1-line block ×5, first 2 shown]
	s_mov_b64 s[28:29], 0
	v_pk_mov_b32 v[22:23], v[14:15], v[14:15] op_sel:[0,1]
	v_pk_mov_b32 v[20:21], v[12:13], v[12:13] op_sel:[0,1]
	;; [unrolled: 1-line block ×3, first 2 shown]
                                        ; implicit-def: $sgpr8_sgpr9
                                        ; implicit-def: $vgpr34
	s_and_saveexec_b64 s[24:25], vcc
	s_cbranch_execz .LBB138_70
; %bb.53:
	ds_read2_b32 v[30:31], v42 offset0:5 offset1:6
	s_mov_b32 s8, 0
	v_mov_b32_e32 v11, s56
	v_cmp_eq_u32_e32 vcc, 0, v32
	v_add_u32_e32 v10, 6, v43
	s_waitcnt lgkmcnt(0)
	v_cndmask_b32_e32 v16, v11, v30, vcc
	v_cmp_ne_u32_e32 vcc, 0, v32
	s_mov_b32 s14, s8
	s_mov_b32 s15, s8
	v_cndmask_b32_e64 v17, 0, 1, vcc
	v_cmp_gt_u32_e32 vcc, s54, v10
	v_mov_b32_e32 v10, 0
	s_mov_b32 s9, s8
	s_mov_b32 s10, s8
	s_mov_b32 s11, s8
	s_mov_b32 s12, s8
	s_mov_b32 s13, s8
	v_pk_mov_b32 v[24:25], s[14:15], s[14:15] op_sel:[0,1]
	v_mov_b32_e32 v11, v10
	v_mov_b32_e32 v12, v10
	;; [unrolled: 1-line block ×5, first 2 shown]
	v_pk_mov_b32 v[22:23], s[12:13], s[12:13] op_sel:[0,1]
	v_pk_mov_b32 v[20:21], s[10:11], s[10:11] op_sel:[0,1]
	;; [unrolled: 1-line block ×3, first 2 shown]
                                        ; implicit-def: $sgpr40_sgpr41
                                        ; implicit-def: $vgpr34
	s_and_saveexec_b64 s[26:27], vcc
	s_cbranch_execz .LBB138_69
; %bb.54:
	v_mov_b32_e32 v12, s56
	v_cmp_eq_u32_e32 vcc, 0, v33
	v_add_u32_e32 v11, 7, v43
	v_cndmask_b32_e32 v14, v12, v31, vcc
	v_cmp_ne_u32_e32 vcc, 0, v33
	v_pk_mov_b32 v[24:25], s[14:15], s[14:15] op_sel:[0,1]
	v_cndmask_b32_e64 v15, 0, 1, vcc
	v_cmp_gt_u32_e32 vcc, s54, v11
	v_mov_b32_e32 v11, v10
	v_mov_b32_e32 v12, v10
	v_mov_b32_e32 v13, v10
	s_mov_b64 s[30:31], 0
	v_pk_mov_b32 v[22:23], s[12:13], s[12:13] op_sel:[0,1]
	v_pk_mov_b32 v[20:21], s[10:11], s[10:11] op_sel:[0,1]
	;; [unrolled: 1-line block ×3, first 2 shown]
                                        ; implicit-def: $sgpr8_sgpr9
                                        ; implicit-def: $vgpr34
	s_and_saveexec_b64 s[28:29], vcc
	s_cbranch_execz .LBB138_68
; %bb.55:
	ds_read2_b32 v[30:31], v42 offset0:7 offset1:8
	s_mov_b32 s8, 0
	v_mov_b32_e32 v11, s56
	v_cmp_eq_u32_e32 vcc, 0, v26
	s_mov_b32 s14, s8
	s_mov_b32 s15, s8
	v_add_u32_e32 v10, 8, v43
	s_waitcnt lgkmcnt(0)
	v_cndmask_b32_e32 v12, v11, v30, vcc
	v_cmp_ne_u32_e32 vcc, 0, v26
	s_mov_b32 s9, s8
	s_mov_b32 s10, s8
	;; [unrolled: 1-line block ×5, first 2 shown]
	v_pk_mov_b32 v[24:25], s[14:15], s[14:15] op_sel:[0,1]
	v_cndmask_b32_e64 v13, 0, 1, vcc
	v_cmp_gt_u32_e32 vcc, s54, v10
	v_mov_b32_e32 v10, s8
	v_mov_b32_e32 v11, s8
	s_mov_b64 s[40:41], 0
	v_pk_mov_b32 v[22:23], s[12:13], s[12:13] op_sel:[0,1]
	v_pk_mov_b32 v[20:21], s[10:11], s[10:11] op_sel:[0,1]
	;; [unrolled: 1-line block ×3, first 2 shown]
                                        ; implicit-def: $sgpr48_sgpr49
                                        ; implicit-def: $vgpr34
	s_and_saveexec_b64 s[30:31], vcc
	s_cbranch_execz .LBB138_67
; %bb.56:
	v_mov_b32_e32 v10, s56
	v_cmp_eq_u32_e32 vcc, 0, v27
	v_add_u32_e32 v18, 9, v43
	v_cndmask_b32_e32 v10, v10, v31, vcc
	v_cmp_ne_u32_e32 vcc, 0, v27
	v_cndmask_b32_e64 v11, 0, 1, vcc
	v_cmp_gt_u32_e32 vcc, s54, v18
	v_pk_mov_b32 v[24:25], s[14:15], s[14:15] op_sel:[0,1]
	v_pk_mov_b32 v[22:23], s[12:13], s[12:13] op_sel:[0,1]
	;; [unrolled: 1-line block ×4, first 2 shown]
                                        ; implicit-def: $sgpr10_sgpr11
                                        ; implicit-def: $vgpr34
	s_and_saveexec_b64 s[8:9], vcc
	s_cbranch_execz .LBB138_66
; %bb.57:
	ds_read2_b32 v[26:27], v42 offset0:9 offset1:10
	v_mov_b32_e32 v18, s56
	v_cmp_eq_u32_e32 vcc, 0, v28
	v_add_u32_e32 v20, 10, v43
	v_mov_b32_e32 v22, 0
	s_waitcnt lgkmcnt(0)
	v_cndmask_b32_e32 v18, v18, v26, vcc
	v_cmp_ne_u32_e32 vcc, 0, v28
	v_cndmask_b32_e64 v19, 0, 1, vcc
	v_cmp_gt_u32_e32 vcc, s54, v20
	v_mov_b32_e32 v20, v22
	v_mov_b32_e32 v21, v22
	;; [unrolled: 1-line block ×5, first 2 shown]
	s_mov_b64 s[12:13], 0
                                        ; implicit-def: $sgpr40_sgpr41
                                        ; implicit-def: $vgpr34
	s_and_saveexec_b64 s[10:11], vcc
	s_cbranch_execz .LBB138_65
; %bb.58:
	v_mov_b32_e32 v20, s56
	v_cmp_eq_u32_e32 vcc, 0, v29
	v_add_u32_e32 v23, 11, v43
	v_cndmask_b32_e32 v20, v20, v27, vcc
	v_cmp_ne_u32_e32 vcc, 0, v29
	v_cndmask_b32_e64 v21, 0, 1, vcc
	v_cmp_gt_u32_e32 vcc, s54, v23
	v_mov_b32_e32 v23, v22
	v_mov_b32_e32 v24, v22
	;; [unrolled: 1-line block ×3, first 2 shown]
	s_mov_b64 s[14:15], 0
                                        ; implicit-def: $sgpr48_sgpr49
                                        ; implicit-def: $vgpr34
	s_and_saveexec_b64 s[12:13], vcc
	s_cbranch_execz .LBB138_64
; %bb.59:
	ds_read2_b32 v[26:27], v42 offset0:11 offset1:12
	v_mov_b32_e32 v22, s56
	v_cmp_eq_u32_e32 vcc, 0, v40
	v_add_u32_e32 v24, 12, v43
	s_mov_b32 s14, 0
	s_waitcnt lgkmcnt(0)
	v_cndmask_b32_e32 v22, v22, v26, vcc
	v_cmp_ne_u32_e32 vcc, 0, v40
	v_cndmask_b32_e64 v23, 0, 1, vcc
	v_cmp_gt_u32_e32 vcc, s54, v24
	v_mov_b32_e32 v24, s14
	v_mov_b32_e32 v25, s14
	s_mov_b64 s[40:41], 0
                                        ; implicit-def: $sgpr48_sgpr49
                                        ; implicit-def: $vgpr34
	s_and_saveexec_b64 s[14:15], vcc
	s_cbranch_execz .LBB138_63
; %bb.60:
	v_mov_b32_e32 v24, s56
	v_cmp_eq_u32_e32 vcc, 0, v41
	v_add_u32_e32 v26, 13, v43
	v_cndmask_b32_e32 v24, v24, v27, vcc
	v_cmp_ne_u32_e32 vcc, 0, v41
	v_cndmask_b32_e64 v25, 0, 1, vcc
	v_cmp_gt_u32_e32 vcc, s54, v26
                                        ; implicit-def: $sgpr48_sgpr49
                                        ; implicit-def: $vgpr34
	s_and_saveexec_b64 s[54:55], vcc
	s_xor_b64 s[54:55], exec, s[54:55]
	s_cbranch_execz .LBB138_62
; %bb.61:
	ds_read_b32 v26, v42 offset:52
	v_mov_b32_e32 v27, s56
	v_cmp_ne_u32_e32 vcc, 0, v1
	s_mov_b64 s[40:41], exec
	s_and_b64 s[48:49], vcc, exec
	s_waitcnt lgkmcnt(0)
	v_cndmask_b32_e32 v34, v26, v27, vcc
.LBB138_62:
	s_or_b64 exec, exec, s[54:55]
	s_and_b64 s[48:49], s[48:49], exec
	s_and_b64 s[40:41], s[40:41], exec
.LBB138_63:
	s_or_b64 exec, exec, s[14:15]
	s_and_b64 s[48:49], s[48:49], exec
	s_and_b64 s[14:15], s[40:41], exec
.LBB138_64:
	s_or_b64 exec, exec, s[12:13]
	s_and_b64 s[40:41], s[48:49], exec
	s_and_b64 s[12:13], s[14:15], exec
.LBB138_65:
	s_or_b64 exec, exec, s[10:11]
	s_and_b64 s[10:11], s[40:41], exec
	s_and_b64 s[40:41], s[12:13], exec
.LBB138_66:
	s_or_b64 exec, exec, s[8:9]
	s_and_b64 s[48:49], s[10:11], exec
	s_and_b64 s[40:41], s[40:41], exec
.LBB138_67:
	s_or_b64 exec, exec, s[30:31]
	s_and_b64 s[8:9], s[48:49], exec
	s_and_b64 s[30:31], s[40:41], exec
.LBB138_68:
	s_or_b64 exec, exec, s[28:29]
	s_and_b64 s[40:41], s[8:9], exec
	s_and_b64 s[28:29], s[30:31], exec
.LBB138_69:
	s_or_b64 exec, exec, s[26:27]
	s_and_b64 s[8:9], s[40:41], exec
	s_and_b64 s[28:29], s[28:29], exec
.LBB138_70:
	s_or_b64 exec, exec, s[24:25]
	s_and_b64 s[26:27], s[8:9], exec
	s_and_b64 s[24:25], s[28:29], exec
.LBB138_71:
	s_or_b64 exec, exec, s[22:23]
	s_and_b64 s[8:9], s[26:27], exec
	s_and_b64 s[22:23], s[24:25], exec
.LBB138_72:
	s_or_b64 exec, exec, s[20:21]
	s_and_b64 s[24:25], s[8:9], exec
	s_and_b64 s[20:21], s[22:23], exec
.LBB138_73:
	s_or_b64 exec, exec, s[18:19]
	s_and_b64 s[8:9], s[24:25], exec
	s_and_b64 s[18:19], s[20:21], exec
.LBB138_74:
	s_or_b64 exec, exec, s[16:17]
	s_and_b64 s[16:17], s[8:9], exec
	s_and_b64 s[18:19], s[18:19], exec
.LBB138_75:
	s_or_b64 exec, exec, s[4:5]
	s_and_b64 vcc, exec, s[2:3]
	v_lshlrev_b32_e32 v50, 2, v0
	s_cbranch_vccnz .LBB138_77
	s_branch .LBB138_82
.LBB138_76:
	s_mov_b64 s[18:19], 0
                                        ; implicit-def: $sgpr16_sgpr17
                                        ; implicit-def: $vgpr2_vgpr3_vgpr4_vgpr5_vgpr6_vgpr7_vgpr8_vgpr9
                                        ; implicit-def: $vgpr10_vgpr11_vgpr12_vgpr13_vgpr14_vgpr15_vgpr16_vgpr17
                                        ; implicit-def: $vgpr18_vgpr19_vgpr20_vgpr21_vgpr22_vgpr23_vgpr24_vgpr25
                                        ; implicit-def: $vgpr34
                                        ; implicit-def: $vgpr38_vgpr39
	s_and_b64 vcc, exec, s[2:3]
	v_lshlrev_b32_e32 v50, 2, v0
	s_cbranch_vccz .LBB138_82
.LBB138_77:
	v_mov_b32_e32 v1, s39
	v_add_co_u32_e32 v2, vcc, s38, v50
	v_addc_co_u32_e32 v3, vcc, 0, v1, vcc
	v_add_co_u32_e32 v4, vcc, 0x1000, v2
	v_addc_co_u32_e32 v5, vcc, 0, v3, vcc
	flat_load_dword v1, v[2:3]
	flat_load_dword v6, v[2:3] offset:1024
	flat_load_dword v7, v[2:3] offset:2048
	;; [unrolled: 1-line block ×3, first 2 shown]
	flat_load_dword v9, v[4:5]
	flat_load_dword v10, v[4:5] offset:1024
	flat_load_dword v11, v[4:5] offset:2048
	;; [unrolled: 1-line block ×3, first 2 shown]
	v_add_co_u32_e32 v4, vcc, 0x2000, v2
	v_addc_co_u32_e32 v5, vcc, 0, v3, vcc
	v_add_co_u32_e32 v2, vcc, 0x3000, v2
	v_addc_co_u32_e32 v3, vcc, 0, v3, vcc
	flat_load_dword v13, v[4:5]
	flat_load_dword v14, v[4:5] offset:1024
	flat_load_dword v15, v[4:5] offset:2048
	flat_load_dword v16, v[4:5] offset:3072
	flat_load_dword v17, v[2:3]
	flat_load_dword v18, v[2:3] offset:1024
	v_mov_b32_e32 v2, s38
	v_mov_b32_e32 v3, s39
	v_add_co_u32_e32 v2, vcc, 0x3000, v2
	v_addc_co_u32_e32 v3, vcc, 0, v3, vcc
	s_movk_i32 s4, 0xffcc
	s_movk_i32 s9, 0x1000
	s_mov_b32 s2, 0
	s_movk_i32 s8, 0x2000
	s_movk_i32 s3, 0x3000
	s_waitcnt vmcnt(0) lgkmcnt(0)
	ds_write2st64_b32 v50, v1, v6 offset1:4
	ds_write2st64_b32 v50, v7, v8 offset0:8 offset1:12
	ds_write2st64_b32 v50, v9, v10 offset0:16 offset1:20
	;; [unrolled: 1-line block ×6, first 2 shown]
	s_waitcnt lgkmcnt(0)
	s_barrier
	flat_load_dword v1, v[2:3] offset:2048
	v_mad_u32_u24 v8, v0, 52, v50
	ds_read_b64 v[2:3], v8
	ds_read2_b64 v[10:13], v8 offset0:1 offset1:2
	ds_read2_b64 v[18:21], v8 offset0:3 offset1:4
	ds_read2_b64 v[26:29], v8 offset0:5 offset1:6
	v_mad_i32_i24 v4, v0, s4, v8
	s_movk_i32 s4, 0xff
	v_cmp_ne_u32_e32 vcc, s4, v0
	s_waitcnt lgkmcnt(0)
	ds_write_b32 v4, v2 offset:15360
	s_waitcnt lgkmcnt(0)
	s_barrier
	s_and_saveexec_b64 s[4:5], vcc
	s_cbranch_execz .LBB138_79
; %bb.78:
	s_waitcnt vmcnt(0)
	ds_read_b32 v1, v50 offset:15364
.LBB138_79:
	s_or_b64 exec, exec, s[4:5]
	v_mov_b32_e32 v2, s47
	v_add_co_u32_e32 v4, vcc, s7, v50
	v_addc_co_u32_e32 v5, vcc, 0, v2, vcc
	v_add_co_u32_e32 v6, vcc, s9, v4
	v_addc_co_u32_e32 v7, vcc, 0, v5, vcc
	s_waitcnt lgkmcnt(0)
	s_barrier
	flat_load_dword v2, v[4:5]
	flat_load_dword v9, v[4:5] offset:1024
	flat_load_dword v14, v[4:5] offset:2048
	;; [unrolled: 1-line block ×3, first 2 shown]
	flat_load_dword v16, v[6:7]
	flat_load_dword v17, v[6:7] offset:1024
	flat_load_dword v22, v[6:7] offset:2048
	;; [unrolled: 1-line block ×3, first 2 shown]
	v_add_co_u32_e32 v6, vcc, s8, v4
	v_addc_co_u32_e32 v7, vcc, 0, v5, vcc
	v_add_co_u32_e32 v4, vcc, s3, v4
	v_addc_co_u32_e32 v5, vcc, 0, v5, vcc
	flat_load_dword v24, v[6:7]
	flat_load_dword v25, v[6:7] offset:1024
	flat_load_dword v30, v[6:7] offset:2048
	;; [unrolled: 1-line block ×3, first 2 shown]
	flat_load_dword v32, v[4:5]
	flat_load_dword v33, v[4:5] offset:1024
	s_mov_b32 s3, 1
	v_cmp_eq_u32_e32 vcc, 0, v3
	v_pk_mov_b32 v[38:39], s[2:3], s[2:3] op_sel:[0,1]
	s_waitcnt vmcnt(0) lgkmcnt(0)
	ds_write2st64_b32 v50, v2, v9 offset1:4
	ds_write2st64_b32 v50, v14, v15 offset0:8 offset1:12
	ds_write2st64_b32 v50, v16, v17 offset0:16 offset1:20
	;; [unrolled: 1-line block ×6, first 2 shown]
	s_waitcnt lgkmcnt(0)
	s_barrier
	ds_read2_b32 v[24:25], v8 offset0:7 offset1:8
	ds_read2_b32 v[14:15], v8 offset0:5 offset1:6
	;; [unrolled: 1-line block ×4, first 2 shown]
	ds_read_b32 v32, v8 offset:52
	ds_read2_b32 v[22:23], v8 offset0:11 offset1:12
	ds_read2_b32 v[30:31], v8 offset0:9 offset1:10
	v_mov_b32_e32 v2, s56
	s_and_saveexec_b64 s[2:3], vcc
	s_cbranch_execz .LBB138_81
; %bb.80:
	ds_read_b32 v2, v8
	v_pk_mov_b32 v[38:39], 0, 0
.LBB138_81:
	s_or_b64 exec, exec, s[2:3]
	v_mov_b32_e32 v33, s56
	v_cmp_eq_u32_e32 vcc, 0, v10
	s_waitcnt lgkmcnt(3)
	v_cndmask_b32_e32 v8, v33, v6, vcc
	v_cmp_eq_u32_e32 vcc, 0, v11
	v_cndmask_b32_e32 v6, v33, v7, vcc
	v_cmp_eq_u32_e32 vcc, 0, v12
	;; [unrolled: 2-line block ×3, first 2 shown]
	s_waitcnt lgkmcnt(0)
	v_or_b32_e32 v38, v38, v2
	v_cndmask_b32_e32 v2, v33, v5, vcc
	v_cmp_ne_u32_e32 vcc, 0, v10
	v_cndmask_b32_e64 v9, 0, 1, vcc
	v_cmp_ne_u32_e32 vcc, 0, v11
	v_cndmask_b32_e64 v7, 0, 1, vcc
	;; [unrolled: 2-line block ×4, first 2 shown]
	v_cmp_eq_u32_e32 vcc, 0, v18
	v_cndmask_b32_e32 v16, v33, v14, vcc
	v_cmp_eq_u32_e32 vcc, 0, v19
	v_cndmask_b32_e32 v14, v33, v15, vcc
	v_cmp_eq_u32_e32 vcc, 0, v20
	v_cndmask_b32_e32 v12, v33, v24, vcc
	v_cmp_eq_u32_e32 vcc, 0, v21
	v_cndmask_b32_e32 v10, v33, v25, vcc
	v_cmp_ne_u32_e32 vcc, 0, v18
	v_cndmask_b32_e64 v17, 0, 1, vcc
	v_cmp_ne_u32_e32 vcc, 0, v19
	v_cndmask_b32_e64 v15, 0, 1, vcc
	;; [unrolled: 2-line block ×4, first 2 shown]
	v_cmp_eq_u32_e32 vcc, 0, v29
	v_cndmask_b32_e32 v24, v33, v23, vcc
	v_cmp_eq_u32_e32 vcc, 0, v28
	v_cndmask_b32_e32 v22, v33, v22, vcc
	v_cmp_eq_u32_e32 vcc, 0, v27
	v_cndmask_b32_e32 v20, v33, v31, vcc
	v_cmp_eq_u32_e32 vcc, 0, v26
	v_cndmask_b32_e32 v18, v33, v30, vcc
	v_cmp_ne_u32_e32 vcc, 0, v29
	v_cndmask_b32_e64 v25, 0, 1, vcc
	v_cmp_ne_u32_e32 vcc, 0, v28
	v_cndmask_b32_e64 v23, 0, 1, vcc
	;; [unrolled: 2-line block ×3, first 2 shown]
	v_cmp_ne_u32_e32 vcc, 0, v26
	v_cmp_ne_u32_e64 s[16:17], 0, v1
	v_cndmask_b32_e64 v19, 0, 1, vcc
	v_cndmask_b32_e64 v34, v32, v33, s[16:17]
	s_mov_b64 s[18:19], -1
                                        ; implicit-def: $sgpr2_sgpr3
.LBB138_82:
	v_pk_mov_b32 v[40:41], s[2:3], s[2:3] op_sel:[0,1]
	s_and_saveexec_b64 s[2:3], s[18:19]
; %bb.83:
	v_cndmask_b32_e64 v35, 0, 1, s[16:17]
	v_pk_mov_b32 v[40:41], v[34:35], v[34:35] op_sel:[0,1]
; %bb.84:
	s_or_b64 exec, exec, s[2:3]
	s_mov_b32 s26, 0
	s_cmp_lg_u32 s6, 0
	v_mbcnt_lo_u32_b32 v52, -1, 0
	v_lshrrev_b32_e32 v1, 6, v0
	v_or_b32_e32 v51, 63, v0
	s_barrier
	s_cbranch_scc0 .LBB138_129
; %bb.85:
	s_mov_b32 s27, 1
	v_cmp_gt_u64_e64 s[2:3], s[26:27], v[8:9]
	v_cndmask_b32_e64 v27, 0, v38, s[2:3]
	v_add_u32_e32 v27, v27, v8
	v_cmp_gt_u64_e64 s[4:5], s[26:27], v[6:7]
	v_cndmask_b32_e64 v27, 0, v27, s[4:5]
	v_add_u32_e32 v27, v27, v6
	;; [unrolled: 3-line block ×12, first 2 shown]
	v_cmp_gt_u64_e32 vcc, s[26:27], v[40:41]
	v_cndmask_b32_e32 v27, 0, v27, vcc
	v_add_u32_e32 v28, v27, v40
	v_or3_b32 v27, v41, v25, v23
	v_or3_b32 v27, v27, v21, v19
	;; [unrolled: 1-line block ×6, first 2 shown]
	v_mov_b32_e32 v26, 0
	v_and_b32_e32 v27, 1, v27
	v_cmp_eq_u64_e32 vcc, 0, v[26:27]
	v_cndmask_b32_e32 v27, 1, v39, vcc
	v_and_b32_e32 v29, 0xff, v27
	v_mov_b32_dpp v31, v28 row_shr:1 row_mask:0xf bank_mask:0xf
	v_cmp_eq_u16_e32 vcc, 0, v29
	v_mov_b32_dpp v32, v29 row_shr:1 row_mask:0xf bank_mask:0xf
	v_and_b32_e32 v33, 1, v27
	v_mbcnt_hi_u32_b32 v46, -1, v52
	v_cndmask_b32_e32 v31, 0, v31, vcc
	v_and_b32_e32 v32, 1, v32
	v_cmp_eq_u32_e32 vcc, 1, v33
	v_and_b32_e32 v30, 15, v46
	v_cndmask_b32_e64 v32, v32, 1, vcc
	v_and_b32_e32 v33, 0xffff, v32
	v_cmp_eq_u32_e32 vcc, 0, v30
	v_cndmask_b32_e32 v27, v32, v27, vcc
	v_cndmask_b32_e32 v29, v33, v29, vcc
	v_and_b32_e32 v33, 1, v27
	v_cndmask_b32_e64 v31, v31, 0, vcc
	v_mov_b32_dpp v32, v29 row_shr:2 row_mask:0xf bank_mask:0xf
	v_and_b32_e32 v32, 1, v32
	v_cmp_eq_u32_e32 vcc, 1, v33
	v_cndmask_b32_e64 v32, v32, 1, vcc
	v_and_b32_e32 v33, 0xffff, v32
	v_cmp_lt_u32_e32 vcc, 1, v30
	v_add_u32_e32 v28, v31, v28
	v_cmp_eq_u16_sdwa s[26:27], v27, v26 src0_sel:BYTE_0 src1_sel:DWORD
	v_cndmask_b32_e32 v27, v27, v32, vcc
	v_cndmask_b32_e32 v29, v29, v33, vcc
	v_mov_b32_dpp v31, v28 row_shr:2 row_mask:0xf bank_mask:0xf
	s_and_b64 vcc, vcc, s[26:27]
	v_mov_b32_dpp v32, v29 row_shr:4 row_mask:0xf bank_mask:0xf
	v_and_b32_e32 v33, 1, v27
	v_cndmask_b32_e32 v31, 0, v31, vcc
	v_and_b32_e32 v32, 1, v32
	v_cmp_eq_u32_e32 vcc, 1, v33
	v_cndmask_b32_e64 v32, v32, 1, vcc
	v_and_b32_e32 v33, 0xffff, v32
	v_cmp_lt_u32_e32 vcc, 3, v30
	v_add_u32_e32 v28, v31, v28
	v_cmp_eq_u16_sdwa s[26:27], v27, v26 src0_sel:BYTE_0 src1_sel:DWORD
	v_cndmask_b32_e32 v27, v27, v32, vcc
	v_cndmask_b32_e32 v29, v29, v33, vcc
	v_mov_b32_dpp v31, v28 row_shr:4 row_mask:0xf bank_mask:0xf
	s_and_b64 vcc, vcc, s[26:27]
	v_mov_b32_dpp v32, v29 row_shr:8 row_mask:0xf bank_mask:0xf
	v_and_b32_e32 v33, 1, v27
	v_cndmask_b32_e32 v31, 0, v31, vcc
	v_and_b32_e32 v32, 1, v32
	v_cmp_eq_u32_e32 vcc, 1, v33
	v_cndmask_b32_e64 v32, v32, 1, vcc
	v_add_u32_e32 v28, v31, v28
	v_cmp_eq_u16_sdwa s[26:27], v27, v26 src0_sel:BYTE_0 src1_sel:DWORD
	v_and_b32_e32 v33, 0xffff, v32
	v_cmp_lt_u32_e32 vcc, 7, v30
	v_mov_b32_dpp v31, v28 row_shr:8 row_mask:0xf bank_mask:0xf
	v_cndmask_b32_e32 v27, v27, v32, vcc
	v_cndmask_b32_e32 v29, v29, v33, vcc
	s_and_b64 vcc, vcc, s[26:27]
	v_cndmask_b32_e32 v30, 0, v31, vcc
	v_add_u32_e32 v28, v30, v28
	v_mov_b32_dpp v31, v29 row_bcast:15 row_mask:0xf bank_mask:0xf
	v_cmp_eq_u16_sdwa vcc, v27, v26 src0_sel:BYTE_0 src1_sel:DWORD
	v_mov_b32_dpp v30, v28 row_bcast:15 row_mask:0xf bank_mask:0xf
	v_and_b32_e32 v34, 1, v27
	v_cndmask_b32_e32 v30, 0, v30, vcc
	v_and_b32_e32 v31, 1, v31
	v_cmp_eq_u32_e32 vcc, 1, v34
	v_and_b32_e32 v33, 16, v46
	v_cndmask_b32_e64 v31, v31, 1, vcc
	v_and_b32_e32 v34, 0xffff, v31
	v_cmp_eq_u32_e32 vcc, 0, v33
	v_cndmask_b32_e32 v27, v31, v27, vcc
	v_cndmask_b32_e32 v29, v34, v29, vcc
	v_bfe_i32 v32, v46, 4, 1
	v_cmp_eq_u16_sdwa s[26:27], v27, v26 src0_sel:BYTE_0 src1_sel:DWORD
	v_mov_b32_dpp v29, v29 row_bcast:31 row_mask:0xf bank_mask:0xf
	v_and_b32_e32 v26, 1, v27
	v_and_b32_e32 v30, v32, v30
	;; [unrolled: 1-line block ×3, first 2 shown]
	v_cmp_eq_u32_e32 vcc, 1, v26
	v_add_u32_e32 v28, v30, v28
	v_cndmask_b32_e64 v26, v29, 1, vcc
	v_cmp_lt_u32_e32 vcc, 31, v46
	v_mov_b32_dpp v30, v28 row_bcast:31 row_mask:0xf bank_mask:0xf
	v_cndmask_b32_e32 v29, v27, v26, vcc
	s_and_b64 vcc, vcc, s[26:27]
	v_cndmask_b32_e32 v26, 0, v30, vcc
	v_add_u32_e32 v28, v26, v28
	v_cmp_eq_u32_e32 vcc, v51, v0
	s_and_saveexec_b64 s[26:27], vcc
	s_cbranch_execz .LBB138_87
; %bb.86:
	v_lshlrev_b32_e32 v26, 3, v1
	ds_write_b32 v26, v28
	ds_write_b8 v26, v29 offset:4
.LBB138_87:
	s_or_b64 exec, exec, s[26:27]
	v_cmp_gt_u32_e32 vcc, 4, v0
	s_waitcnt lgkmcnt(0)
	s_barrier
	s_and_saveexec_b64 s[26:27], vcc
	s_cbranch_execz .LBB138_91
; %bb.88:
	v_lshlrev_b32_e32 v30, 3, v0
	ds_read_b64 v[26:27], v30
	v_and_b32_e32 v31, 3, v46
	v_cmp_ne_u32_e32 vcc, 0, v31
	s_waitcnt lgkmcnt(0)
	v_mov_b32_dpp v32, v26 row_shr:1 row_mask:0xf bank_mask:0xf
	v_mov_b32_dpp v34, v27 row_shr:1 row_mask:0xf bank_mask:0xf
	v_mov_b32_e32 v33, v27
	s_and_saveexec_b64 s[30:31], vcc
	s_cbranch_execz .LBB138_90
; %bb.89:
	v_and_b32_e32 v33, 1, v27
	v_and_b32_e32 v34, 1, v34
	v_cmp_eq_u32_e32 vcc, 1, v33
	v_mov_b32_e32 v33, 0
	v_cndmask_b32_e64 v34, v34, 1, vcc
	v_cmp_eq_u16_sdwa vcc, v27, v33 src0_sel:BYTE_0 src1_sel:DWORD
	v_cndmask_b32_e32 v32, 0, v32, vcc
	v_add_u32_e32 v26, v32, v26
	v_and_b32_e32 v32, 0xffff, v34
	s_movk_i32 s7, 0xff00
	v_and_or_b32 v33, v27, s7, v32
	v_mov_b32_e32 v27, v34
.LBB138_90:
	s_or_b64 exec, exec, s[30:31]
	v_mov_b32_dpp v33, v33 row_shr:2 row_mask:0xf bank_mask:0xf
	v_and_b32_e32 v34, 1, v27
	v_and_b32_e32 v33, 1, v33
	v_cmp_eq_u32_e32 vcc, 1, v34
	v_mov_b32_e32 v34, 0
	v_cndmask_b32_e64 v33, v33, 1, vcc
	v_cmp_eq_u16_sdwa s[30:31], v27, v34 src0_sel:BYTE_0 src1_sel:DWORD
	v_cmp_lt_u32_e32 vcc, 1, v31
	v_mov_b32_dpp v32, v26 row_shr:2 row_mask:0xf bank_mask:0xf
	v_cndmask_b32_e32 v27, v27, v33, vcc
	s_and_b64 vcc, vcc, s[30:31]
	v_cndmask_b32_e32 v31, 0, v32, vcc
	v_add_u32_e32 v26, v31, v26
	ds_write_b32 v30, v26
	ds_write_b8 v30, v27 offset:4
.LBB138_91:
	s_or_b64 exec, exec, s[26:27]
	v_cmp_gt_u32_e32 vcc, 64, v0
	v_cmp_lt_u32_e64 s[26:27], 63, v0
	v_mov_b32_e32 v42, 0
	v_mov_b32_e32 v43, 0
	s_waitcnt lgkmcnt(0)
	s_barrier
	s_and_saveexec_b64 s[30:31], s[26:27]
	s_cbranch_execz .LBB138_93
; %bb.92:
	v_lshl_add_u32 v26, v1, 3, -8
	ds_read_b32 v42, v26
	ds_read_u8 v43, v26 offset:4
	v_mov_b32_e32 v27, 0
	v_and_b32_e32 v30, 1, v29
	v_cmp_eq_u16_sdwa s[26:27], v29, v27 src0_sel:BYTE_0 src1_sel:DWORD
	s_waitcnt lgkmcnt(1)
	v_cndmask_b32_e64 v26, 0, v42, s[26:27]
	v_cmp_eq_u32_e64 s[26:27], 1, v30
	v_add_u32_e32 v28, v26, v28
	s_waitcnt lgkmcnt(0)
	v_cndmask_b32_e64 v29, v43, 1, s[26:27]
.LBB138_93:
	s_or_b64 exec, exec, s[30:31]
	v_and_b32_e32 v26, 0xff, v29
	v_add_u32_e32 v27, -1, v46
	v_and_b32_e32 v29, 64, v46
	v_cmp_lt_i32_e64 s[26:27], v27, v29
	v_cndmask_b32_e64 v27, v27, v46, s[26:27]
	v_lshlrev_b32_e32 v27, 2, v27
	ds_bpermute_b32 v44, v27, v28
	ds_bpermute_b32 v45, v27, v26
	v_cmp_eq_u32_e64 s[26:27], 0, v46
	s_and_saveexec_b64 s[38:39], vcc
	s_cbranch_execz .LBB138_116
; %bb.94:
	v_mov_b32_e32 v29, 0
	ds_read_b64 v[26:27], v29 offset:24
	s_waitcnt lgkmcnt(0)
	v_readfirstlane_b32 s7, v27
	s_and_saveexec_b64 s[30:31], s[26:27]
	s_cbranch_execz .LBB138_96
; %bb.95:
	s_add_i32 s40, s6, 64
	s_mov_b32 s41, 0
	s_lshl_b64 s[48:49], s[40:41], 4
	s_add_u32 s48, s44, s48
	s_addc_u32 s49, s45, s49
	s_and_b32 s55, s7, 0xff000000
	s_mov_b32 s54, s41
	s_and_b32 s59, s7, 0xff0000
	s_mov_b32 s58, s41
	s_or_b64 s[54:55], s[58:59], s[54:55]
	s_and_b32 s59, s7, 0xff00
	s_or_b64 s[54:55], s[54:55], s[58:59]
	s_and_b32 s59, s7, 0xff
	s_or_b64 s[40:41], s[54:55], s[58:59]
	v_mov_b32_e32 v27, s41
	v_mov_b32_e32 v28, 1
	v_pk_mov_b32 v[30:31], s[48:49], s[48:49] op_sel:[0,1]
	;;#ASMSTART
	global_store_dwordx4 v[30:31], v[26:29] off	
s_waitcnt vmcnt(0)
	;;#ASMEND
.LBB138_96:
	s_or_b64 exec, exec, s[30:31]
	v_xad_u32 v34, v46, -1, s6
	v_add_u32_e32 v28, 64, v34
	v_lshlrev_b64 v[30:31], 4, v[28:29]
	v_mov_b32_e32 v27, s45
	v_add_co_u32_e32 v36, vcc, s44, v30
	v_addc_co_u32_e32 v37, vcc, v27, v31, vcc
	;;#ASMSTART
	global_load_dwordx4 v[30:33], v[36:37] off glc	
s_waitcnt vmcnt(0)
	;;#ASMEND
	v_and_b32_e32 v27, 0xff0000, v30
	v_or_b32_sdwa v27, v30, v27 dst_sel:DWORD dst_unused:UNUSED_PAD src0_sel:WORD_0 src1_sel:DWORD
	v_and_b32_e32 v28, 0xff000000, v30
	v_and_b32_e32 v30, 0xff, v31
	v_or3_b32 v31, 0, 0, v30
	v_or3_b32 v30, v27, v28, 0
	v_cmp_eq_u16_sdwa s[40:41], v32, v29 src0_sel:BYTE_0 src1_sel:DWORD
	s_and_saveexec_b64 s[30:31], s[40:41]
	s_cbranch_execz .LBB138_102
; %bb.97:
	s_mov_b32 s47, 1
	s_mov_b64 s[40:41], 0
	v_mov_b32_e32 v27, 0
.LBB138_98:                             ; =>This Loop Header: Depth=1
                                        ;     Child Loop BB138_99 Depth 2
	s_max_u32 s48, s47, 1
.LBB138_99:                             ;   Parent Loop BB138_98 Depth=1
                                        ; =>  This Inner Loop Header: Depth=2
	s_add_i32 s48, s48, -1
	s_cmp_eq_u32 s48, 0
	s_sleep 1
	s_cbranch_scc0 .LBB138_99
; %bb.100:                              ;   in Loop: Header=BB138_98 Depth=1
	s_cmp_lt_u32 s47, 32
	s_cselect_b64 s[48:49], -1, 0
	s_cmp_lg_u64 s[48:49], 0
	s_addc_u32 s47, s47, 0
	;;#ASMSTART
	global_load_dwordx4 v[30:33], v[36:37] off glc	
s_waitcnt vmcnt(0)
	;;#ASMEND
	v_cmp_ne_u16_sdwa s[48:49], v32, v27 src0_sel:BYTE_0 src1_sel:DWORD
	s_or_b64 s[40:41], s[48:49], s[40:41]
	s_andn2_b64 exec, exec, s[40:41]
	s_cbranch_execnz .LBB138_98
; %bb.101:
	s_or_b64 exec, exec, s[40:41]
	v_and_b32_e32 v31, 0xff, v31
.LBB138_102:
	s_or_b64 exec, exec, s[30:31]
	v_mov_b32_e32 v27, 2
	v_cmp_eq_u16_sdwa s[30:31], v32, v27 src0_sel:BYTE_0 src1_sel:DWORD
	v_lshlrev_b64 v[28:29], v46, -1
	v_and_b32_e32 v33, s31, v29
	v_or_b32_e32 v33, 0x80000000, v33
	v_and_b32_e32 v35, s30, v28
	v_ffbl_b32_e32 v33, v33
	v_and_b32_e32 v47, 63, v46
	v_add_u32_e32 v33, 32, v33
	v_ffbl_b32_e32 v35, v35
	v_cmp_ne_u32_e32 vcc, 63, v47
	v_min_u32_e32 v33, v35, v33
	v_addc_co_u32_e32 v35, vcc, 0, v46, vcc
	v_lshlrev_b32_e32 v48, 2, v35
	ds_bpermute_b32 v35, v48, v31
	ds_bpermute_b32 v36, v48, v30
	s_mov_b32 s40, 0
	v_and_b32_e32 v37, 1, v31
	s_mov_b32 s41, 1
	s_waitcnt lgkmcnt(1)
	v_and_b32_e32 v35, 1, v35
	v_cmp_eq_u32_e32 vcc, 1, v37
	v_cndmask_b32_e64 v35, v35, 1, vcc
	v_cmp_gt_u64_e32 vcc, s[40:41], v[30:31]
	v_cmp_lt_u32_e64 s[30:31], v47, v33
	s_and_b64 vcc, s[30:31], vcc
	v_and_b32_e32 v37, 0xffff, v35
	v_cndmask_b32_e64 v54, v31, v35, s[30:31]
	s_waitcnt lgkmcnt(0)
	v_cndmask_b32_e32 v35, 0, v36, vcc
	v_cmp_gt_u32_e32 vcc, 62, v47
	v_cndmask_b32_e64 v36, 0, 1, vcc
	v_lshlrev_b32_e32 v36, 1, v36
	v_cndmask_b32_e64 v31, v31, v37, s[30:31]
	v_add_lshl_u32 v49, v36, v46, 2
	ds_bpermute_b32 v36, v49, v31
	v_add_u32_e32 v30, v35, v30
	ds_bpermute_b32 v37, v49, v30
	v_and_b32_e32 v35, 1, v54
	v_cmp_eq_u32_e32 vcc, 1, v35
	s_waitcnt lgkmcnt(1)
	v_and_b32_e32 v36, 1, v36
	v_mov_b32_e32 v35, 0
	v_add_u32_e32 v53, 2, v47
	v_cndmask_b32_e64 v36, v36, 1, vcc
	v_cmp_eq_u16_sdwa vcc, v54, v35 src0_sel:BYTE_0 src1_sel:DWORD
	v_and_b32_e32 v55, 0xffff, v36
	s_waitcnt lgkmcnt(0)
	v_cndmask_b32_e32 v37, 0, v37, vcc
	v_cmp_gt_u32_e32 vcc, v53, v33
	v_cndmask_b32_e32 v36, v36, v54, vcc
	v_cndmask_b32_e64 v37, v37, 0, vcc
	v_cndmask_b32_e32 v31, v55, v31, vcc
	v_cmp_gt_u32_e32 vcc, 60, v47
	v_cndmask_b32_e64 v54, 0, 1, vcc
	v_lshlrev_b32_e32 v54, 2, v54
	v_add_lshl_u32 v54, v54, v46, 2
	ds_bpermute_b32 v56, v54, v31
	v_add_u32_e32 v30, v37, v30
	ds_bpermute_b32 v37, v54, v30
	v_and_b32_e32 v57, 1, v36
	v_cmp_eq_u32_e32 vcc, 1, v57
	s_waitcnt lgkmcnt(1)
	v_and_b32_e32 v56, 1, v56
	v_add_u32_e32 v55, 4, v47
	v_cndmask_b32_e64 v56, v56, 1, vcc
	v_cmp_eq_u16_sdwa vcc, v36, v35 src0_sel:BYTE_0 src1_sel:DWORD
	v_and_b32_e32 v57, 0xffff, v56
	s_waitcnt lgkmcnt(0)
	v_cndmask_b32_e32 v37, 0, v37, vcc
	v_cmp_gt_u32_e32 vcc, v55, v33
	v_cndmask_b32_e32 v36, v56, v36, vcc
	v_cndmask_b32_e64 v37, v37, 0, vcc
	v_cndmask_b32_e32 v31, v57, v31, vcc
	v_cmp_gt_u32_e32 vcc, 56, v47
	v_cndmask_b32_e64 v56, 0, 1, vcc
	v_lshlrev_b32_e32 v56, 3, v56
	v_add_lshl_u32 v56, v56, v46, 2
	ds_bpermute_b32 v58, v56, v31
	v_add_u32_e32 v30, v37, v30
	ds_bpermute_b32 v37, v56, v30
	v_and_b32_e32 v59, 1, v36
	v_cmp_eq_u32_e32 vcc, 1, v59
	s_waitcnt lgkmcnt(1)
	v_and_b32_e32 v58, 1, v58
	;; [unrolled: 21-line block ×4, first 2 shown]
	v_add_u32_e32 v62, 32, v47
	v_cndmask_b32_e64 v31, v31, 1, vcc
	v_cmp_eq_u16_sdwa vcc, v36, v35 src0_sel:BYTE_0 src1_sel:DWORD
	s_waitcnt lgkmcnt(0)
	v_cndmask_b32_e32 v37, 0, v37, vcc
	v_cmp_gt_u32_e32 vcc, v62, v33
	v_cndmask_b32_e64 v33, v37, 0, vcc
	v_cndmask_b32_e32 v31, v31, v36, vcc
	v_add_u32_e32 v30, v33, v30
	s_branch .LBB138_104
.LBB138_103:                            ;   in Loop: Header=BB138_104 Depth=1
	s_or_b64 exec, exec, s[30:31]
	v_cmp_eq_u16_sdwa s[30:31], v32, v27 src0_sel:BYTE_0 src1_sel:DWORD
	v_and_b32_e32 v33, s31, v29
	ds_bpermute_b32 v37, v48, v31
	v_or_b32_e32 v33, 0x80000000, v33
	v_and_b32_e32 v36, s30, v28
	v_ffbl_b32_e32 v33, v33
	v_add_u32_e32 v33, 32, v33
	v_ffbl_b32_e32 v36, v36
	v_min_u32_e32 v33, v36, v33
	ds_bpermute_b32 v36, v48, v30
	v_and_b32_e32 v63, 1, v31
	s_waitcnt lgkmcnt(1)
	v_and_b32_e32 v37, 1, v37
	v_cmp_eq_u32_e32 vcc, 1, v63
	v_cndmask_b32_e64 v37, v37, 1, vcc
	v_cmp_gt_u64_e32 vcc, s[40:41], v[30:31]
	v_and_b32_e32 v63, 0xffff, v37
	v_cmp_lt_u32_e64 s[30:31], v47, v33
	v_cndmask_b32_e64 v37, v31, v37, s[30:31]
	v_cndmask_b32_e64 v31, v31, v63, s[30:31]
	s_and_b64 vcc, s[30:31], vcc
	ds_bpermute_b32 v63, v49, v31
	s_waitcnt lgkmcnt(1)
	v_cndmask_b32_e32 v36, 0, v36, vcc
	v_add_u32_e32 v30, v36, v30
	ds_bpermute_b32 v36, v49, v30
	v_and_b32_e32 v64, 1, v37
	s_waitcnt lgkmcnt(1)
	v_and_b32_e32 v63, 1, v63
	v_cmp_eq_u32_e32 vcc, 1, v64
	v_cndmask_b32_e64 v63, v63, 1, vcc
	v_cmp_eq_u16_sdwa vcc, v37, v35 src0_sel:BYTE_0 src1_sel:DWORD
	v_and_b32_e32 v64, 0xffff, v63
	s_waitcnt lgkmcnt(0)
	v_cndmask_b32_e32 v36, 0, v36, vcc
	v_cmp_gt_u32_e32 vcc, v53, v33
	v_cndmask_b32_e32 v31, v64, v31, vcc
	v_cndmask_b32_e32 v37, v63, v37, vcc
	ds_bpermute_b32 v63, v54, v31
	v_cndmask_b32_e64 v36, v36, 0, vcc
	v_add_u32_e32 v30, v36, v30
	ds_bpermute_b32 v36, v54, v30
	v_and_b32_e32 v64, 1, v37
	s_waitcnt lgkmcnt(1)
	v_and_b32_e32 v63, 1, v63
	v_cmp_eq_u32_e32 vcc, 1, v64
	v_cndmask_b32_e64 v63, v63, 1, vcc
	v_cmp_eq_u16_sdwa vcc, v37, v35 src0_sel:BYTE_0 src1_sel:DWORD
	v_and_b32_e32 v64, 0xffff, v63
	s_waitcnt lgkmcnt(0)
	v_cndmask_b32_e32 v36, 0, v36, vcc
	v_cmp_gt_u32_e32 vcc, v55, v33
	v_cndmask_b32_e32 v31, v64, v31, vcc
	v_cndmask_b32_e32 v37, v63, v37, vcc
	ds_bpermute_b32 v63, v56, v31
	v_cndmask_b32_e64 v36, v36, 0, vcc
	;; [unrolled: 16-line block ×3, first 2 shown]
	v_add_u32_e32 v30, v36, v30
	ds_bpermute_b32 v36, v58, v30
	v_and_b32_e32 v64, 1, v37
	s_waitcnt lgkmcnt(1)
	v_and_b32_e32 v63, 1, v63
	v_cmp_eq_u32_e32 vcc, 1, v64
	v_cndmask_b32_e64 v63, v63, 1, vcc
	v_cmp_eq_u16_sdwa vcc, v37, v35 src0_sel:BYTE_0 src1_sel:DWORD
	v_and_b32_e32 v64, 0xffff, v63
	s_waitcnt lgkmcnt(0)
	v_cndmask_b32_e32 v36, 0, v36, vcc
	v_cmp_gt_u32_e32 vcc, v59, v33
	v_cndmask_b32_e64 v36, v36, 0, vcc
	v_cndmask_b32_e32 v31, v64, v31, vcc
	ds_bpermute_b32 v31, v61, v31
	v_add_u32_e32 v30, v36, v30
	ds_bpermute_b32 v36, v61, v30
	v_cndmask_b32_e32 v37, v63, v37, vcc
	v_and_b32_e32 v63, 1, v37
	v_cmp_eq_u32_e32 vcc, 1, v63
	s_waitcnt lgkmcnt(1)
	v_cndmask_b32_e64 v31, v31, 1, vcc
	v_cmp_eq_u16_sdwa vcc, v37, v35 src0_sel:BYTE_0 src1_sel:DWORD
	s_waitcnt lgkmcnt(0)
	v_cndmask_b32_e32 v36, 0, v36, vcc
	v_cmp_gt_u32_e32 vcc, v62, v33
	v_cndmask_b32_e64 v33, v36, 0, vcc
	v_cndmask_b32_e32 v31, v31, v37, vcc
	v_add_u32_e32 v30, v33, v30
	v_cmp_eq_u16_sdwa vcc, v46, v35 src0_sel:BYTE_0 src1_sel:DWORD
	v_and_b32_e32 v33, 1, v46
	v_cndmask_b32_e32 v30, 0, v30, vcc
	v_and_b32_e32 v31, 1, v31
	v_cmp_eq_u32_e32 vcc, 1, v33
	v_subrev_u32_e32 v34, 64, v34
	v_add_u32_e32 v30, v30, v60
	v_cndmask_b32_e64 v31, v31, 1, vcc
.LBB138_104:                            ; =>This Loop Header: Depth=1
                                        ;     Child Loop BB138_107 Depth 2
                                        ;       Child Loop BB138_108 Depth 3
	v_cmp_ne_u16_sdwa s[30:31], v32, v27 src0_sel:BYTE_0 src1_sel:DWORD
	v_mov_b32_e32 v46, v31
	v_cndmask_b32_e64 v31, 0, 1, s[30:31]
	;;#ASMSTART
	;;#ASMEND
	v_cmp_ne_u32_e32 vcc, 0, v31
	s_cmp_lg_u64 vcc, exec
	v_mov_b32_e32 v60, v30
	s_cbranch_scc1 .LBB138_111
; %bb.105:                              ;   in Loop: Header=BB138_104 Depth=1
	v_lshlrev_b64 v[30:31], 4, v[34:35]
	v_mov_b32_e32 v32, s45
	v_add_co_u32_e32 v36, vcc, s44, v30
	v_addc_co_u32_e32 v37, vcc, v32, v31, vcc
	;;#ASMSTART
	global_load_dwordx4 v[30:33], v[36:37] off glc	
s_waitcnt vmcnt(0)
	;;#ASMEND
	v_and_b32_e32 v33, 0xff0000, v30
	v_or_b32_sdwa v33, v30, v33 dst_sel:DWORD dst_unused:UNUSED_PAD src0_sel:WORD_0 src1_sel:DWORD
	v_and_b32_e32 v30, 0xff000000, v30
	v_and_b32_e32 v31, 0xff, v31
	v_or3_b32 v31, 0, 0, v31
	v_or3_b32 v30, v33, v30, 0
	v_cmp_eq_u16_sdwa s[48:49], v32, v35 src0_sel:BYTE_0 src1_sel:DWORD
	s_and_saveexec_b64 s[30:31], s[48:49]
	s_cbranch_execz .LBB138_103
; %bb.106:                              ;   in Loop: Header=BB138_104 Depth=1
	s_mov_b32 s47, 1
	s_mov_b64 s[48:49], 0
.LBB138_107:                            ;   Parent Loop BB138_104 Depth=1
                                        ; =>  This Loop Header: Depth=2
                                        ;       Child Loop BB138_108 Depth 3
	s_max_u32 s54, s47, 1
.LBB138_108:                            ;   Parent Loop BB138_104 Depth=1
                                        ;     Parent Loop BB138_107 Depth=2
                                        ; =>    This Inner Loop Header: Depth=3
	s_add_i32 s54, s54, -1
	s_cmp_eq_u32 s54, 0
	s_sleep 1
	s_cbranch_scc0 .LBB138_108
; %bb.109:                              ;   in Loop: Header=BB138_107 Depth=2
	s_cmp_lt_u32 s47, 32
	s_cselect_b64 s[54:55], -1, 0
	s_cmp_lg_u64 s[54:55], 0
	s_addc_u32 s47, s47, 0
	;;#ASMSTART
	global_load_dwordx4 v[30:33], v[36:37] off glc	
s_waitcnt vmcnt(0)
	;;#ASMEND
	v_cmp_ne_u16_sdwa s[54:55], v32, v35 src0_sel:BYTE_0 src1_sel:DWORD
	s_or_b64 s[48:49], s[54:55], s[48:49]
	s_andn2_b64 exec, exec, s[48:49]
	s_cbranch_execnz .LBB138_107
; %bb.110:                              ;   in Loop: Header=BB138_104 Depth=1
	s_or_b64 exec, exec, s[48:49]
	v_and_b32_e32 v31, 0xff, v31
	s_branch .LBB138_103
.LBB138_111:                            ;   in Loop: Header=BB138_104 Depth=1
                                        ; implicit-def: $vgpr31
                                        ; implicit-def: $vgpr30
                                        ; implicit-def: $vgpr32
	s_cbranch_execz .LBB138_104
; %bb.112:
	s_and_saveexec_b64 s[30:31], s[26:27]
	s_cbranch_execz .LBB138_114
; %bb.113:
	s_and_b32 s40, s7, 0xff
	s_cmp_eq_u32 s40, 0
	s_cselect_b64 vcc, -1, 0
	s_bitcmp1_b32 s7, 0
	s_mov_b32 s41, 0
	s_cselect_b64 s[48:49], -1, 0
	s_add_i32 s40, s6, 64
	s_lshl_b64 s[6:7], s[40:41], 4
	v_cndmask_b32_e32 v27, 0, v60, vcc
	s_add_u32 s6, s44, s6
	v_add_u32_e32 v26, v27, v26
	v_and_b32_e32 v27, 1, v46
	s_addc_u32 s7, s45, s7
	v_mov_b32_e32 v29, 0
	v_cndmask_b32_e64 v27, v27, 1, s[48:49]
	v_mov_b32_e32 v28, 2
	v_pk_mov_b32 v[30:31], s[6:7], s[6:7] op_sel:[0,1]
	;;#ASMSTART
	global_store_dwordx4 v[30:31], v[26:29] off	
s_waitcnt vmcnt(0)
	;;#ASMEND
.LBB138_114:
	s_or_b64 exec, exec, s[30:31]
	v_cmp_eq_u32_e32 vcc, 0, v0
	s_and_b64 exec, exec, vcc
	s_cbranch_execz .LBB138_116
; %bb.115:
	v_mov_b32_e32 v26, 0
	ds_write_b32 v26, v60 offset:24
	ds_write_b8 v26, v46 offset:28
.LBB138_116:
	s_or_b64 exec, exec, s[38:39]
	v_mov_b32_e32 v28, 0
	s_waitcnt lgkmcnt(0)
	s_barrier
	ds_read_b32 v26, v28 offset:24
	v_cndmask_b32_e64 v27, v45, v43, s[26:27]
	v_cmp_eq_u16_sdwa vcc, v27, v28 src0_sel:BYTE_0 src1_sel:DWORD
	v_cndmask_b32_e64 v29, v44, v42, s[26:27]
	s_waitcnt lgkmcnt(0)
	v_cndmask_b32_e32 v27, 0, v26, vcc
	v_add_u32_e32 v27, v27, v29
	v_cmp_eq_u32_e32 vcc, 0, v0
	v_and_b32_e32 v29, 0xff, v39
	v_cndmask_b32_e32 v26, v27, v26, vcc
	v_cmp_eq_u64_e32 vcc, 0, v[28:29]
	v_cndmask_b32_e32 v27, 0, v26, vcc
	v_add_u32_e32 v27, v27, v38
	v_cndmask_b32_e64 v28, 0, v27, s[2:3]
	v_add_u32_e32 v42, v28, v8
	v_cndmask_b32_e64 v28, 0, v42, s[4:5]
	;; [unrolled: 2-line block ×12, first 2 shown]
	v_add_u32_e32 v49, v28, v24
	s_branch .LBB138_143
.LBB138_117:
	s_or_b64 exec, exec, s[30:31]
                                        ; implicit-def: $vgpr14
	s_and_saveexec_b64 s[30:31], s[2:3]
	s_cbranch_execz .LBB138_33
.LBB138_118:
	v_mov_b32_e32 v15, s47
	v_add_co_u32_e32 v14, vcc, s7, v12
	v_addc_co_u32_e32 v15, vcc, 0, v15, vcc
	flat_load_dword v14, v[14:15] offset:1024
	s_or_b64 exec, exec, s[30:31]
                                        ; implicit-def: $vgpr15
	s_and_saveexec_b64 s[2:3], s[4:5]
	s_cbranch_execnz .LBB138_34
.LBB138_119:
	s_or_b64 exec, exec, s[2:3]
                                        ; implicit-def: $vgpr16
	s_and_saveexec_b64 s[2:3], s[28:29]
	s_cbranch_execz .LBB138_35
.LBB138_120:
	v_mov_b32_e32 v17, s47
	v_add_co_u32_e32 v16, vcc, s7, v12
	v_addc_co_u32_e32 v17, vcc, 0, v17, vcc
	flat_load_dword v16, v[16:17] offset:3072
	s_or_b64 exec, exec, s[2:3]
                                        ; implicit-def: $vgpr17
	s_and_saveexec_b64 s[2:3], s[8:9]
	s_cbranch_execnz .LBB138_36
.LBB138_121:
	s_or_b64 exec, exec, s[2:3]
                                        ; implicit-def: $vgpr2
	s_and_saveexec_b64 s[2:3], s[10:11]
	s_cbranch_execz .LBB138_37
.LBB138_122:
	v_lshlrev_b32_e32 v2, 2, v3
	v_mov_b32_e32 v3, s47
	v_add_co_u32_e32 v2, vcc, s7, v2
	v_addc_co_u32_e32 v3, vcc, 0, v3, vcc
	flat_load_dword v2, v[2:3]
	s_or_b64 exec, exec, s[2:3]
                                        ; implicit-def: $vgpr3
	s_and_saveexec_b64 s[2:3], s[12:13]
	s_cbranch_execnz .LBB138_38
.LBB138_123:
	s_or_b64 exec, exec, s[2:3]
                                        ; implicit-def: $vgpr4
	s_and_saveexec_b64 s[2:3], s[14:15]
	s_cbranch_execz .LBB138_39
.LBB138_124:
	v_lshlrev_b32_e32 v4, 2, v5
	v_mov_b32_e32 v5, s47
	v_add_co_u32_e32 v4, vcc, s7, v4
	v_addc_co_u32_e32 v5, vcc, 0, v5, vcc
	flat_load_dword v4, v[4:5]
	s_or_b64 exec, exec, s[2:3]
                                        ; implicit-def: $vgpr5
	s_and_saveexec_b64 s[2:3], s[16:17]
	s_cbranch_execnz .LBB138_40
.LBB138_125:
	s_or_b64 exec, exec, s[2:3]
                                        ; implicit-def: $vgpr6
	s_and_saveexec_b64 s[2:3], s[18:19]
	s_cbranch_execz .LBB138_41
.LBB138_126:
	v_lshlrev_b32_e32 v6, 2, v7
	v_mov_b32_e32 v7, s47
	v_add_co_u32_e32 v6, vcc, s7, v6
	v_addc_co_u32_e32 v7, vcc, 0, v7, vcc
	flat_load_dword v6, v[6:7]
	s_or_b64 exec, exec, s[2:3]
                                        ; implicit-def: $vgpr7
	s_and_saveexec_b64 s[2:3], s[20:21]
	s_cbranch_execnz .LBB138_42
.LBB138_127:
	s_or_b64 exec, exec, s[2:3]
                                        ; implicit-def: $vgpr8
	s_and_saveexec_b64 s[2:3], s[22:23]
	s_cbranch_execz .LBB138_43
.LBB138_128:
	v_lshlrev_b32_e32 v8, 2, v9
	v_mov_b32_e32 v9, s47
	v_add_co_u32_e32 v8, vcc, s7, v8
	v_addc_co_u32_e32 v9, vcc, 0, v9, vcc
	flat_load_dword v8, v[8:9]
	s_or_b64 exec, exec, s[2:3]
                                        ; implicit-def: $vgpr9
	s_and_saveexec_b64 s[2:3], s[24:25]
	s_cbranch_execz .LBB138_45
	s_branch .LBB138_44
.LBB138_129:
                                        ; implicit-def: $vgpr49
                                        ; implicit-def: $vgpr47
                                        ; implicit-def: $vgpr45
                                        ; implicit-def: $vgpr43
                                        ; implicit-def: $vgpr34_vgpr35_vgpr36_vgpr37
                                        ; implicit-def: $vgpr30_vgpr31_vgpr32_vgpr33
                                        ; implicit-def: $vgpr26_vgpr27_vgpr28_vgpr29
	s_cbranch_execz .LBB138_143
; %bb.130:
	s_cmp_lg_u64 s[52:53], 0
	s_cselect_b32 s3, s51, 0
	s_cselect_b32 s2, s50, 0
	s_mov_b32 s24, 0
	s_cmp_eq_u64 s[2:3], 0
	v_mov_b32_e32 v32, s56
	s_cbranch_scc1 .LBB138_132
; %bb.131:
	v_mov_b32_e32 v26, 0
	global_load_dword v32, v26, s[2:3]
.LBB138_132:
	s_mov_b32 s25, 1
	v_cmp_gt_u64_e32 vcc, s[24:25], v[8:9]
	v_cndmask_b32_e32 v27, 0, v38, vcc
	v_add_u32_e32 v27, v27, v8
	v_cmp_gt_u64_e64 s[2:3], s[24:25], v[6:7]
	v_cndmask_b32_e64 v27, 0, v27, s[2:3]
	v_add_u32_e32 v27, v27, v6
	v_cmp_gt_u64_e64 s[4:5], s[24:25], v[4:5]
	v_cndmask_b32_e64 v27, 0, v27, s[4:5]
	;; [unrolled: 3-line block ×11, first 2 shown]
	v_mov_b32_e32 v26, 0
	v_add_u32_e32 v27, v27, v24
	v_cmp_gt_u64_e64 s[24:25], s[24:25], v[40:41]
	v_or3_b32 v7, v23, v15, v7
	v_cndmask_b32_e64 v27, 0, v27, s[24:25]
	v_or3_b32 v9, v25, v17, v9
	v_and_b32_e32 v35, 1, v7
	v_mov_b32_e32 v34, v26
	v_add_u32_e32 v33, v27, v40
	v_and_b32_e32 v27, 1, v41
	v_or3_b32 v3, v19, v11, v3
	v_and_b32_e32 v31, 1, v9
	v_mov_b32_e32 v30, v26
	v_cmp_ne_u64_e64 s[26:27], 0, v[34:35]
	v_cmp_eq_u32_e64 s[24:25], 1, v27
	v_or3_b32 v5, v21, v13, v5
	v_and_b32_e32 v27, 1, v3
	v_cndmask_b32_e64 v3, 0, 1, s[26:27]
	v_cmp_ne_u64_e64 s[26:27], 0, v[30:31]
	v_and_b32_e32 v29, 1, v5
	v_mov_b32_e32 v28, v26
	v_cndmask_b32_e64 v5, 0, 1, s[26:27]
	v_lshlrev_b16_e32 v3, 2, v3
	v_lshlrev_b16_e32 v5, 3, v5
	v_cmp_ne_u64_e64 s[26:27], 0, v[28:29]
	v_or_b32_e32 v3, v5, v3
	v_cndmask_b32_e64 v5, 0, 1, s[26:27]
	v_cmp_ne_u64_e64 s[26:27], 0, v[26:27]
	v_lshlrev_b16_e32 v5, 1, v5
	v_cndmask_b32_e64 v7, 0, 1, s[26:27]
	v_or_b32_e32 v5, v7, v5
	v_and_b32_e32 v5, 3, v5
	v_or_b32_e32 v3, v5, v3
	v_and_b32_e32 v3, 15, v3
	v_cmp_ne_u16_e64 s[26:27], 0, v3
	s_or_b64 s[24:25], s[24:25], s[26:27]
	v_cndmask_b32_e64 v5, v39, 1, s[24:25]
	v_and_b32_e32 v7, 0xff, v5
	v_mov_b32_dpp v11, v33 row_shr:1 row_mask:0xf bank_mask:0xf
	v_cmp_eq_u16_e64 s[24:25], 0, v7
	v_mov_b32_dpp v13, v7 row_shr:1 row_mask:0xf bank_mask:0xf
	v_and_b32_e32 v15, 1, v5
	v_mbcnt_hi_u32_b32 v3, -1, v52
	v_cndmask_b32_e64 v11, 0, v11, s[24:25]
	v_and_b32_e32 v13, 1, v13
	v_cmp_eq_u32_e64 s[24:25], 1, v15
	v_and_b32_e32 v9, 15, v3
	v_cndmask_b32_e64 v13, v13, 1, s[24:25]
	v_and_b32_e32 v15, 0xffff, v13
	v_cmp_eq_u32_e64 s[24:25], 0, v9
	v_cndmask_b32_e64 v5, v13, v5, s[24:25]
	v_cndmask_b32_e64 v7, v15, v7, s[24:25]
	v_and_b32_e32 v17, 1, v5
	v_cndmask_b32_e64 v11, v11, 0, s[24:25]
	v_mov_b32_dpp v15, v7 row_shr:2 row_mask:0xf bank_mask:0xf
	v_and_b32_e32 v15, 1, v15
	v_cmp_eq_u32_e64 s[24:25], 1, v17
	v_cndmask_b32_e64 v15, v15, 1, s[24:25]
	v_and_b32_e32 v17, 0xffff, v15
	v_cmp_lt_u32_e64 s[24:25], 1, v9
	v_add_u32_e32 v11, v11, v33
	v_cmp_eq_u16_sdwa s[26:27], v5, v26 src0_sel:BYTE_0 src1_sel:DWORD
	v_cndmask_b32_e64 v5, v5, v15, s[24:25]
	v_cndmask_b32_e64 v7, v7, v17, s[24:25]
	v_mov_b32_dpp v13, v11 row_shr:2 row_mask:0xf bank_mask:0xf
	s_and_b64 s[24:25], s[24:25], s[26:27]
	v_mov_b32_dpp v15, v7 row_shr:4 row_mask:0xf bank_mask:0xf
	v_and_b32_e32 v17, 1, v5
	v_cndmask_b32_e64 v13, 0, v13, s[24:25]
	v_and_b32_e32 v15, 1, v15
	v_cmp_eq_u32_e64 s[24:25], 1, v17
	v_cndmask_b32_e64 v15, v15, 1, s[24:25]
	v_and_b32_e32 v17, 0xffff, v15
	v_cmp_lt_u32_e64 s[24:25], 3, v9
	v_add_u32_e32 v11, v13, v11
	v_cmp_eq_u16_sdwa s[26:27], v5, v26 src0_sel:BYTE_0 src1_sel:DWORD
	v_cndmask_b32_e64 v5, v5, v15, s[24:25]
	v_cndmask_b32_e64 v7, v7, v17, s[24:25]
	v_mov_b32_dpp v13, v11 row_shr:4 row_mask:0xf bank_mask:0xf
	s_and_b64 s[24:25], s[24:25], s[26:27]
	v_mov_b32_dpp v15, v7 row_shr:8 row_mask:0xf bank_mask:0xf
	v_and_b32_e32 v17, 1, v5
	v_cndmask_b32_e64 v13, 0, v13, s[24:25]
	v_and_b32_e32 v15, 1, v15
	v_cmp_eq_u32_e64 s[24:25], 1, v17
	v_cndmask_b32_e64 v15, v15, 1, s[24:25]
	v_add_u32_e32 v11, v13, v11
	v_cmp_eq_u16_sdwa s[26:27], v5, v26 src0_sel:BYTE_0 src1_sel:DWORD
	v_and_b32_e32 v17, 0xffff, v15
	v_cmp_lt_u32_e64 s[24:25], 7, v9
	v_mov_b32_dpp v13, v11 row_shr:8 row_mask:0xf bank_mask:0xf
	v_cndmask_b32_e64 v5, v5, v15, s[24:25]
	v_cndmask_b32_e64 v7, v7, v17, s[24:25]
	s_and_b64 s[24:25], s[24:25], s[26:27]
	v_cndmask_b32_e64 v9, 0, v13, s[24:25]
	v_add_u32_e32 v9, v9, v11
	v_mov_b32_dpp v13, v7 row_bcast:15 row_mask:0xf bank_mask:0xf
	v_cmp_eq_u16_sdwa s[24:25], v5, v26 src0_sel:BYTE_0 src1_sel:DWORD
	v_mov_b32_dpp v11, v9 row_bcast:15 row_mask:0xf bank_mask:0xf
	v_and_b32_e32 v19, 1, v5
	v_cndmask_b32_e64 v11, 0, v11, s[24:25]
	v_and_b32_e32 v13, 1, v13
	v_cmp_eq_u32_e64 s[24:25], 1, v19
	v_and_b32_e32 v17, 16, v3
	v_cndmask_b32_e64 v13, v13, 1, s[24:25]
	v_and_b32_e32 v19, 0xffff, v13
	v_cmp_eq_u32_e64 s[24:25], 0, v17
	v_cndmask_b32_e64 v5, v13, v5, s[24:25]
	v_cndmask_b32_e64 v7, v19, v7, s[24:25]
	v_bfe_i32 v15, v3, 4, 1
	v_and_b32_e32 v13, 1, v5
	v_mov_b32_dpp v7, v7 row_bcast:31 row_mask:0xf bank_mask:0xf
	v_and_b32_e32 v11, v15, v11
	v_and_b32_e32 v7, 1, v7
	v_cmp_eq_u32_e64 s[24:25], 1, v13
	v_add_u32_e32 v9, v11, v9
	v_cmp_eq_u16_sdwa s[26:27], v5, v26 src0_sel:BYTE_0 src1_sel:DWORD
	v_cndmask_b32_e64 v7, v7, 1, s[24:25]
	v_cmp_lt_u32_e64 s[24:25], 31, v3
	v_mov_b32_dpp v11, v9 row_bcast:31 row_mask:0xf bank_mask:0xf
	v_cndmask_b32_e64 v5, v5, v7, s[24:25]
	s_and_b64 s[24:25], s[24:25], s[26:27]
	v_cndmask_b32_e64 v7, 0, v11, s[24:25]
	v_add_u32_e32 v7, v7, v9
	v_cmp_eq_u32_e64 s[24:25], v51, v0
	s_and_saveexec_b64 s[26:27], s[24:25]
	s_cbranch_execz .LBB138_134
; %bb.133:
	v_lshlrev_b32_e32 v9, 3, v1
	ds_write_b32 v9, v7
	ds_write_b8 v9, v5 offset:4
.LBB138_134:
	s_or_b64 exec, exec, s[26:27]
	v_cmp_gt_u32_e64 s[24:25], 4, v0
	s_waitcnt lgkmcnt(0)
	s_barrier
	s_and_saveexec_b64 s[26:27], s[24:25]
	s_cbranch_execz .LBB138_138
; %bb.135:
	v_lshlrev_b32_e32 v9, 3, v0
	ds_read_b64 v[26:27], v9
	v_and_b32_e32 v11, 3, v3
	v_cmp_ne_u32_e64 s[24:25], 0, v11
	s_waitcnt lgkmcnt(0)
	v_mov_b32_dpp v13, v26 row_shr:1 row_mask:0xf bank_mask:0xf
	v_mov_b32_dpp v17, v27 row_shr:1 row_mask:0xf bank_mask:0xf
	v_mov_b32_e32 v15, v27
	s_and_saveexec_b64 s[28:29], s[24:25]
	s_cbranch_execz .LBB138_137
; %bb.136:
	v_and_b32_e32 v15, 1, v27
	v_and_b32_e32 v17, 1, v17
	v_cmp_eq_u32_e64 s[24:25], 1, v15
	v_mov_b32_e32 v15, 0
	v_cndmask_b32_e64 v17, v17, 1, s[24:25]
	v_cmp_eq_u16_sdwa s[24:25], v27, v15 src0_sel:BYTE_0 src1_sel:DWORD
	v_cndmask_b32_e64 v13, 0, v13, s[24:25]
	v_add_u32_e32 v26, v13, v26
	v_and_b32_e32 v13, 0xffff, v17
	s_movk_i32 s24, 0xff00
	v_and_or_b32 v15, v27, s24, v13
	v_mov_b32_e32 v27, v17
.LBB138_137:
	s_or_b64 exec, exec, s[28:29]
	v_mov_b32_dpp v15, v15 row_shr:2 row_mask:0xf bank_mask:0xf
	v_and_b32_e32 v17, 1, v27
	v_and_b32_e32 v15, 1, v15
	v_cmp_eq_u32_e64 s[24:25], 1, v17
	v_mov_b32_e32 v17, 0
	v_cndmask_b32_e64 v15, v15, 1, s[24:25]
	v_cmp_eq_u16_sdwa s[28:29], v27, v17 src0_sel:BYTE_0 src1_sel:DWORD
	v_cmp_lt_u32_e64 s[24:25], 1, v11
	v_mov_b32_dpp v13, v26 row_shr:2 row_mask:0xf bank_mask:0xf
	v_cndmask_b32_e64 v11, v27, v15, s[24:25]
	s_and_b64 s[24:25], s[24:25], s[28:29]
	v_cndmask_b32_e64 v13, 0, v13, s[24:25]
	v_add_u32_e32 v13, v13, v26
	ds_write_b32 v9, v13
	ds_write_b8 v9, v11 offset:4
.LBB138_138:
	s_or_b64 exec, exec, s[26:27]
	v_cmp_lt_u32_e64 s[24:25], 63, v0
	s_waitcnt vmcnt(0)
	v_mov_b32_e32 v9, v32
	s_waitcnt lgkmcnt(0)
	s_barrier
	s_and_saveexec_b64 s[26:27], s[24:25]
	s_cbranch_execz .LBB138_140
; %bb.139:
	v_lshl_add_u32 v1, v1, 3, -8
	ds_read_u8 v9, v1 offset:4
	ds_read_b32 v1, v1
	s_waitcnt lgkmcnt(1)
	v_cmp_eq_u16_e64 s[24:25], 0, v9
	v_cndmask_b32_e64 v9, 0, v32, s[24:25]
	s_waitcnt lgkmcnt(0)
	v_add_u32_e32 v9, v9, v1
.LBB138_140:
	s_or_b64 exec, exec, s[26:27]
	v_mov_b32_e32 v28, 0
	v_cmp_eq_u16_sdwa s[24:25], v5, v28 src0_sel:BYTE_0 src1_sel:DWORD
	v_cndmask_b32_e64 v1, 0, v9, s[24:25]
	v_add_u32_e32 v1, v1, v7
	v_add_u32_e32 v5, -1, v3
	v_and_b32_e32 v7, 64, v3
	v_cmp_lt_i32_e64 s[24:25], v5, v7
	v_cndmask_b32_e64 v5, v5, v3, s[24:25]
	v_lshlrev_b32_e32 v5, 2, v5
	ds_bpermute_b32 v1, v5, v1
	v_cmp_eq_u32_e64 s[24:25], 0, v3
	v_and_b32_e32 v29, 0xff, v39
	v_cmp_eq_u64_e64 s[26:27], 0, v[28:29]
	s_waitcnt lgkmcnt(0)
	v_cndmask_b32_e64 v26, v1, v9, s[24:25]
	v_cmp_eq_u32_e64 s[24:25], 0, v0
	v_cndmask_b32_e64 v1, v26, v32, s[24:25]
	v_cndmask_b32_e64 v1, 0, v1, s[26:27]
	v_add_u32_e32 v27, v1, v38
	v_cndmask_b32_e32 v1, 0, v27, vcc
	v_add_u32_e32 v42, v1, v8
	v_cndmask_b32_e64 v1, 0, v42, s[2:3]
	v_add_u32_e32 v43, v1, v6
	v_cndmask_b32_e64 v1, 0, v43, s[4:5]
	;; [unrolled: 2-line block ×11, first 2 shown]
	s_and_saveexec_b64 s[2:3], s[24:25]
	s_cbranch_execz .LBB138_142
; %bb.141:
	ds_read_u8 v3, v28 offset:28
	ds_read_b32 v2, v28 offset:24
	s_add_u32 s4, s44, 0x400
	s_addc_u32 s5, s45, 0
	v_mov_b32_e32 v5, v28
	s_waitcnt lgkmcnt(1)
	v_cmp_eq_u16_e32 vcc, 0, v3
	v_cndmask_b32_e32 v4, 0, v32, vcc
	s_waitcnt lgkmcnt(0)
	v_add_u32_e32 v2, v4, v2
	v_and_b32_e32 v3, 0xffff, v3
	v_mov_b32_e32 v4, 2
	v_pk_mov_b32 v[6:7], s[4:5], s[4:5] op_sel:[0,1]
	;;#ASMSTART
	global_store_dwordx4 v[6:7], v[2:5] off	
s_waitcnt vmcnt(0)
	;;#ASMEND
	v_mov_b32_e32 v26, v32
.LBB138_142:
	s_or_b64 exec, exec, s[2:3]
	v_add_u32_e32 v49, v1, v24
.LBB138_143:
	s_add_u32 s2, s42, s34
	s_addc_u32 s3, s43, s35
	s_add_u32 s4, s2, s36
	v_mul_u32_u24_e32 v1, 14, v0
	s_addc_u32 s5, s3, s37
	s_and_b64 vcc, exec, s[0:1]
	v_lshlrev_b32_e32 v2, 2, v1
	s_cbranch_vccz .LBB138_171
; %bb.144:
	s_movk_i32 s0, 0xffcc
	v_mad_i32_i24 v3, v0, s0, v2
	s_barrier
	ds_write2_b64 v2, v[26:27], v[42:43] offset1:1
	ds_write2_b64 v2, v[30:31], v[44:45] offset0:2 offset1:3
	ds_write2_b64 v2, v[34:35], v[46:47] offset0:4 offset1:5
	ds_write_b64 v2, v[48:49] offset:48
	s_waitcnt lgkmcnt(0)
	s_barrier
	ds_read2st64_b32 v[16:17], v3 offset0:4 offset1:8
	ds_read2st64_b32 v[14:15], v3 offset0:12 offset1:16
	;; [unrolled: 1-line block ×6, first 2 shown]
	ds_read_b32 v3, v3 offset:13312
	v_mov_b32_e32 v7, s5
	v_add_co_u32_e32 v6, vcc, s4, v50
	s_add_i32 s33, s33, s46
	v_addc_co_u32_e32 v7, vcc, 0, v7, vcc
	v_mov_b32_e32 v1, 0
	v_cmp_gt_u32_e32 vcc, s33, v0
	s_and_saveexec_b64 s[0:1], vcc
	s_cbranch_execz .LBB138_146
; %bb.145:
	v_mul_i32_i24_e32 v18, 0xffffffcc, v0
	v_add_u32_e32 v18, v2, v18
	ds_read_b32 v18, v18
	s_waitcnt lgkmcnt(0)
	flat_store_dword v[6:7], v18
.LBB138_146:
	s_or_b64 exec, exec, s[0:1]
	v_or_b32_e32 v18, 0x100, v0
	v_cmp_gt_u32_e32 vcc, s33, v18
	s_and_saveexec_b64 s[0:1], vcc
	s_cbranch_execz .LBB138_148
; %bb.147:
	s_waitcnt lgkmcnt(0)
	flat_store_dword v[6:7], v16 offset:1024
.LBB138_148:
	s_or_b64 exec, exec, s[0:1]
	s_waitcnt lgkmcnt(0)
	v_or_b32_e32 v16, 0x200, v0
	v_cmp_gt_u32_e32 vcc, s33, v16
	s_and_saveexec_b64 s[0:1], vcc
	s_cbranch_execz .LBB138_150
; %bb.149:
	flat_store_dword v[6:7], v17 offset:2048
.LBB138_150:
	s_or_b64 exec, exec, s[0:1]
	v_or_b32_e32 v16, 0x300, v0
	v_cmp_gt_u32_e32 vcc, s33, v16
	s_and_saveexec_b64 s[0:1], vcc
	s_cbranch_execz .LBB138_152
; %bb.151:
	flat_store_dword v[6:7], v14 offset:3072
.LBB138_152:
	s_or_b64 exec, exec, s[0:1]
	v_or_b32_e32 v14, 0x400, v0
	v_cmp_gt_u32_e32 vcc, s33, v14
	s_and_saveexec_b64 s[0:1], vcc
	s_cbranch_execz .LBB138_154
; %bb.153:
	v_add_co_u32_e32 v16, vcc, 0x1000, v6
	v_addc_co_u32_e32 v17, vcc, 0, v7, vcc
	flat_store_dword v[16:17], v15
.LBB138_154:
	s_or_b64 exec, exec, s[0:1]
	v_or_b32_e32 v14, 0x500, v0
	v_cmp_gt_u32_e32 vcc, s33, v14
	s_and_saveexec_b64 s[0:1], vcc
	s_cbranch_execz .LBB138_156
; %bb.155:
	v_add_co_u32_e32 v14, vcc, 0x1000, v6
	v_addc_co_u32_e32 v15, vcc, 0, v7, vcc
	flat_store_dword v[14:15], v12 offset:1024
.LBB138_156:
	s_or_b64 exec, exec, s[0:1]
	v_or_b32_e32 v12, 0x600, v0
	v_cmp_gt_u32_e32 vcc, s33, v12
	s_and_saveexec_b64 s[0:1], vcc
	s_cbranch_execz .LBB138_158
; %bb.157:
	v_add_co_u32_e32 v14, vcc, 0x1000, v6
	v_addc_co_u32_e32 v15, vcc, 0, v7, vcc
	flat_store_dword v[14:15], v13 offset:2048
.LBB138_158:
	s_or_b64 exec, exec, s[0:1]
	v_or_b32_e32 v12, 0x700, v0
	v_cmp_gt_u32_e32 vcc, s33, v12
	s_and_saveexec_b64 s[0:1], vcc
	s_cbranch_execz .LBB138_160
; %bb.159:
	v_add_co_u32_e32 v12, vcc, 0x1000, v6
	v_addc_co_u32_e32 v13, vcc, 0, v7, vcc
	flat_store_dword v[12:13], v10 offset:3072
.LBB138_160:
	s_or_b64 exec, exec, s[0:1]
	v_or_b32_e32 v10, 0x800, v0
	v_cmp_gt_u32_e32 vcc, s33, v10
	s_and_saveexec_b64 s[0:1], vcc
	s_cbranch_execz .LBB138_162
; %bb.161:
	v_add_co_u32_e32 v12, vcc, 0x2000, v6
	v_addc_co_u32_e32 v13, vcc, 0, v7, vcc
	flat_store_dword v[12:13], v11
.LBB138_162:
	s_or_b64 exec, exec, s[0:1]
	v_or_b32_e32 v10, 0x900, v0
	v_cmp_gt_u32_e32 vcc, s33, v10
	s_and_saveexec_b64 s[0:1], vcc
	s_cbranch_execz .LBB138_164
; %bb.163:
	v_add_co_u32_e32 v10, vcc, 0x2000, v6
	v_addc_co_u32_e32 v11, vcc, 0, v7, vcc
	flat_store_dword v[10:11], v8 offset:1024
.LBB138_164:
	s_or_b64 exec, exec, s[0:1]
	v_or_b32_e32 v8, 0xa00, v0
	v_cmp_gt_u32_e32 vcc, s33, v8
	s_and_saveexec_b64 s[0:1], vcc
	s_cbranch_execz .LBB138_166
; %bb.165:
	v_add_co_u32_e32 v10, vcc, 0x2000, v6
	v_addc_co_u32_e32 v11, vcc, 0, v7, vcc
	flat_store_dword v[10:11], v9 offset:2048
.LBB138_166:
	;; [unrolled: 10-line block ×3, first 2 shown]
	s_or_b64 exec, exec, s[0:1]
	v_or_b32_e32 v4, 0xc00, v0
	v_cmp_gt_u32_e32 vcc, s33, v4
	s_and_saveexec_b64 s[0:1], vcc
	s_cbranch_execz .LBB138_170
; %bb.169:
	v_add_co_u32_e32 v6, vcc, 0x3000, v6
	v_addc_co_u32_e32 v7, vcc, 0, v7, vcc
	flat_store_dword v[6:7], v5
.LBB138_170:
	s_or_b64 exec, exec, s[0:1]
	v_or_b32_e32 v4, 0xd00, v0
	v_cmp_gt_u32_e64 s[0:1], s33, v4
	s_branch .LBB138_173
.LBB138_171:
	s_mov_b64 s[0:1], 0
                                        ; implicit-def: $vgpr3
	s_cbranch_execz .LBB138_173
; %bb.172:
	s_movk_i32 s2, 0xffcc
	s_waitcnt lgkmcnt(0)
	s_barrier
	ds_write2_b64 v2, v[26:27], v[42:43] offset1:1
	ds_write2_b64 v2, v[30:31], v[44:45] offset0:2 offset1:3
	ds_write2_b64 v2, v[34:35], v[46:47] offset0:4 offset1:5
	ds_write_b64 v2, v[48:49] offset:48
	v_mad_i32_i24 v2, v0, s2, v2
	v_mov_b32_e32 v17, s5
	v_add_co_u32_e32 v16, vcc, s4, v50
	s_waitcnt lgkmcnt(0)
	s_barrier
	ds_read2st64_b32 v[4:5], v2 offset1:4
	ds_read2st64_b32 v[6:7], v2 offset0:8 offset1:12
	ds_read2st64_b32 v[8:9], v2 offset0:16 offset1:20
	;; [unrolled: 1-line block ×6, first 2 shown]
	v_addc_co_u32_e32 v17, vcc, 0, v17, vcc
	s_movk_i32 s2, 0x1000
	s_waitcnt lgkmcnt(0)
	flat_store_dword v[16:17], v4
	flat_store_dword v[16:17], v5 offset:1024
	flat_store_dword v[16:17], v6 offset:2048
	;; [unrolled: 1-line block ×3, first 2 shown]
	v_add_co_u32_e32 v4, vcc, s2, v16
	v_addc_co_u32_e32 v5, vcc, 0, v17, vcc
	flat_store_dword v[4:5], v8
	flat_store_dword v[4:5], v9 offset:1024
	flat_store_dword v[4:5], v10 offset:2048
	flat_store_dword v[4:5], v11 offset:3072
	v_add_co_u32_e32 v4, vcc, 0x2000, v16
	v_addc_co_u32_e32 v5, vcc, 0, v17, vcc
	flat_store_dword v[4:5], v12
	flat_store_dword v[4:5], v13 offset:1024
	flat_store_dword v[4:5], v14 offset:2048
	flat_store_dword v[4:5], v15 offset:3072
	v_add_co_u32_e32 v4, vcc, 0x3000, v16
	v_mov_b32_e32 v1, 0
	v_addc_co_u32_e32 v5, vcc, 0, v17, vcc
	s_or_b64 s[0:1], s[0:1], exec
	flat_store_dword v[4:5], v2
.LBB138_173:
	s_and_saveexec_b64 s[2:3], s[0:1]
	s_cbranch_execz .LBB138_175
; %bb.174:
	v_lshlrev_b64 v[0:1], 2, v[0:1]
	v_mov_b32_e32 v2, s5
	v_add_co_u32_e32 v0, vcc, s4, v0
	v_addc_co_u32_e32 v1, vcc, v2, v1, vcc
	v_add_co_u32_e32 v0, vcc, 0x3000, v0
	v_addc_co_u32_e32 v1, vcc, 0, v1, vcc
	flat_store_dword v[0:1], v3 offset:1024
	s_endpgm
.LBB138_175:
	s_endpgm
	.section	.rodata,"a",@progbits
	.p2align	6, 0x0
	.amdhsa_kernel _ZN7rocprim17ROCPRIM_400000_NS6detail17trampoline_kernelINS0_14default_configENS1_27scan_by_key_config_selectorIiiEEZZNS1_16scan_by_key_implILNS1_25lookback_scan_determinismE0ELb1ES3_N6thrust23THRUST_200600_302600_NS6detail15normal_iteratorINS9_10device_ptrIiEEEESE_SE_iNS9_4plusIvEE19head_flag_predicateIiEiEE10hipError_tPvRmT2_T3_T4_T5_mT6_T7_P12ihipStream_tbENKUlT_T0_E_clISt17integral_constantIbLb1EESY_IbLb0EEEEDaSU_SV_EUlSU_E_NS1_11comp_targetILNS1_3genE4ELNS1_11target_archE910ELNS1_3gpuE8ELNS1_3repE0EEENS1_30default_config_static_selectorELNS0_4arch9wavefront6targetE1EEEvT1_
		.amdhsa_group_segment_fixed_size 16384
		.amdhsa_private_segment_fixed_size 0
		.amdhsa_kernarg_size 112
		.amdhsa_user_sgpr_count 6
		.amdhsa_user_sgpr_private_segment_buffer 1
		.amdhsa_user_sgpr_dispatch_ptr 0
		.amdhsa_user_sgpr_queue_ptr 0
		.amdhsa_user_sgpr_kernarg_segment_ptr 1
		.amdhsa_user_sgpr_dispatch_id 0
		.amdhsa_user_sgpr_flat_scratch_init 0
		.amdhsa_user_sgpr_kernarg_preload_length 0
		.amdhsa_user_sgpr_kernarg_preload_offset 0
		.amdhsa_user_sgpr_private_segment_size 0
		.amdhsa_uses_dynamic_stack 0
		.amdhsa_system_sgpr_private_segment_wavefront_offset 0
		.amdhsa_system_sgpr_workgroup_id_x 1
		.amdhsa_system_sgpr_workgroup_id_y 0
		.amdhsa_system_sgpr_workgroup_id_z 0
		.amdhsa_system_sgpr_workgroup_info 0
		.amdhsa_system_vgpr_workitem_id 0
		.amdhsa_next_free_vgpr 65
		.amdhsa_next_free_sgpr 60
		.amdhsa_accum_offset 68
		.amdhsa_reserve_vcc 1
		.amdhsa_reserve_flat_scratch 0
		.amdhsa_float_round_mode_32 0
		.amdhsa_float_round_mode_16_64 0
		.amdhsa_float_denorm_mode_32 3
		.amdhsa_float_denorm_mode_16_64 3
		.amdhsa_dx10_clamp 1
		.amdhsa_ieee_mode 1
		.amdhsa_fp16_overflow 0
		.amdhsa_tg_split 0
		.amdhsa_exception_fp_ieee_invalid_op 0
		.amdhsa_exception_fp_denorm_src 0
		.amdhsa_exception_fp_ieee_div_zero 0
		.amdhsa_exception_fp_ieee_overflow 0
		.amdhsa_exception_fp_ieee_underflow 0
		.amdhsa_exception_fp_ieee_inexact 0
		.amdhsa_exception_int_div_zero 0
	.end_amdhsa_kernel
	.section	.text._ZN7rocprim17ROCPRIM_400000_NS6detail17trampoline_kernelINS0_14default_configENS1_27scan_by_key_config_selectorIiiEEZZNS1_16scan_by_key_implILNS1_25lookback_scan_determinismE0ELb1ES3_N6thrust23THRUST_200600_302600_NS6detail15normal_iteratorINS9_10device_ptrIiEEEESE_SE_iNS9_4plusIvEE19head_flag_predicateIiEiEE10hipError_tPvRmT2_T3_T4_T5_mT6_T7_P12ihipStream_tbENKUlT_T0_E_clISt17integral_constantIbLb1EESY_IbLb0EEEEDaSU_SV_EUlSU_E_NS1_11comp_targetILNS1_3genE4ELNS1_11target_archE910ELNS1_3gpuE8ELNS1_3repE0EEENS1_30default_config_static_selectorELNS0_4arch9wavefront6targetE1EEEvT1_,"axG",@progbits,_ZN7rocprim17ROCPRIM_400000_NS6detail17trampoline_kernelINS0_14default_configENS1_27scan_by_key_config_selectorIiiEEZZNS1_16scan_by_key_implILNS1_25lookback_scan_determinismE0ELb1ES3_N6thrust23THRUST_200600_302600_NS6detail15normal_iteratorINS9_10device_ptrIiEEEESE_SE_iNS9_4plusIvEE19head_flag_predicateIiEiEE10hipError_tPvRmT2_T3_T4_T5_mT6_T7_P12ihipStream_tbENKUlT_T0_E_clISt17integral_constantIbLb1EESY_IbLb0EEEEDaSU_SV_EUlSU_E_NS1_11comp_targetILNS1_3genE4ELNS1_11target_archE910ELNS1_3gpuE8ELNS1_3repE0EEENS1_30default_config_static_selectorELNS0_4arch9wavefront6targetE1EEEvT1_,comdat
.Lfunc_end138:
	.size	_ZN7rocprim17ROCPRIM_400000_NS6detail17trampoline_kernelINS0_14default_configENS1_27scan_by_key_config_selectorIiiEEZZNS1_16scan_by_key_implILNS1_25lookback_scan_determinismE0ELb1ES3_N6thrust23THRUST_200600_302600_NS6detail15normal_iteratorINS9_10device_ptrIiEEEESE_SE_iNS9_4plusIvEE19head_flag_predicateIiEiEE10hipError_tPvRmT2_T3_T4_T5_mT6_T7_P12ihipStream_tbENKUlT_T0_E_clISt17integral_constantIbLb1EESY_IbLb0EEEEDaSU_SV_EUlSU_E_NS1_11comp_targetILNS1_3genE4ELNS1_11target_archE910ELNS1_3gpuE8ELNS1_3repE0EEENS1_30default_config_static_selectorELNS0_4arch9wavefront6targetE1EEEvT1_, .Lfunc_end138-_ZN7rocprim17ROCPRIM_400000_NS6detail17trampoline_kernelINS0_14default_configENS1_27scan_by_key_config_selectorIiiEEZZNS1_16scan_by_key_implILNS1_25lookback_scan_determinismE0ELb1ES3_N6thrust23THRUST_200600_302600_NS6detail15normal_iteratorINS9_10device_ptrIiEEEESE_SE_iNS9_4plusIvEE19head_flag_predicateIiEiEE10hipError_tPvRmT2_T3_T4_T5_mT6_T7_P12ihipStream_tbENKUlT_T0_E_clISt17integral_constantIbLb1EESY_IbLb0EEEEDaSU_SV_EUlSU_E_NS1_11comp_targetILNS1_3genE4ELNS1_11target_archE910ELNS1_3gpuE8ELNS1_3repE0EEENS1_30default_config_static_selectorELNS0_4arch9wavefront6targetE1EEEvT1_
                                        ; -- End function
	.section	.AMDGPU.csdata,"",@progbits
; Kernel info:
; codeLenInByte = 11280
; NumSgprs: 64
; NumVgprs: 65
; NumAgprs: 0
; TotalNumVgprs: 65
; ScratchSize: 0
; MemoryBound: 0
; FloatMode: 240
; IeeeMode: 1
; LDSByteSize: 16384 bytes/workgroup (compile time only)
; SGPRBlocks: 7
; VGPRBlocks: 8
; NumSGPRsForWavesPerEU: 64
; NumVGPRsForWavesPerEU: 65
; AccumOffset: 68
; Occupancy: 4
; WaveLimiterHint : 1
; COMPUTE_PGM_RSRC2:SCRATCH_EN: 0
; COMPUTE_PGM_RSRC2:USER_SGPR: 6
; COMPUTE_PGM_RSRC2:TRAP_HANDLER: 0
; COMPUTE_PGM_RSRC2:TGID_X_EN: 1
; COMPUTE_PGM_RSRC2:TGID_Y_EN: 0
; COMPUTE_PGM_RSRC2:TGID_Z_EN: 0
; COMPUTE_PGM_RSRC2:TIDIG_COMP_CNT: 0
; COMPUTE_PGM_RSRC3_GFX90A:ACCUM_OFFSET: 16
; COMPUTE_PGM_RSRC3_GFX90A:TG_SPLIT: 0
	.section	.text._ZN7rocprim17ROCPRIM_400000_NS6detail17trampoline_kernelINS0_14default_configENS1_27scan_by_key_config_selectorIiiEEZZNS1_16scan_by_key_implILNS1_25lookback_scan_determinismE0ELb1ES3_N6thrust23THRUST_200600_302600_NS6detail15normal_iteratorINS9_10device_ptrIiEEEESE_SE_iNS9_4plusIvEE19head_flag_predicateIiEiEE10hipError_tPvRmT2_T3_T4_T5_mT6_T7_P12ihipStream_tbENKUlT_T0_E_clISt17integral_constantIbLb1EESY_IbLb0EEEEDaSU_SV_EUlSU_E_NS1_11comp_targetILNS1_3genE3ELNS1_11target_archE908ELNS1_3gpuE7ELNS1_3repE0EEENS1_30default_config_static_selectorELNS0_4arch9wavefront6targetE1EEEvT1_,"axG",@progbits,_ZN7rocprim17ROCPRIM_400000_NS6detail17trampoline_kernelINS0_14default_configENS1_27scan_by_key_config_selectorIiiEEZZNS1_16scan_by_key_implILNS1_25lookback_scan_determinismE0ELb1ES3_N6thrust23THRUST_200600_302600_NS6detail15normal_iteratorINS9_10device_ptrIiEEEESE_SE_iNS9_4plusIvEE19head_flag_predicateIiEiEE10hipError_tPvRmT2_T3_T4_T5_mT6_T7_P12ihipStream_tbENKUlT_T0_E_clISt17integral_constantIbLb1EESY_IbLb0EEEEDaSU_SV_EUlSU_E_NS1_11comp_targetILNS1_3genE3ELNS1_11target_archE908ELNS1_3gpuE7ELNS1_3repE0EEENS1_30default_config_static_selectorELNS0_4arch9wavefront6targetE1EEEvT1_,comdat
	.protected	_ZN7rocprim17ROCPRIM_400000_NS6detail17trampoline_kernelINS0_14default_configENS1_27scan_by_key_config_selectorIiiEEZZNS1_16scan_by_key_implILNS1_25lookback_scan_determinismE0ELb1ES3_N6thrust23THRUST_200600_302600_NS6detail15normal_iteratorINS9_10device_ptrIiEEEESE_SE_iNS9_4plusIvEE19head_flag_predicateIiEiEE10hipError_tPvRmT2_T3_T4_T5_mT6_T7_P12ihipStream_tbENKUlT_T0_E_clISt17integral_constantIbLb1EESY_IbLb0EEEEDaSU_SV_EUlSU_E_NS1_11comp_targetILNS1_3genE3ELNS1_11target_archE908ELNS1_3gpuE7ELNS1_3repE0EEENS1_30default_config_static_selectorELNS0_4arch9wavefront6targetE1EEEvT1_ ; -- Begin function _ZN7rocprim17ROCPRIM_400000_NS6detail17trampoline_kernelINS0_14default_configENS1_27scan_by_key_config_selectorIiiEEZZNS1_16scan_by_key_implILNS1_25lookback_scan_determinismE0ELb1ES3_N6thrust23THRUST_200600_302600_NS6detail15normal_iteratorINS9_10device_ptrIiEEEESE_SE_iNS9_4plusIvEE19head_flag_predicateIiEiEE10hipError_tPvRmT2_T3_T4_T5_mT6_T7_P12ihipStream_tbENKUlT_T0_E_clISt17integral_constantIbLb1EESY_IbLb0EEEEDaSU_SV_EUlSU_E_NS1_11comp_targetILNS1_3genE3ELNS1_11target_archE908ELNS1_3gpuE7ELNS1_3repE0EEENS1_30default_config_static_selectorELNS0_4arch9wavefront6targetE1EEEvT1_
	.globl	_ZN7rocprim17ROCPRIM_400000_NS6detail17trampoline_kernelINS0_14default_configENS1_27scan_by_key_config_selectorIiiEEZZNS1_16scan_by_key_implILNS1_25lookback_scan_determinismE0ELb1ES3_N6thrust23THRUST_200600_302600_NS6detail15normal_iteratorINS9_10device_ptrIiEEEESE_SE_iNS9_4plusIvEE19head_flag_predicateIiEiEE10hipError_tPvRmT2_T3_T4_T5_mT6_T7_P12ihipStream_tbENKUlT_T0_E_clISt17integral_constantIbLb1EESY_IbLb0EEEEDaSU_SV_EUlSU_E_NS1_11comp_targetILNS1_3genE3ELNS1_11target_archE908ELNS1_3gpuE7ELNS1_3repE0EEENS1_30default_config_static_selectorELNS0_4arch9wavefront6targetE1EEEvT1_
	.p2align	8
	.type	_ZN7rocprim17ROCPRIM_400000_NS6detail17trampoline_kernelINS0_14default_configENS1_27scan_by_key_config_selectorIiiEEZZNS1_16scan_by_key_implILNS1_25lookback_scan_determinismE0ELb1ES3_N6thrust23THRUST_200600_302600_NS6detail15normal_iteratorINS9_10device_ptrIiEEEESE_SE_iNS9_4plusIvEE19head_flag_predicateIiEiEE10hipError_tPvRmT2_T3_T4_T5_mT6_T7_P12ihipStream_tbENKUlT_T0_E_clISt17integral_constantIbLb1EESY_IbLb0EEEEDaSU_SV_EUlSU_E_NS1_11comp_targetILNS1_3genE3ELNS1_11target_archE908ELNS1_3gpuE7ELNS1_3repE0EEENS1_30default_config_static_selectorELNS0_4arch9wavefront6targetE1EEEvT1_,@function
_ZN7rocprim17ROCPRIM_400000_NS6detail17trampoline_kernelINS0_14default_configENS1_27scan_by_key_config_selectorIiiEEZZNS1_16scan_by_key_implILNS1_25lookback_scan_determinismE0ELb1ES3_N6thrust23THRUST_200600_302600_NS6detail15normal_iteratorINS9_10device_ptrIiEEEESE_SE_iNS9_4plusIvEE19head_flag_predicateIiEiEE10hipError_tPvRmT2_T3_T4_T5_mT6_T7_P12ihipStream_tbENKUlT_T0_E_clISt17integral_constantIbLb1EESY_IbLb0EEEEDaSU_SV_EUlSU_E_NS1_11comp_targetILNS1_3genE3ELNS1_11target_archE908ELNS1_3gpuE7ELNS1_3repE0EEENS1_30default_config_static_selectorELNS0_4arch9wavefront6targetE1EEEvT1_: ; @_ZN7rocprim17ROCPRIM_400000_NS6detail17trampoline_kernelINS0_14default_configENS1_27scan_by_key_config_selectorIiiEEZZNS1_16scan_by_key_implILNS1_25lookback_scan_determinismE0ELb1ES3_N6thrust23THRUST_200600_302600_NS6detail15normal_iteratorINS9_10device_ptrIiEEEESE_SE_iNS9_4plusIvEE19head_flag_predicateIiEiEE10hipError_tPvRmT2_T3_T4_T5_mT6_T7_P12ihipStream_tbENKUlT_T0_E_clISt17integral_constantIbLb1EESY_IbLb0EEEEDaSU_SV_EUlSU_E_NS1_11comp_targetILNS1_3genE3ELNS1_11target_archE908ELNS1_3gpuE7ELNS1_3repE0EEENS1_30default_config_static_selectorELNS0_4arch9wavefront6targetE1EEEvT1_
; %bb.0:
	.section	.rodata,"a",@progbits
	.p2align	6, 0x0
	.amdhsa_kernel _ZN7rocprim17ROCPRIM_400000_NS6detail17trampoline_kernelINS0_14default_configENS1_27scan_by_key_config_selectorIiiEEZZNS1_16scan_by_key_implILNS1_25lookback_scan_determinismE0ELb1ES3_N6thrust23THRUST_200600_302600_NS6detail15normal_iteratorINS9_10device_ptrIiEEEESE_SE_iNS9_4plusIvEE19head_flag_predicateIiEiEE10hipError_tPvRmT2_T3_T4_T5_mT6_T7_P12ihipStream_tbENKUlT_T0_E_clISt17integral_constantIbLb1EESY_IbLb0EEEEDaSU_SV_EUlSU_E_NS1_11comp_targetILNS1_3genE3ELNS1_11target_archE908ELNS1_3gpuE7ELNS1_3repE0EEENS1_30default_config_static_selectorELNS0_4arch9wavefront6targetE1EEEvT1_
		.amdhsa_group_segment_fixed_size 0
		.amdhsa_private_segment_fixed_size 0
		.amdhsa_kernarg_size 112
		.amdhsa_user_sgpr_count 6
		.amdhsa_user_sgpr_private_segment_buffer 1
		.amdhsa_user_sgpr_dispatch_ptr 0
		.amdhsa_user_sgpr_queue_ptr 0
		.amdhsa_user_sgpr_kernarg_segment_ptr 1
		.amdhsa_user_sgpr_dispatch_id 0
		.amdhsa_user_sgpr_flat_scratch_init 0
		.amdhsa_user_sgpr_kernarg_preload_length 0
		.amdhsa_user_sgpr_kernarg_preload_offset 0
		.amdhsa_user_sgpr_private_segment_size 0
		.amdhsa_uses_dynamic_stack 0
		.amdhsa_system_sgpr_private_segment_wavefront_offset 0
		.amdhsa_system_sgpr_workgroup_id_x 1
		.amdhsa_system_sgpr_workgroup_id_y 0
		.amdhsa_system_sgpr_workgroup_id_z 0
		.amdhsa_system_sgpr_workgroup_info 0
		.amdhsa_system_vgpr_workitem_id 0
		.amdhsa_next_free_vgpr 1
		.amdhsa_next_free_sgpr 0
		.amdhsa_accum_offset 4
		.amdhsa_reserve_vcc 0
		.amdhsa_reserve_flat_scratch 0
		.amdhsa_float_round_mode_32 0
		.amdhsa_float_round_mode_16_64 0
		.amdhsa_float_denorm_mode_32 3
		.amdhsa_float_denorm_mode_16_64 3
		.amdhsa_dx10_clamp 1
		.amdhsa_ieee_mode 1
		.amdhsa_fp16_overflow 0
		.amdhsa_tg_split 0
		.amdhsa_exception_fp_ieee_invalid_op 0
		.amdhsa_exception_fp_denorm_src 0
		.amdhsa_exception_fp_ieee_div_zero 0
		.amdhsa_exception_fp_ieee_overflow 0
		.amdhsa_exception_fp_ieee_underflow 0
		.amdhsa_exception_fp_ieee_inexact 0
		.amdhsa_exception_int_div_zero 0
	.end_amdhsa_kernel
	.section	.text._ZN7rocprim17ROCPRIM_400000_NS6detail17trampoline_kernelINS0_14default_configENS1_27scan_by_key_config_selectorIiiEEZZNS1_16scan_by_key_implILNS1_25lookback_scan_determinismE0ELb1ES3_N6thrust23THRUST_200600_302600_NS6detail15normal_iteratorINS9_10device_ptrIiEEEESE_SE_iNS9_4plusIvEE19head_flag_predicateIiEiEE10hipError_tPvRmT2_T3_T4_T5_mT6_T7_P12ihipStream_tbENKUlT_T0_E_clISt17integral_constantIbLb1EESY_IbLb0EEEEDaSU_SV_EUlSU_E_NS1_11comp_targetILNS1_3genE3ELNS1_11target_archE908ELNS1_3gpuE7ELNS1_3repE0EEENS1_30default_config_static_selectorELNS0_4arch9wavefront6targetE1EEEvT1_,"axG",@progbits,_ZN7rocprim17ROCPRIM_400000_NS6detail17trampoline_kernelINS0_14default_configENS1_27scan_by_key_config_selectorIiiEEZZNS1_16scan_by_key_implILNS1_25lookback_scan_determinismE0ELb1ES3_N6thrust23THRUST_200600_302600_NS6detail15normal_iteratorINS9_10device_ptrIiEEEESE_SE_iNS9_4plusIvEE19head_flag_predicateIiEiEE10hipError_tPvRmT2_T3_T4_T5_mT6_T7_P12ihipStream_tbENKUlT_T0_E_clISt17integral_constantIbLb1EESY_IbLb0EEEEDaSU_SV_EUlSU_E_NS1_11comp_targetILNS1_3genE3ELNS1_11target_archE908ELNS1_3gpuE7ELNS1_3repE0EEENS1_30default_config_static_selectorELNS0_4arch9wavefront6targetE1EEEvT1_,comdat
.Lfunc_end139:
	.size	_ZN7rocprim17ROCPRIM_400000_NS6detail17trampoline_kernelINS0_14default_configENS1_27scan_by_key_config_selectorIiiEEZZNS1_16scan_by_key_implILNS1_25lookback_scan_determinismE0ELb1ES3_N6thrust23THRUST_200600_302600_NS6detail15normal_iteratorINS9_10device_ptrIiEEEESE_SE_iNS9_4plusIvEE19head_flag_predicateIiEiEE10hipError_tPvRmT2_T3_T4_T5_mT6_T7_P12ihipStream_tbENKUlT_T0_E_clISt17integral_constantIbLb1EESY_IbLb0EEEEDaSU_SV_EUlSU_E_NS1_11comp_targetILNS1_3genE3ELNS1_11target_archE908ELNS1_3gpuE7ELNS1_3repE0EEENS1_30default_config_static_selectorELNS0_4arch9wavefront6targetE1EEEvT1_, .Lfunc_end139-_ZN7rocprim17ROCPRIM_400000_NS6detail17trampoline_kernelINS0_14default_configENS1_27scan_by_key_config_selectorIiiEEZZNS1_16scan_by_key_implILNS1_25lookback_scan_determinismE0ELb1ES3_N6thrust23THRUST_200600_302600_NS6detail15normal_iteratorINS9_10device_ptrIiEEEESE_SE_iNS9_4plusIvEE19head_flag_predicateIiEiEE10hipError_tPvRmT2_T3_T4_T5_mT6_T7_P12ihipStream_tbENKUlT_T0_E_clISt17integral_constantIbLb1EESY_IbLb0EEEEDaSU_SV_EUlSU_E_NS1_11comp_targetILNS1_3genE3ELNS1_11target_archE908ELNS1_3gpuE7ELNS1_3repE0EEENS1_30default_config_static_selectorELNS0_4arch9wavefront6targetE1EEEvT1_
                                        ; -- End function
	.section	.AMDGPU.csdata,"",@progbits
; Kernel info:
; codeLenInByte = 0
; NumSgprs: 4
; NumVgprs: 0
; NumAgprs: 0
; TotalNumVgprs: 0
; ScratchSize: 0
; MemoryBound: 0
; FloatMode: 240
; IeeeMode: 1
; LDSByteSize: 0 bytes/workgroup (compile time only)
; SGPRBlocks: 0
; VGPRBlocks: 0
; NumSGPRsForWavesPerEU: 4
; NumVGPRsForWavesPerEU: 1
; AccumOffset: 4
; Occupancy: 8
; WaveLimiterHint : 0
; COMPUTE_PGM_RSRC2:SCRATCH_EN: 0
; COMPUTE_PGM_RSRC2:USER_SGPR: 6
; COMPUTE_PGM_RSRC2:TRAP_HANDLER: 0
; COMPUTE_PGM_RSRC2:TGID_X_EN: 1
; COMPUTE_PGM_RSRC2:TGID_Y_EN: 0
; COMPUTE_PGM_RSRC2:TGID_Z_EN: 0
; COMPUTE_PGM_RSRC2:TIDIG_COMP_CNT: 0
; COMPUTE_PGM_RSRC3_GFX90A:ACCUM_OFFSET: 0
; COMPUTE_PGM_RSRC3_GFX90A:TG_SPLIT: 0
	.section	.text._ZN7rocprim17ROCPRIM_400000_NS6detail17trampoline_kernelINS0_14default_configENS1_27scan_by_key_config_selectorIiiEEZZNS1_16scan_by_key_implILNS1_25lookback_scan_determinismE0ELb1ES3_N6thrust23THRUST_200600_302600_NS6detail15normal_iteratorINS9_10device_ptrIiEEEESE_SE_iNS9_4plusIvEE19head_flag_predicateIiEiEE10hipError_tPvRmT2_T3_T4_T5_mT6_T7_P12ihipStream_tbENKUlT_T0_E_clISt17integral_constantIbLb1EESY_IbLb0EEEEDaSU_SV_EUlSU_E_NS1_11comp_targetILNS1_3genE2ELNS1_11target_archE906ELNS1_3gpuE6ELNS1_3repE0EEENS1_30default_config_static_selectorELNS0_4arch9wavefront6targetE1EEEvT1_,"axG",@progbits,_ZN7rocprim17ROCPRIM_400000_NS6detail17trampoline_kernelINS0_14default_configENS1_27scan_by_key_config_selectorIiiEEZZNS1_16scan_by_key_implILNS1_25lookback_scan_determinismE0ELb1ES3_N6thrust23THRUST_200600_302600_NS6detail15normal_iteratorINS9_10device_ptrIiEEEESE_SE_iNS9_4plusIvEE19head_flag_predicateIiEiEE10hipError_tPvRmT2_T3_T4_T5_mT6_T7_P12ihipStream_tbENKUlT_T0_E_clISt17integral_constantIbLb1EESY_IbLb0EEEEDaSU_SV_EUlSU_E_NS1_11comp_targetILNS1_3genE2ELNS1_11target_archE906ELNS1_3gpuE6ELNS1_3repE0EEENS1_30default_config_static_selectorELNS0_4arch9wavefront6targetE1EEEvT1_,comdat
	.protected	_ZN7rocprim17ROCPRIM_400000_NS6detail17trampoline_kernelINS0_14default_configENS1_27scan_by_key_config_selectorIiiEEZZNS1_16scan_by_key_implILNS1_25lookback_scan_determinismE0ELb1ES3_N6thrust23THRUST_200600_302600_NS6detail15normal_iteratorINS9_10device_ptrIiEEEESE_SE_iNS9_4plusIvEE19head_flag_predicateIiEiEE10hipError_tPvRmT2_T3_T4_T5_mT6_T7_P12ihipStream_tbENKUlT_T0_E_clISt17integral_constantIbLb1EESY_IbLb0EEEEDaSU_SV_EUlSU_E_NS1_11comp_targetILNS1_3genE2ELNS1_11target_archE906ELNS1_3gpuE6ELNS1_3repE0EEENS1_30default_config_static_selectorELNS0_4arch9wavefront6targetE1EEEvT1_ ; -- Begin function _ZN7rocprim17ROCPRIM_400000_NS6detail17trampoline_kernelINS0_14default_configENS1_27scan_by_key_config_selectorIiiEEZZNS1_16scan_by_key_implILNS1_25lookback_scan_determinismE0ELb1ES3_N6thrust23THRUST_200600_302600_NS6detail15normal_iteratorINS9_10device_ptrIiEEEESE_SE_iNS9_4plusIvEE19head_flag_predicateIiEiEE10hipError_tPvRmT2_T3_T4_T5_mT6_T7_P12ihipStream_tbENKUlT_T0_E_clISt17integral_constantIbLb1EESY_IbLb0EEEEDaSU_SV_EUlSU_E_NS1_11comp_targetILNS1_3genE2ELNS1_11target_archE906ELNS1_3gpuE6ELNS1_3repE0EEENS1_30default_config_static_selectorELNS0_4arch9wavefront6targetE1EEEvT1_
	.globl	_ZN7rocprim17ROCPRIM_400000_NS6detail17trampoline_kernelINS0_14default_configENS1_27scan_by_key_config_selectorIiiEEZZNS1_16scan_by_key_implILNS1_25lookback_scan_determinismE0ELb1ES3_N6thrust23THRUST_200600_302600_NS6detail15normal_iteratorINS9_10device_ptrIiEEEESE_SE_iNS9_4plusIvEE19head_flag_predicateIiEiEE10hipError_tPvRmT2_T3_T4_T5_mT6_T7_P12ihipStream_tbENKUlT_T0_E_clISt17integral_constantIbLb1EESY_IbLb0EEEEDaSU_SV_EUlSU_E_NS1_11comp_targetILNS1_3genE2ELNS1_11target_archE906ELNS1_3gpuE6ELNS1_3repE0EEENS1_30default_config_static_selectorELNS0_4arch9wavefront6targetE1EEEvT1_
	.p2align	8
	.type	_ZN7rocprim17ROCPRIM_400000_NS6detail17trampoline_kernelINS0_14default_configENS1_27scan_by_key_config_selectorIiiEEZZNS1_16scan_by_key_implILNS1_25lookback_scan_determinismE0ELb1ES3_N6thrust23THRUST_200600_302600_NS6detail15normal_iteratorINS9_10device_ptrIiEEEESE_SE_iNS9_4plusIvEE19head_flag_predicateIiEiEE10hipError_tPvRmT2_T3_T4_T5_mT6_T7_P12ihipStream_tbENKUlT_T0_E_clISt17integral_constantIbLb1EESY_IbLb0EEEEDaSU_SV_EUlSU_E_NS1_11comp_targetILNS1_3genE2ELNS1_11target_archE906ELNS1_3gpuE6ELNS1_3repE0EEENS1_30default_config_static_selectorELNS0_4arch9wavefront6targetE1EEEvT1_,@function
_ZN7rocprim17ROCPRIM_400000_NS6detail17trampoline_kernelINS0_14default_configENS1_27scan_by_key_config_selectorIiiEEZZNS1_16scan_by_key_implILNS1_25lookback_scan_determinismE0ELb1ES3_N6thrust23THRUST_200600_302600_NS6detail15normal_iteratorINS9_10device_ptrIiEEEESE_SE_iNS9_4plusIvEE19head_flag_predicateIiEiEE10hipError_tPvRmT2_T3_T4_T5_mT6_T7_P12ihipStream_tbENKUlT_T0_E_clISt17integral_constantIbLb1EESY_IbLb0EEEEDaSU_SV_EUlSU_E_NS1_11comp_targetILNS1_3genE2ELNS1_11target_archE906ELNS1_3gpuE6ELNS1_3repE0EEENS1_30default_config_static_selectorELNS0_4arch9wavefront6targetE1EEEvT1_: ; @_ZN7rocprim17ROCPRIM_400000_NS6detail17trampoline_kernelINS0_14default_configENS1_27scan_by_key_config_selectorIiiEEZZNS1_16scan_by_key_implILNS1_25lookback_scan_determinismE0ELb1ES3_N6thrust23THRUST_200600_302600_NS6detail15normal_iteratorINS9_10device_ptrIiEEEESE_SE_iNS9_4plusIvEE19head_flag_predicateIiEiEE10hipError_tPvRmT2_T3_T4_T5_mT6_T7_P12ihipStream_tbENKUlT_T0_E_clISt17integral_constantIbLb1EESY_IbLb0EEEEDaSU_SV_EUlSU_E_NS1_11comp_targetILNS1_3genE2ELNS1_11target_archE906ELNS1_3gpuE6ELNS1_3repE0EEENS1_30default_config_static_selectorELNS0_4arch9wavefront6targetE1EEEvT1_
; %bb.0:
	.section	.rodata,"a",@progbits
	.p2align	6, 0x0
	.amdhsa_kernel _ZN7rocprim17ROCPRIM_400000_NS6detail17trampoline_kernelINS0_14default_configENS1_27scan_by_key_config_selectorIiiEEZZNS1_16scan_by_key_implILNS1_25lookback_scan_determinismE0ELb1ES3_N6thrust23THRUST_200600_302600_NS6detail15normal_iteratorINS9_10device_ptrIiEEEESE_SE_iNS9_4plusIvEE19head_flag_predicateIiEiEE10hipError_tPvRmT2_T3_T4_T5_mT6_T7_P12ihipStream_tbENKUlT_T0_E_clISt17integral_constantIbLb1EESY_IbLb0EEEEDaSU_SV_EUlSU_E_NS1_11comp_targetILNS1_3genE2ELNS1_11target_archE906ELNS1_3gpuE6ELNS1_3repE0EEENS1_30default_config_static_selectorELNS0_4arch9wavefront6targetE1EEEvT1_
		.amdhsa_group_segment_fixed_size 0
		.amdhsa_private_segment_fixed_size 0
		.amdhsa_kernarg_size 112
		.amdhsa_user_sgpr_count 6
		.amdhsa_user_sgpr_private_segment_buffer 1
		.amdhsa_user_sgpr_dispatch_ptr 0
		.amdhsa_user_sgpr_queue_ptr 0
		.amdhsa_user_sgpr_kernarg_segment_ptr 1
		.amdhsa_user_sgpr_dispatch_id 0
		.amdhsa_user_sgpr_flat_scratch_init 0
		.amdhsa_user_sgpr_kernarg_preload_length 0
		.amdhsa_user_sgpr_kernarg_preload_offset 0
		.amdhsa_user_sgpr_private_segment_size 0
		.amdhsa_uses_dynamic_stack 0
		.amdhsa_system_sgpr_private_segment_wavefront_offset 0
		.amdhsa_system_sgpr_workgroup_id_x 1
		.amdhsa_system_sgpr_workgroup_id_y 0
		.amdhsa_system_sgpr_workgroup_id_z 0
		.amdhsa_system_sgpr_workgroup_info 0
		.amdhsa_system_vgpr_workitem_id 0
		.amdhsa_next_free_vgpr 1
		.amdhsa_next_free_sgpr 0
		.amdhsa_accum_offset 4
		.amdhsa_reserve_vcc 0
		.amdhsa_reserve_flat_scratch 0
		.amdhsa_float_round_mode_32 0
		.amdhsa_float_round_mode_16_64 0
		.amdhsa_float_denorm_mode_32 3
		.amdhsa_float_denorm_mode_16_64 3
		.amdhsa_dx10_clamp 1
		.amdhsa_ieee_mode 1
		.amdhsa_fp16_overflow 0
		.amdhsa_tg_split 0
		.amdhsa_exception_fp_ieee_invalid_op 0
		.amdhsa_exception_fp_denorm_src 0
		.amdhsa_exception_fp_ieee_div_zero 0
		.amdhsa_exception_fp_ieee_overflow 0
		.amdhsa_exception_fp_ieee_underflow 0
		.amdhsa_exception_fp_ieee_inexact 0
		.amdhsa_exception_int_div_zero 0
	.end_amdhsa_kernel
	.section	.text._ZN7rocprim17ROCPRIM_400000_NS6detail17trampoline_kernelINS0_14default_configENS1_27scan_by_key_config_selectorIiiEEZZNS1_16scan_by_key_implILNS1_25lookback_scan_determinismE0ELb1ES3_N6thrust23THRUST_200600_302600_NS6detail15normal_iteratorINS9_10device_ptrIiEEEESE_SE_iNS9_4plusIvEE19head_flag_predicateIiEiEE10hipError_tPvRmT2_T3_T4_T5_mT6_T7_P12ihipStream_tbENKUlT_T0_E_clISt17integral_constantIbLb1EESY_IbLb0EEEEDaSU_SV_EUlSU_E_NS1_11comp_targetILNS1_3genE2ELNS1_11target_archE906ELNS1_3gpuE6ELNS1_3repE0EEENS1_30default_config_static_selectorELNS0_4arch9wavefront6targetE1EEEvT1_,"axG",@progbits,_ZN7rocprim17ROCPRIM_400000_NS6detail17trampoline_kernelINS0_14default_configENS1_27scan_by_key_config_selectorIiiEEZZNS1_16scan_by_key_implILNS1_25lookback_scan_determinismE0ELb1ES3_N6thrust23THRUST_200600_302600_NS6detail15normal_iteratorINS9_10device_ptrIiEEEESE_SE_iNS9_4plusIvEE19head_flag_predicateIiEiEE10hipError_tPvRmT2_T3_T4_T5_mT6_T7_P12ihipStream_tbENKUlT_T0_E_clISt17integral_constantIbLb1EESY_IbLb0EEEEDaSU_SV_EUlSU_E_NS1_11comp_targetILNS1_3genE2ELNS1_11target_archE906ELNS1_3gpuE6ELNS1_3repE0EEENS1_30default_config_static_selectorELNS0_4arch9wavefront6targetE1EEEvT1_,comdat
.Lfunc_end140:
	.size	_ZN7rocprim17ROCPRIM_400000_NS6detail17trampoline_kernelINS0_14default_configENS1_27scan_by_key_config_selectorIiiEEZZNS1_16scan_by_key_implILNS1_25lookback_scan_determinismE0ELb1ES3_N6thrust23THRUST_200600_302600_NS6detail15normal_iteratorINS9_10device_ptrIiEEEESE_SE_iNS9_4plusIvEE19head_flag_predicateIiEiEE10hipError_tPvRmT2_T3_T4_T5_mT6_T7_P12ihipStream_tbENKUlT_T0_E_clISt17integral_constantIbLb1EESY_IbLb0EEEEDaSU_SV_EUlSU_E_NS1_11comp_targetILNS1_3genE2ELNS1_11target_archE906ELNS1_3gpuE6ELNS1_3repE0EEENS1_30default_config_static_selectorELNS0_4arch9wavefront6targetE1EEEvT1_, .Lfunc_end140-_ZN7rocprim17ROCPRIM_400000_NS6detail17trampoline_kernelINS0_14default_configENS1_27scan_by_key_config_selectorIiiEEZZNS1_16scan_by_key_implILNS1_25lookback_scan_determinismE0ELb1ES3_N6thrust23THRUST_200600_302600_NS6detail15normal_iteratorINS9_10device_ptrIiEEEESE_SE_iNS9_4plusIvEE19head_flag_predicateIiEiEE10hipError_tPvRmT2_T3_T4_T5_mT6_T7_P12ihipStream_tbENKUlT_T0_E_clISt17integral_constantIbLb1EESY_IbLb0EEEEDaSU_SV_EUlSU_E_NS1_11comp_targetILNS1_3genE2ELNS1_11target_archE906ELNS1_3gpuE6ELNS1_3repE0EEENS1_30default_config_static_selectorELNS0_4arch9wavefront6targetE1EEEvT1_
                                        ; -- End function
	.section	.AMDGPU.csdata,"",@progbits
; Kernel info:
; codeLenInByte = 0
; NumSgprs: 4
; NumVgprs: 0
; NumAgprs: 0
; TotalNumVgprs: 0
; ScratchSize: 0
; MemoryBound: 0
; FloatMode: 240
; IeeeMode: 1
; LDSByteSize: 0 bytes/workgroup (compile time only)
; SGPRBlocks: 0
; VGPRBlocks: 0
; NumSGPRsForWavesPerEU: 4
; NumVGPRsForWavesPerEU: 1
; AccumOffset: 4
; Occupancy: 8
; WaveLimiterHint : 0
; COMPUTE_PGM_RSRC2:SCRATCH_EN: 0
; COMPUTE_PGM_RSRC2:USER_SGPR: 6
; COMPUTE_PGM_RSRC2:TRAP_HANDLER: 0
; COMPUTE_PGM_RSRC2:TGID_X_EN: 1
; COMPUTE_PGM_RSRC2:TGID_Y_EN: 0
; COMPUTE_PGM_RSRC2:TGID_Z_EN: 0
; COMPUTE_PGM_RSRC2:TIDIG_COMP_CNT: 0
; COMPUTE_PGM_RSRC3_GFX90A:ACCUM_OFFSET: 0
; COMPUTE_PGM_RSRC3_GFX90A:TG_SPLIT: 0
	.section	.text._ZN7rocprim17ROCPRIM_400000_NS6detail17trampoline_kernelINS0_14default_configENS1_27scan_by_key_config_selectorIiiEEZZNS1_16scan_by_key_implILNS1_25lookback_scan_determinismE0ELb1ES3_N6thrust23THRUST_200600_302600_NS6detail15normal_iteratorINS9_10device_ptrIiEEEESE_SE_iNS9_4plusIvEE19head_flag_predicateIiEiEE10hipError_tPvRmT2_T3_T4_T5_mT6_T7_P12ihipStream_tbENKUlT_T0_E_clISt17integral_constantIbLb1EESY_IbLb0EEEEDaSU_SV_EUlSU_E_NS1_11comp_targetILNS1_3genE10ELNS1_11target_archE1200ELNS1_3gpuE4ELNS1_3repE0EEENS1_30default_config_static_selectorELNS0_4arch9wavefront6targetE1EEEvT1_,"axG",@progbits,_ZN7rocprim17ROCPRIM_400000_NS6detail17trampoline_kernelINS0_14default_configENS1_27scan_by_key_config_selectorIiiEEZZNS1_16scan_by_key_implILNS1_25lookback_scan_determinismE0ELb1ES3_N6thrust23THRUST_200600_302600_NS6detail15normal_iteratorINS9_10device_ptrIiEEEESE_SE_iNS9_4plusIvEE19head_flag_predicateIiEiEE10hipError_tPvRmT2_T3_T4_T5_mT6_T7_P12ihipStream_tbENKUlT_T0_E_clISt17integral_constantIbLb1EESY_IbLb0EEEEDaSU_SV_EUlSU_E_NS1_11comp_targetILNS1_3genE10ELNS1_11target_archE1200ELNS1_3gpuE4ELNS1_3repE0EEENS1_30default_config_static_selectorELNS0_4arch9wavefront6targetE1EEEvT1_,comdat
	.protected	_ZN7rocprim17ROCPRIM_400000_NS6detail17trampoline_kernelINS0_14default_configENS1_27scan_by_key_config_selectorIiiEEZZNS1_16scan_by_key_implILNS1_25lookback_scan_determinismE0ELb1ES3_N6thrust23THRUST_200600_302600_NS6detail15normal_iteratorINS9_10device_ptrIiEEEESE_SE_iNS9_4plusIvEE19head_flag_predicateIiEiEE10hipError_tPvRmT2_T3_T4_T5_mT6_T7_P12ihipStream_tbENKUlT_T0_E_clISt17integral_constantIbLb1EESY_IbLb0EEEEDaSU_SV_EUlSU_E_NS1_11comp_targetILNS1_3genE10ELNS1_11target_archE1200ELNS1_3gpuE4ELNS1_3repE0EEENS1_30default_config_static_selectorELNS0_4arch9wavefront6targetE1EEEvT1_ ; -- Begin function _ZN7rocprim17ROCPRIM_400000_NS6detail17trampoline_kernelINS0_14default_configENS1_27scan_by_key_config_selectorIiiEEZZNS1_16scan_by_key_implILNS1_25lookback_scan_determinismE0ELb1ES3_N6thrust23THRUST_200600_302600_NS6detail15normal_iteratorINS9_10device_ptrIiEEEESE_SE_iNS9_4plusIvEE19head_flag_predicateIiEiEE10hipError_tPvRmT2_T3_T4_T5_mT6_T7_P12ihipStream_tbENKUlT_T0_E_clISt17integral_constantIbLb1EESY_IbLb0EEEEDaSU_SV_EUlSU_E_NS1_11comp_targetILNS1_3genE10ELNS1_11target_archE1200ELNS1_3gpuE4ELNS1_3repE0EEENS1_30default_config_static_selectorELNS0_4arch9wavefront6targetE1EEEvT1_
	.globl	_ZN7rocprim17ROCPRIM_400000_NS6detail17trampoline_kernelINS0_14default_configENS1_27scan_by_key_config_selectorIiiEEZZNS1_16scan_by_key_implILNS1_25lookback_scan_determinismE0ELb1ES3_N6thrust23THRUST_200600_302600_NS6detail15normal_iteratorINS9_10device_ptrIiEEEESE_SE_iNS9_4plusIvEE19head_flag_predicateIiEiEE10hipError_tPvRmT2_T3_T4_T5_mT6_T7_P12ihipStream_tbENKUlT_T0_E_clISt17integral_constantIbLb1EESY_IbLb0EEEEDaSU_SV_EUlSU_E_NS1_11comp_targetILNS1_3genE10ELNS1_11target_archE1200ELNS1_3gpuE4ELNS1_3repE0EEENS1_30default_config_static_selectorELNS0_4arch9wavefront6targetE1EEEvT1_
	.p2align	8
	.type	_ZN7rocprim17ROCPRIM_400000_NS6detail17trampoline_kernelINS0_14default_configENS1_27scan_by_key_config_selectorIiiEEZZNS1_16scan_by_key_implILNS1_25lookback_scan_determinismE0ELb1ES3_N6thrust23THRUST_200600_302600_NS6detail15normal_iteratorINS9_10device_ptrIiEEEESE_SE_iNS9_4plusIvEE19head_flag_predicateIiEiEE10hipError_tPvRmT2_T3_T4_T5_mT6_T7_P12ihipStream_tbENKUlT_T0_E_clISt17integral_constantIbLb1EESY_IbLb0EEEEDaSU_SV_EUlSU_E_NS1_11comp_targetILNS1_3genE10ELNS1_11target_archE1200ELNS1_3gpuE4ELNS1_3repE0EEENS1_30default_config_static_selectorELNS0_4arch9wavefront6targetE1EEEvT1_,@function
_ZN7rocprim17ROCPRIM_400000_NS6detail17trampoline_kernelINS0_14default_configENS1_27scan_by_key_config_selectorIiiEEZZNS1_16scan_by_key_implILNS1_25lookback_scan_determinismE0ELb1ES3_N6thrust23THRUST_200600_302600_NS6detail15normal_iteratorINS9_10device_ptrIiEEEESE_SE_iNS9_4plusIvEE19head_flag_predicateIiEiEE10hipError_tPvRmT2_T3_T4_T5_mT6_T7_P12ihipStream_tbENKUlT_T0_E_clISt17integral_constantIbLb1EESY_IbLb0EEEEDaSU_SV_EUlSU_E_NS1_11comp_targetILNS1_3genE10ELNS1_11target_archE1200ELNS1_3gpuE4ELNS1_3repE0EEENS1_30default_config_static_selectorELNS0_4arch9wavefront6targetE1EEEvT1_: ; @_ZN7rocprim17ROCPRIM_400000_NS6detail17trampoline_kernelINS0_14default_configENS1_27scan_by_key_config_selectorIiiEEZZNS1_16scan_by_key_implILNS1_25lookback_scan_determinismE0ELb1ES3_N6thrust23THRUST_200600_302600_NS6detail15normal_iteratorINS9_10device_ptrIiEEEESE_SE_iNS9_4plusIvEE19head_flag_predicateIiEiEE10hipError_tPvRmT2_T3_T4_T5_mT6_T7_P12ihipStream_tbENKUlT_T0_E_clISt17integral_constantIbLb1EESY_IbLb0EEEEDaSU_SV_EUlSU_E_NS1_11comp_targetILNS1_3genE10ELNS1_11target_archE1200ELNS1_3gpuE4ELNS1_3repE0EEENS1_30default_config_static_selectorELNS0_4arch9wavefront6targetE1EEEvT1_
; %bb.0:
	.section	.rodata,"a",@progbits
	.p2align	6, 0x0
	.amdhsa_kernel _ZN7rocprim17ROCPRIM_400000_NS6detail17trampoline_kernelINS0_14default_configENS1_27scan_by_key_config_selectorIiiEEZZNS1_16scan_by_key_implILNS1_25lookback_scan_determinismE0ELb1ES3_N6thrust23THRUST_200600_302600_NS6detail15normal_iteratorINS9_10device_ptrIiEEEESE_SE_iNS9_4plusIvEE19head_flag_predicateIiEiEE10hipError_tPvRmT2_T3_T4_T5_mT6_T7_P12ihipStream_tbENKUlT_T0_E_clISt17integral_constantIbLb1EESY_IbLb0EEEEDaSU_SV_EUlSU_E_NS1_11comp_targetILNS1_3genE10ELNS1_11target_archE1200ELNS1_3gpuE4ELNS1_3repE0EEENS1_30default_config_static_selectorELNS0_4arch9wavefront6targetE1EEEvT1_
		.amdhsa_group_segment_fixed_size 0
		.amdhsa_private_segment_fixed_size 0
		.amdhsa_kernarg_size 112
		.amdhsa_user_sgpr_count 6
		.amdhsa_user_sgpr_private_segment_buffer 1
		.amdhsa_user_sgpr_dispatch_ptr 0
		.amdhsa_user_sgpr_queue_ptr 0
		.amdhsa_user_sgpr_kernarg_segment_ptr 1
		.amdhsa_user_sgpr_dispatch_id 0
		.amdhsa_user_sgpr_flat_scratch_init 0
		.amdhsa_user_sgpr_kernarg_preload_length 0
		.amdhsa_user_sgpr_kernarg_preload_offset 0
		.amdhsa_user_sgpr_private_segment_size 0
		.amdhsa_uses_dynamic_stack 0
		.amdhsa_system_sgpr_private_segment_wavefront_offset 0
		.amdhsa_system_sgpr_workgroup_id_x 1
		.amdhsa_system_sgpr_workgroup_id_y 0
		.amdhsa_system_sgpr_workgroup_id_z 0
		.amdhsa_system_sgpr_workgroup_info 0
		.amdhsa_system_vgpr_workitem_id 0
		.amdhsa_next_free_vgpr 1
		.amdhsa_next_free_sgpr 0
		.amdhsa_accum_offset 4
		.amdhsa_reserve_vcc 0
		.amdhsa_reserve_flat_scratch 0
		.amdhsa_float_round_mode_32 0
		.amdhsa_float_round_mode_16_64 0
		.amdhsa_float_denorm_mode_32 3
		.amdhsa_float_denorm_mode_16_64 3
		.amdhsa_dx10_clamp 1
		.amdhsa_ieee_mode 1
		.amdhsa_fp16_overflow 0
		.amdhsa_tg_split 0
		.amdhsa_exception_fp_ieee_invalid_op 0
		.amdhsa_exception_fp_denorm_src 0
		.amdhsa_exception_fp_ieee_div_zero 0
		.amdhsa_exception_fp_ieee_overflow 0
		.amdhsa_exception_fp_ieee_underflow 0
		.amdhsa_exception_fp_ieee_inexact 0
		.amdhsa_exception_int_div_zero 0
	.end_amdhsa_kernel
	.section	.text._ZN7rocprim17ROCPRIM_400000_NS6detail17trampoline_kernelINS0_14default_configENS1_27scan_by_key_config_selectorIiiEEZZNS1_16scan_by_key_implILNS1_25lookback_scan_determinismE0ELb1ES3_N6thrust23THRUST_200600_302600_NS6detail15normal_iteratorINS9_10device_ptrIiEEEESE_SE_iNS9_4plusIvEE19head_flag_predicateIiEiEE10hipError_tPvRmT2_T3_T4_T5_mT6_T7_P12ihipStream_tbENKUlT_T0_E_clISt17integral_constantIbLb1EESY_IbLb0EEEEDaSU_SV_EUlSU_E_NS1_11comp_targetILNS1_3genE10ELNS1_11target_archE1200ELNS1_3gpuE4ELNS1_3repE0EEENS1_30default_config_static_selectorELNS0_4arch9wavefront6targetE1EEEvT1_,"axG",@progbits,_ZN7rocprim17ROCPRIM_400000_NS6detail17trampoline_kernelINS0_14default_configENS1_27scan_by_key_config_selectorIiiEEZZNS1_16scan_by_key_implILNS1_25lookback_scan_determinismE0ELb1ES3_N6thrust23THRUST_200600_302600_NS6detail15normal_iteratorINS9_10device_ptrIiEEEESE_SE_iNS9_4plusIvEE19head_flag_predicateIiEiEE10hipError_tPvRmT2_T3_T4_T5_mT6_T7_P12ihipStream_tbENKUlT_T0_E_clISt17integral_constantIbLb1EESY_IbLb0EEEEDaSU_SV_EUlSU_E_NS1_11comp_targetILNS1_3genE10ELNS1_11target_archE1200ELNS1_3gpuE4ELNS1_3repE0EEENS1_30default_config_static_selectorELNS0_4arch9wavefront6targetE1EEEvT1_,comdat
.Lfunc_end141:
	.size	_ZN7rocprim17ROCPRIM_400000_NS6detail17trampoline_kernelINS0_14default_configENS1_27scan_by_key_config_selectorIiiEEZZNS1_16scan_by_key_implILNS1_25lookback_scan_determinismE0ELb1ES3_N6thrust23THRUST_200600_302600_NS6detail15normal_iteratorINS9_10device_ptrIiEEEESE_SE_iNS9_4plusIvEE19head_flag_predicateIiEiEE10hipError_tPvRmT2_T3_T4_T5_mT6_T7_P12ihipStream_tbENKUlT_T0_E_clISt17integral_constantIbLb1EESY_IbLb0EEEEDaSU_SV_EUlSU_E_NS1_11comp_targetILNS1_3genE10ELNS1_11target_archE1200ELNS1_3gpuE4ELNS1_3repE0EEENS1_30default_config_static_selectorELNS0_4arch9wavefront6targetE1EEEvT1_, .Lfunc_end141-_ZN7rocprim17ROCPRIM_400000_NS6detail17trampoline_kernelINS0_14default_configENS1_27scan_by_key_config_selectorIiiEEZZNS1_16scan_by_key_implILNS1_25lookback_scan_determinismE0ELb1ES3_N6thrust23THRUST_200600_302600_NS6detail15normal_iteratorINS9_10device_ptrIiEEEESE_SE_iNS9_4plusIvEE19head_flag_predicateIiEiEE10hipError_tPvRmT2_T3_T4_T5_mT6_T7_P12ihipStream_tbENKUlT_T0_E_clISt17integral_constantIbLb1EESY_IbLb0EEEEDaSU_SV_EUlSU_E_NS1_11comp_targetILNS1_3genE10ELNS1_11target_archE1200ELNS1_3gpuE4ELNS1_3repE0EEENS1_30default_config_static_selectorELNS0_4arch9wavefront6targetE1EEEvT1_
                                        ; -- End function
	.section	.AMDGPU.csdata,"",@progbits
; Kernel info:
; codeLenInByte = 0
; NumSgprs: 4
; NumVgprs: 0
; NumAgprs: 0
; TotalNumVgprs: 0
; ScratchSize: 0
; MemoryBound: 0
; FloatMode: 240
; IeeeMode: 1
; LDSByteSize: 0 bytes/workgroup (compile time only)
; SGPRBlocks: 0
; VGPRBlocks: 0
; NumSGPRsForWavesPerEU: 4
; NumVGPRsForWavesPerEU: 1
; AccumOffset: 4
; Occupancy: 8
; WaveLimiterHint : 0
; COMPUTE_PGM_RSRC2:SCRATCH_EN: 0
; COMPUTE_PGM_RSRC2:USER_SGPR: 6
; COMPUTE_PGM_RSRC2:TRAP_HANDLER: 0
; COMPUTE_PGM_RSRC2:TGID_X_EN: 1
; COMPUTE_PGM_RSRC2:TGID_Y_EN: 0
; COMPUTE_PGM_RSRC2:TGID_Z_EN: 0
; COMPUTE_PGM_RSRC2:TIDIG_COMP_CNT: 0
; COMPUTE_PGM_RSRC3_GFX90A:ACCUM_OFFSET: 0
; COMPUTE_PGM_RSRC3_GFX90A:TG_SPLIT: 0
	.section	.text._ZN7rocprim17ROCPRIM_400000_NS6detail17trampoline_kernelINS0_14default_configENS1_27scan_by_key_config_selectorIiiEEZZNS1_16scan_by_key_implILNS1_25lookback_scan_determinismE0ELb1ES3_N6thrust23THRUST_200600_302600_NS6detail15normal_iteratorINS9_10device_ptrIiEEEESE_SE_iNS9_4plusIvEE19head_flag_predicateIiEiEE10hipError_tPvRmT2_T3_T4_T5_mT6_T7_P12ihipStream_tbENKUlT_T0_E_clISt17integral_constantIbLb1EESY_IbLb0EEEEDaSU_SV_EUlSU_E_NS1_11comp_targetILNS1_3genE9ELNS1_11target_archE1100ELNS1_3gpuE3ELNS1_3repE0EEENS1_30default_config_static_selectorELNS0_4arch9wavefront6targetE1EEEvT1_,"axG",@progbits,_ZN7rocprim17ROCPRIM_400000_NS6detail17trampoline_kernelINS0_14default_configENS1_27scan_by_key_config_selectorIiiEEZZNS1_16scan_by_key_implILNS1_25lookback_scan_determinismE0ELb1ES3_N6thrust23THRUST_200600_302600_NS6detail15normal_iteratorINS9_10device_ptrIiEEEESE_SE_iNS9_4plusIvEE19head_flag_predicateIiEiEE10hipError_tPvRmT2_T3_T4_T5_mT6_T7_P12ihipStream_tbENKUlT_T0_E_clISt17integral_constantIbLb1EESY_IbLb0EEEEDaSU_SV_EUlSU_E_NS1_11comp_targetILNS1_3genE9ELNS1_11target_archE1100ELNS1_3gpuE3ELNS1_3repE0EEENS1_30default_config_static_selectorELNS0_4arch9wavefront6targetE1EEEvT1_,comdat
	.protected	_ZN7rocprim17ROCPRIM_400000_NS6detail17trampoline_kernelINS0_14default_configENS1_27scan_by_key_config_selectorIiiEEZZNS1_16scan_by_key_implILNS1_25lookback_scan_determinismE0ELb1ES3_N6thrust23THRUST_200600_302600_NS6detail15normal_iteratorINS9_10device_ptrIiEEEESE_SE_iNS9_4plusIvEE19head_flag_predicateIiEiEE10hipError_tPvRmT2_T3_T4_T5_mT6_T7_P12ihipStream_tbENKUlT_T0_E_clISt17integral_constantIbLb1EESY_IbLb0EEEEDaSU_SV_EUlSU_E_NS1_11comp_targetILNS1_3genE9ELNS1_11target_archE1100ELNS1_3gpuE3ELNS1_3repE0EEENS1_30default_config_static_selectorELNS0_4arch9wavefront6targetE1EEEvT1_ ; -- Begin function _ZN7rocprim17ROCPRIM_400000_NS6detail17trampoline_kernelINS0_14default_configENS1_27scan_by_key_config_selectorIiiEEZZNS1_16scan_by_key_implILNS1_25lookback_scan_determinismE0ELb1ES3_N6thrust23THRUST_200600_302600_NS6detail15normal_iteratorINS9_10device_ptrIiEEEESE_SE_iNS9_4plusIvEE19head_flag_predicateIiEiEE10hipError_tPvRmT2_T3_T4_T5_mT6_T7_P12ihipStream_tbENKUlT_T0_E_clISt17integral_constantIbLb1EESY_IbLb0EEEEDaSU_SV_EUlSU_E_NS1_11comp_targetILNS1_3genE9ELNS1_11target_archE1100ELNS1_3gpuE3ELNS1_3repE0EEENS1_30default_config_static_selectorELNS0_4arch9wavefront6targetE1EEEvT1_
	.globl	_ZN7rocprim17ROCPRIM_400000_NS6detail17trampoline_kernelINS0_14default_configENS1_27scan_by_key_config_selectorIiiEEZZNS1_16scan_by_key_implILNS1_25lookback_scan_determinismE0ELb1ES3_N6thrust23THRUST_200600_302600_NS6detail15normal_iteratorINS9_10device_ptrIiEEEESE_SE_iNS9_4plusIvEE19head_flag_predicateIiEiEE10hipError_tPvRmT2_T3_T4_T5_mT6_T7_P12ihipStream_tbENKUlT_T0_E_clISt17integral_constantIbLb1EESY_IbLb0EEEEDaSU_SV_EUlSU_E_NS1_11comp_targetILNS1_3genE9ELNS1_11target_archE1100ELNS1_3gpuE3ELNS1_3repE0EEENS1_30default_config_static_selectorELNS0_4arch9wavefront6targetE1EEEvT1_
	.p2align	8
	.type	_ZN7rocprim17ROCPRIM_400000_NS6detail17trampoline_kernelINS0_14default_configENS1_27scan_by_key_config_selectorIiiEEZZNS1_16scan_by_key_implILNS1_25lookback_scan_determinismE0ELb1ES3_N6thrust23THRUST_200600_302600_NS6detail15normal_iteratorINS9_10device_ptrIiEEEESE_SE_iNS9_4plusIvEE19head_flag_predicateIiEiEE10hipError_tPvRmT2_T3_T4_T5_mT6_T7_P12ihipStream_tbENKUlT_T0_E_clISt17integral_constantIbLb1EESY_IbLb0EEEEDaSU_SV_EUlSU_E_NS1_11comp_targetILNS1_3genE9ELNS1_11target_archE1100ELNS1_3gpuE3ELNS1_3repE0EEENS1_30default_config_static_selectorELNS0_4arch9wavefront6targetE1EEEvT1_,@function
_ZN7rocprim17ROCPRIM_400000_NS6detail17trampoline_kernelINS0_14default_configENS1_27scan_by_key_config_selectorIiiEEZZNS1_16scan_by_key_implILNS1_25lookback_scan_determinismE0ELb1ES3_N6thrust23THRUST_200600_302600_NS6detail15normal_iteratorINS9_10device_ptrIiEEEESE_SE_iNS9_4plusIvEE19head_flag_predicateIiEiEE10hipError_tPvRmT2_T3_T4_T5_mT6_T7_P12ihipStream_tbENKUlT_T0_E_clISt17integral_constantIbLb1EESY_IbLb0EEEEDaSU_SV_EUlSU_E_NS1_11comp_targetILNS1_3genE9ELNS1_11target_archE1100ELNS1_3gpuE3ELNS1_3repE0EEENS1_30default_config_static_selectorELNS0_4arch9wavefront6targetE1EEEvT1_: ; @_ZN7rocprim17ROCPRIM_400000_NS6detail17trampoline_kernelINS0_14default_configENS1_27scan_by_key_config_selectorIiiEEZZNS1_16scan_by_key_implILNS1_25lookback_scan_determinismE0ELb1ES3_N6thrust23THRUST_200600_302600_NS6detail15normal_iteratorINS9_10device_ptrIiEEEESE_SE_iNS9_4plusIvEE19head_flag_predicateIiEiEE10hipError_tPvRmT2_T3_T4_T5_mT6_T7_P12ihipStream_tbENKUlT_T0_E_clISt17integral_constantIbLb1EESY_IbLb0EEEEDaSU_SV_EUlSU_E_NS1_11comp_targetILNS1_3genE9ELNS1_11target_archE1100ELNS1_3gpuE3ELNS1_3repE0EEENS1_30default_config_static_selectorELNS0_4arch9wavefront6targetE1EEEvT1_
; %bb.0:
	.section	.rodata,"a",@progbits
	.p2align	6, 0x0
	.amdhsa_kernel _ZN7rocprim17ROCPRIM_400000_NS6detail17trampoline_kernelINS0_14default_configENS1_27scan_by_key_config_selectorIiiEEZZNS1_16scan_by_key_implILNS1_25lookback_scan_determinismE0ELb1ES3_N6thrust23THRUST_200600_302600_NS6detail15normal_iteratorINS9_10device_ptrIiEEEESE_SE_iNS9_4plusIvEE19head_flag_predicateIiEiEE10hipError_tPvRmT2_T3_T4_T5_mT6_T7_P12ihipStream_tbENKUlT_T0_E_clISt17integral_constantIbLb1EESY_IbLb0EEEEDaSU_SV_EUlSU_E_NS1_11comp_targetILNS1_3genE9ELNS1_11target_archE1100ELNS1_3gpuE3ELNS1_3repE0EEENS1_30default_config_static_selectorELNS0_4arch9wavefront6targetE1EEEvT1_
		.amdhsa_group_segment_fixed_size 0
		.amdhsa_private_segment_fixed_size 0
		.amdhsa_kernarg_size 112
		.amdhsa_user_sgpr_count 6
		.amdhsa_user_sgpr_private_segment_buffer 1
		.amdhsa_user_sgpr_dispatch_ptr 0
		.amdhsa_user_sgpr_queue_ptr 0
		.amdhsa_user_sgpr_kernarg_segment_ptr 1
		.amdhsa_user_sgpr_dispatch_id 0
		.amdhsa_user_sgpr_flat_scratch_init 0
		.amdhsa_user_sgpr_kernarg_preload_length 0
		.amdhsa_user_sgpr_kernarg_preload_offset 0
		.amdhsa_user_sgpr_private_segment_size 0
		.amdhsa_uses_dynamic_stack 0
		.amdhsa_system_sgpr_private_segment_wavefront_offset 0
		.amdhsa_system_sgpr_workgroup_id_x 1
		.amdhsa_system_sgpr_workgroup_id_y 0
		.amdhsa_system_sgpr_workgroup_id_z 0
		.amdhsa_system_sgpr_workgroup_info 0
		.amdhsa_system_vgpr_workitem_id 0
		.amdhsa_next_free_vgpr 1
		.amdhsa_next_free_sgpr 0
		.amdhsa_accum_offset 4
		.amdhsa_reserve_vcc 0
		.amdhsa_reserve_flat_scratch 0
		.amdhsa_float_round_mode_32 0
		.amdhsa_float_round_mode_16_64 0
		.amdhsa_float_denorm_mode_32 3
		.amdhsa_float_denorm_mode_16_64 3
		.amdhsa_dx10_clamp 1
		.amdhsa_ieee_mode 1
		.amdhsa_fp16_overflow 0
		.amdhsa_tg_split 0
		.amdhsa_exception_fp_ieee_invalid_op 0
		.amdhsa_exception_fp_denorm_src 0
		.amdhsa_exception_fp_ieee_div_zero 0
		.amdhsa_exception_fp_ieee_overflow 0
		.amdhsa_exception_fp_ieee_underflow 0
		.amdhsa_exception_fp_ieee_inexact 0
		.amdhsa_exception_int_div_zero 0
	.end_amdhsa_kernel
	.section	.text._ZN7rocprim17ROCPRIM_400000_NS6detail17trampoline_kernelINS0_14default_configENS1_27scan_by_key_config_selectorIiiEEZZNS1_16scan_by_key_implILNS1_25lookback_scan_determinismE0ELb1ES3_N6thrust23THRUST_200600_302600_NS6detail15normal_iteratorINS9_10device_ptrIiEEEESE_SE_iNS9_4plusIvEE19head_flag_predicateIiEiEE10hipError_tPvRmT2_T3_T4_T5_mT6_T7_P12ihipStream_tbENKUlT_T0_E_clISt17integral_constantIbLb1EESY_IbLb0EEEEDaSU_SV_EUlSU_E_NS1_11comp_targetILNS1_3genE9ELNS1_11target_archE1100ELNS1_3gpuE3ELNS1_3repE0EEENS1_30default_config_static_selectorELNS0_4arch9wavefront6targetE1EEEvT1_,"axG",@progbits,_ZN7rocprim17ROCPRIM_400000_NS6detail17trampoline_kernelINS0_14default_configENS1_27scan_by_key_config_selectorIiiEEZZNS1_16scan_by_key_implILNS1_25lookback_scan_determinismE0ELb1ES3_N6thrust23THRUST_200600_302600_NS6detail15normal_iteratorINS9_10device_ptrIiEEEESE_SE_iNS9_4plusIvEE19head_flag_predicateIiEiEE10hipError_tPvRmT2_T3_T4_T5_mT6_T7_P12ihipStream_tbENKUlT_T0_E_clISt17integral_constantIbLb1EESY_IbLb0EEEEDaSU_SV_EUlSU_E_NS1_11comp_targetILNS1_3genE9ELNS1_11target_archE1100ELNS1_3gpuE3ELNS1_3repE0EEENS1_30default_config_static_selectorELNS0_4arch9wavefront6targetE1EEEvT1_,comdat
.Lfunc_end142:
	.size	_ZN7rocprim17ROCPRIM_400000_NS6detail17trampoline_kernelINS0_14default_configENS1_27scan_by_key_config_selectorIiiEEZZNS1_16scan_by_key_implILNS1_25lookback_scan_determinismE0ELb1ES3_N6thrust23THRUST_200600_302600_NS6detail15normal_iteratorINS9_10device_ptrIiEEEESE_SE_iNS9_4plusIvEE19head_flag_predicateIiEiEE10hipError_tPvRmT2_T3_T4_T5_mT6_T7_P12ihipStream_tbENKUlT_T0_E_clISt17integral_constantIbLb1EESY_IbLb0EEEEDaSU_SV_EUlSU_E_NS1_11comp_targetILNS1_3genE9ELNS1_11target_archE1100ELNS1_3gpuE3ELNS1_3repE0EEENS1_30default_config_static_selectorELNS0_4arch9wavefront6targetE1EEEvT1_, .Lfunc_end142-_ZN7rocprim17ROCPRIM_400000_NS6detail17trampoline_kernelINS0_14default_configENS1_27scan_by_key_config_selectorIiiEEZZNS1_16scan_by_key_implILNS1_25lookback_scan_determinismE0ELb1ES3_N6thrust23THRUST_200600_302600_NS6detail15normal_iteratorINS9_10device_ptrIiEEEESE_SE_iNS9_4plusIvEE19head_flag_predicateIiEiEE10hipError_tPvRmT2_T3_T4_T5_mT6_T7_P12ihipStream_tbENKUlT_T0_E_clISt17integral_constantIbLb1EESY_IbLb0EEEEDaSU_SV_EUlSU_E_NS1_11comp_targetILNS1_3genE9ELNS1_11target_archE1100ELNS1_3gpuE3ELNS1_3repE0EEENS1_30default_config_static_selectorELNS0_4arch9wavefront6targetE1EEEvT1_
                                        ; -- End function
	.section	.AMDGPU.csdata,"",@progbits
; Kernel info:
; codeLenInByte = 0
; NumSgprs: 4
; NumVgprs: 0
; NumAgprs: 0
; TotalNumVgprs: 0
; ScratchSize: 0
; MemoryBound: 0
; FloatMode: 240
; IeeeMode: 1
; LDSByteSize: 0 bytes/workgroup (compile time only)
; SGPRBlocks: 0
; VGPRBlocks: 0
; NumSGPRsForWavesPerEU: 4
; NumVGPRsForWavesPerEU: 1
; AccumOffset: 4
; Occupancy: 8
; WaveLimiterHint : 0
; COMPUTE_PGM_RSRC2:SCRATCH_EN: 0
; COMPUTE_PGM_RSRC2:USER_SGPR: 6
; COMPUTE_PGM_RSRC2:TRAP_HANDLER: 0
; COMPUTE_PGM_RSRC2:TGID_X_EN: 1
; COMPUTE_PGM_RSRC2:TGID_Y_EN: 0
; COMPUTE_PGM_RSRC2:TGID_Z_EN: 0
; COMPUTE_PGM_RSRC2:TIDIG_COMP_CNT: 0
; COMPUTE_PGM_RSRC3_GFX90A:ACCUM_OFFSET: 0
; COMPUTE_PGM_RSRC3_GFX90A:TG_SPLIT: 0
	.section	.text._ZN7rocprim17ROCPRIM_400000_NS6detail17trampoline_kernelINS0_14default_configENS1_27scan_by_key_config_selectorIiiEEZZNS1_16scan_by_key_implILNS1_25lookback_scan_determinismE0ELb1ES3_N6thrust23THRUST_200600_302600_NS6detail15normal_iteratorINS9_10device_ptrIiEEEESE_SE_iNS9_4plusIvEE19head_flag_predicateIiEiEE10hipError_tPvRmT2_T3_T4_T5_mT6_T7_P12ihipStream_tbENKUlT_T0_E_clISt17integral_constantIbLb1EESY_IbLb0EEEEDaSU_SV_EUlSU_E_NS1_11comp_targetILNS1_3genE8ELNS1_11target_archE1030ELNS1_3gpuE2ELNS1_3repE0EEENS1_30default_config_static_selectorELNS0_4arch9wavefront6targetE1EEEvT1_,"axG",@progbits,_ZN7rocprim17ROCPRIM_400000_NS6detail17trampoline_kernelINS0_14default_configENS1_27scan_by_key_config_selectorIiiEEZZNS1_16scan_by_key_implILNS1_25lookback_scan_determinismE0ELb1ES3_N6thrust23THRUST_200600_302600_NS6detail15normal_iteratorINS9_10device_ptrIiEEEESE_SE_iNS9_4plusIvEE19head_flag_predicateIiEiEE10hipError_tPvRmT2_T3_T4_T5_mT6_T7_P12ihipStream_tbENKUlT_T0_E_clISt17integral_constantIbLb1EESY_IbLb0EEEEDaSU_SV_EUlSU_E_NS1_11comp_targetILNS1_3genE8ELNS1_11target_archE1030ELNS1_3gpuE2ELNS1_3repE0EEENS1_30default_config_static_selectorELNS0_4arch9wavefront6targetE1EEEvT1_,comdat
	.protected	_ZN7rocprim17ROCPRIM_400000_NS6detail17trampoline_kernelINS0_14default_configENS1_27scan_by_key_config_selectorIiiEEZZNS1_16scan_by_key_implILNS1_25lookback_scan_determinismE0ELb1ES3_N6thrust23THRUST_200600_302600_NS6detail15normal_iteratorINS9_10device_ptrIiEEEESE_SE_iNS9_4plusIvEE19head_flag_predicateIiEiEE10hipError_tPvRmT2_T3_T4_T5_mT6_T7_P12ihipStream_tbENKUlT_T0_E_clISt17integral_constantIbLb1EESY_IbLb0EEEEDaSU_SV_EUlSU_E_NS1_11comp_targetILNS1_3genE8ELNS1_11target_archE1030ELNS1_3gpuE2ELNS1_3repE0EEENS1_30default_config_static_selectorELNS0_4arch9wavefront6targetE1EEEvT1_ ; -- Begin function _ZN7rocprim17ROCPRIM_400000_NS6detail17trampoline_kernelINS0_14default_configENS1_27scan_by_key_config_selectorIiiEEZZNS1_16scan_by_key_implILNS1_25lookback_scan_determinismE0ELb1ES3_N6thrust23THRUST_200600_302600_NS6detail15normal_iteratorINS9_10device_ptrIiEEEESE_SE_iNS9_4plusIvEE19head_flag_predicateIiEiEE10hipError_tPvRmT2_T3_T4_T5_mT6_T7_P12ihipStream_tbENKUlT_T0_E_clISt17integral_constantIbLb1EESY_IbLb0EEEEDaSU_SV_EUlSU_E_NS1_11comp_targetILNS1_3genE8ELNS1_11target_archE1030ELNS1_3gpuE2ELNS1_3repE0EEENS1_30default_config_static_selectorELNS0_4arch9wavefront6targetE1EEEvT1_
	.globl	_ZN7rocprim17ROCPRIM_400000_NS6detail17trampoline_kernelINS0_14default_configENS1_27scan_by_key_config_selectorIiiEEZZNS1_16scan_by_key_implILNS1_25lookback_scan_determinismE0ELb1ES3_N6thrust23THRUST_200600_302600_NS6detail15normal_iteratorINS9_10device_ptrIiEEEESE_SE_iNS9_4plusIvEE19head_flag_predicateIiEiEE10hipError_tPvRmT2_T3_T4_T5_mT6_T7_P12ihipStream_tbENKUlT_T0_E_clISt17integral_constantIbLb1EESY_IbLb0EEEEDaSU_SV_EUlSU_E_NS1_11comp_targetILNS1_3genE8ELNS1_11target_archE1030ELNS1_3gpuE2ELNS1_3repE0EEENS1_30default_config_static_selectorELNS0_4arch9wavefront6targetE1EEEvT1_
	.p2align	8
	.type	_ZN7rocprim17ROCPRIM_400000_NS6detail17trampoline_kernelINS0_14default_configENS1_27scan_by_key_config_selectorIiiEEZZNS1_16scan_by_key_implILNS1_25lookback_scan_determinismE0ELb1ES3_N6thrust23THRUST_200600_302600_NS6detail15normal_iteratorINS9_10device_ptrIiEEEESE_SE_iNS9_4plusIvEE19head_flag_predicateIiEiEE10hipError_tPvRmT2_T3_T4_T5_mT6_T7_P12ihipStream_tbENKUlT_T0_E_clISt17integral_constantIbLb1EESY_IbLb0EEEEDaSU_SV_EUlSU_E_NS1_11comp_targetILNS1_3genE8ELNS1_11target_archE1030ELNS1_3gpuE2ELNS1_3repE0EEENS1_30default_config_static_selectorELNS0_4arch9wavefront6targetE1EEEvT1_,@function
_ZN7rocprim17ROCPRIM_400000_NS6detail17trampoline_kernelINS0_14default_configENS1_27scan_by_key_config_selectorIiiEEZZNS1_16scan_by_key_implILNS1_25lookback_scan_determinismE0ELb1ES3_N6thrust23THRUST_200600_302600_NS6detail15normal_iteratorINS9_10device_ptrIiEEEESE_SE_iNS9_4plusIvEE19head_flag_predicateIiEiEE10hipError_tPvRmT2_T3_T4_T5_mT6_T7_P12ihipStream_tbENKUlT_T0_E_clISt17integral_constantIbLb1EESY_IbLb0EEEEDaSU_SV_EUlSU_E_NS1_11comp_targetILNS1_3genE8ELNS1_11target_archE1030ELNS1_3gpuE2ELNS1_3repE0EEENS1_30default_config_static_selectorELNS0_4arch9wavefront6targetE1EEEvT1_: ; @_ZN7rocprim17ROCPRIM_400000_NS6detail17trampoline_kernelINS0_14default_configENS1_27scan_by_key_config_selectorIiiEEZZNS1_16scan_by_key_implILNS1_25lookback_scan_determinismE0ELb1ES3_N6thrust23THRUST_200600_302600_NS6detail15normal_iteratorINS9_10device_ptrIiEEEESE_SE_iNS9_4plusIvEE19head_flag_predicateIiEiEE10hipError_tPvRmT2_T3_T4_T5_mT6_T7_P12ihipStream_tbENKUlT_T0_E_clISt17integral_constantIbLb1EESY_IbLb0EEEEDaSU_SV_EUlSU_E_NS1_11comp_targetILNS1_3genE8ELNS1_11target_archE1030ELNS1_3gpuE2ELNS1_3repE0EEENS1_30default_config_static_selectorELNS0_4arch9wavefront6targetE1EEEvT1_
; %bb.0:
	.section	.rodata,"a",@progbits
	.p2align	6, 0x0
	.amdhsa_kernel _ZN7rocprim17ROCPRIM_400000_NS6detail17trampoline_kernelINS0_14default_configENS1_27scan_by_key_config_selectorIiiEEZZNS1_16scan_by_key_implILNS1_25lookback_scan_determinismE0ELb1ES3_N6thrust23THRUST_200600_302600_NS6detail15normal_iteratorINS9_10device_ptrIiEEEESE_SE_iNS9_4plusIvEE19head_flag_predicateIiEiEE10hipError_tPvRmT2_T3_T4_T5_mT6_T7_P12ihipStream_tbENKUlT_T0_E_clISt17integral_constantIbLb1EESY_IbLb0EEEEDaSU_SV_EUlSU_E_NS1_11comp_targetILNS1_3genE8ELNS1_11target_archE1030ELNS1_3gpuE2ELNS1_3repE0EEENS1_30default_config_static_selectorELNS0_4arch9wavefront6targetE1EEEvT1_
		.amdhsa_group_segment_fixed_size 0
		.amdhsa_private_segment_fixed_size 0
		.amdhsa_kernarg_size 112
		.amdhsa_user_sgpr_count 6
		.amdhsa_user_sgpr_private_segment_buffer 1
		.amdhsa_user_sgpr_dispatch_ptr 0
		.amdhsa_user_sgpr_queue_ptr 0
		.amdhsa_user_sgpr_kernarg_segment_ptr 1
		.amdhsa_user_sgpr_dispatch_id 0
		.amdhsa_user_sgpr_flat_scratch_init 0
		.amdhsa_user_sgpr_kernarg_preload_length 0
		.amdhsa_user_sgpr_kernarg_preload_offset 0
		.amdhsa_user_sgpr_private_segment_size 0
		.amdhsa_uses_dynamic_stack 0
		.amdhsa_system_sgpr_private_segment_wavefront_offset 0
		.amdhsa_system_sgpr_workgroup_id_x 1
		.amdhsa_system_sgpr_workgroup_id_y 0
		.amdhsa_system_sgpr_workgroup_id_z 0
		.amdhsa_system_sgpr_workgroup_info 0
		.amdhsa_system_vgpr_workitem_id 0
		.amdhsa_next_free_vgpr 1
		.amdhsa_next_free_sgpr 0
		.amdhsa_accum_offset 4
		.amdhsa_reserve_vcc 0
		.amdhsa_reserve_flat_scratch 0
		.amdhsa_float_round_mode_32 0
		.amdhsa_float_round_mode_16_64 0
		.amdhsa_float_denorm_mode_32 3
		.amdhsa_float_denorm_mode_16_64 3
		.amdhsa_dx10_clamp 1
		.amdhsa_ieee_mode 1
		.amdhsa_fp16_overflow 0
		.amdhsa_tg_split 0
		.amdhsa_exception_fp_ieee_invalid_op 0
		.amdhsa_exception_fp_denorm_src 0
		.amdhsa_exception_fp_ieee_div_zero 0
		.amdhsa_exception_fp_ieee_overflow 0
		.amdhsa_exception_fp_ieee_underflow 0
		.amdhsa_exception_fp_ieee_inexact 0
		.amdhsa_exception_int_div_zero 0
	.end_amdhsa_kernel
	.section	.text._ZN7rocprim17ROCPRIM_400000_NS6detail17trampoline_kernelINS0_14default_configENS1_27scan_by_key_config_selectorIiiEEZZNS1_16scan_by_key_implILNS1_25lookback_scan_determinismE0ELb1ES3_N6thrust23THRUST_200600_302600_NS6detail15normal_iteratorINS9_10device_ptrIiEEEESE_SE_iNS9_4plusIvEE19head_flag_predicateIiEiEE10hipError_tPvRmT2_T3_T4_T5_mT6_T7_P12ihipStream_tbENKUlT_T0_E_clISt17integral_constantIbLb1EESY_IbLb0EEEEDaSU_SV_EUlSU_E_NS1_11comp_targetILNS1_3genE8ELNS1_11target_archE1030ELNS1_3gpuE2ELNS1_3repE0EEENS1_30default_config_static_selectorELNS0_4arch9wavefront6targetE1EEEvT1_,"axG",@progbits,_ZN7rocprim17ROCPRIM_400000_NS6detail17trampoline_kernelINS0_14default_configENS1_27scan_by_key_config_selectorIiiEEZZNS1_16scan_by_key_implILNS1_25lookback_scan_determinismE0ELb1ES3_N6thrust23THRUST_200600_302600_NS6detail15normal_iteratorINS9_10device_ptrIiEEEESE_SE_iNS9_4plusIvEE19head_flag_predicateIiEiEE10hipError_tPvRmT2_T3_T4_T5_mT6_T7_P12ihipStream_tbENKUlT_T0_E_clISt17integral_constantIbLb1EESY_IbLb0EEEEDaSU_SV_EUlSU_E_NS1_11comp_targetILNS1_3genE8ELNS1_11target_archE1030ELNS1_3gpuE2ELNS1_3repE0EEENS1_30default_config_static_selectorELNS0_4arch9wavefront6targetE1EEEvT1_,comdat
.Lfunc_end143:
	.size	_ZN7rocprim17ROCPRIM_400000_NS6detail17trampoline_kernelINS0_14default_configENS1_27scan_by_key_config_selectorIiiEEZZNS1_16scan_by_key_implILNS1_25lookback_scan_determinismE0ELb1ES3_N6thrust23THRUST_200600_302600_NS6detail15normal_iteratorINS9_10device_ptrIiEEEESE_SE_iNS9_4plusIvEE19head_flag_predicateIiEiEE10hipError_tPvRmT2_T3_T4_T5_mT6_T7_P12ihipStream_tbENKUlT_T0_E_clISt17integral_constantIbLb1EESY_IbLb0EEEEDaSU_SV_EUlSU_E_NS1_11comp_targetILNS1_3genE8ELNS1_11target_archE1030ELNS1_3gpuE2ELNS1_3repE0EEENS1_30default_config_static_selectorELNS0_4arch9wavefront6targetE1EEEvT1_, .Lfunc_end143-_ZN7rocprim17ROCPRIM_400000_NS6detail17trampoline_kernelINS0_14default_configENS1_27scan_by_key_config_selectorIiiEEZZNS1_16scan_by_key_implILNS1_25lookback_scan_determinismE0ELb1ES3_N6thrust23THRUST_200600_302600_NS6detail15normal_iteratorINS9_10device_ptrIiEEEESE_SE_iNS9_4plusIvEE19head_flag_predicateIiEiEE10hipError_tPvRmT2_T3_T4_T5_mT6_T7_P12ihipStream_tbENKUlT_T0_E_clISt17integral_constantIbLb1EESY_IbLb0EEEEDaSU_SV_EUlSU_E_NS1_11comp_targetILNS1_3genE8ELNS1_11target_archE1030ELNS1_3gpuE2ELNS1_3repE0EEENS1_30default_config_static_selectorELNS0_4arch9wavefront6targetE1EEEvT1_
                                        ; -- End function
	.section	.AMDGPU.csdata,"",@progbits
; Kernel info:
; codeLenInByte = 0
; NumSgprs: 4
; NumVgprs: 0
; NumAgprs: 0
; TotalNumVgprs: 0
; ScratchSize: 0
; MemoryBound: 0
; FloatMode: 240
; IeeeMode: 1
; LDSByteSize: 0 bytes/workgroup (compile time only)
; SGPRBlocks: 0
; VGPRBlocks: 0
; NumSGPRsForWavesPerEU: 4
; NumVGPRsForWavesPerEU: 1
; AccumOffset: 4
; Occupancy: 8
; WaveLimiterHint : 0
; COMPUTE_PGM_RSRC2:SCRATCH_EN: 0
; COMPUTE_PGM_RSRC2:USER_SGPR: 6
; COMPUTE_PGM_RSRC2:TRAP_HANDLER: 0
; COMPUTE_PGM_RSRC2:TGID_X_EN: 1
; COMPUTE_PGM_RSRC2:TGID_Y_EN: 0
; COMPUTE_PGM_RSRC2:TGID_Z_EN: 0
; COMPUTE_PGM_RSRC2:TIDIG_COMP_CNT: 0
; COMPUTE_PGM_RSRC3_GFX90A:ACCUM_OFFSET: 0
; COMPUTE_PGM_RSRC3_GFX90A:TG_SPLIT: 0
	.section	.text._ZN7rocprim17ROCPRIM_400000_NS6detail17trampoline_kernelINS0_14default_configENS1_27scan_by_key_config_selectorIiiEEZZNS1_16scan_by_key_implILNS1_25lookback_scan_determinismE0ELb1ES3_N6thrust23THRUST_200600_302600_NS6detail15normal_iteratorINS9_10device_ptrIiEEEESE_SE_iNS9_4plusIvEE19head_flag_predicateIiEiEE10hipError_tPvRmT2_T3_T4_T5_mT6_T7_P12ihipStream_tbENKUlT_T0_E_clISt17integral_constantIbLb0EESY_IbLb1EEEEDaSU_SV_EUlSU_E_NS1_11comp_targetILNS1_3genE0ELNS1_11target_archE4294967295ELNS1_3gpuE0ELNS1_3repE0EEENS1_30default_config_static_selectorELNS0_4arch9wavefront6targetE1EEEvT1_,"axG",@progbits,_ZN7rocprim17ROCPRIM_400000_NS6detail17trampoline_kernelINS0_14default_configENS1_27scan_by_key_config_selectorIiiEEZZNS1_16scan_by_key_implILNS1_25lookback_scan_determinismE0ELb1ES3_N6thrust23THRUST_200600_302600_NS6detail15normal_iteratorINS9_10device_ptrIiEEEESE_SE_iNS9_4plusIvEE19head_flag_predicateIiEiEE10hipError_tPvRmT2_T3_T4_T5_mT6_T7_P12ihipStream_tbENKUlT_T0_E_clISt17integral_constantIbLb0EESY_IbLb1EEEEDaSU_SV_EUlSU_E_NS1_11comp_targetILNS1_3genE0ELNS1_11target_archE4294967295ELNS1_3gpuE0ELNS1_3repE0EEENS1_30default_config_static_selectorELNS0_4arch9wavefront6targetE1EEEvT1_,comdat
	.protected	_ZN7rocprim17ROCPRIM_400000_NS6detail17trampoline_kernelINS0_14default_configENS1_27scan_by_key_config_selectorIiiEEZZNS1_16scan_by_key_implILNS1_25lookback_scan_determinismE0ELb1ES3_N6thrust23THRUST_200600_302600_NS6detail15normal_iteratorINS9_10device_ptrIiEEEESE_SE_iNS9_4plusIvEE19head_flag_predicateIiEiEE10hipError_tPvRmT2_T3_T4_T5_mT6_T7_P12ihipStream_tbENKUlT_T0_E_clISt17integral_constantIbLb0EESY_IbLb1EEEEDaSU_SV_EUlSU_E_NS1_11comp_targetILNS1_3genE0ELNS1_11target_archE4294967295ELNS1_3gpuE0ELNS1_3repE0EEENS1_30default_config_static_selectorELNS0_4arch9wavefront6targetE1EEEvT1_ ; -- Begin function _ZN7rocprim17ROCPRIM_400000_NS6detail17trampoline_kernelINS0_14default_configENS1_27scan_by_key_config_selectorIiiEEZZNS1_16scan_by_key_implILNS1_25lookback_scan_determinismE0ELb1ES3_N6thrust23THRUST_200600_302600_NS6detail15normal_iteratorINS9_10device_ptrIiEEEESE_SE_iNS9_4plusIvEE19head_flag_predicateIiEiEE10hipError_tPvRmT2_T3_T4_T5_mT6_T7_P12ihipStream_tbENKUlT_T0_E_clISt17integral_constantIbLb0EESY_IbLb1EEEEDaSU_SV_EUlSU_E_NS1_11comp_targetILNS1_3genE0ELNS1_11target_archE4294967295ELNS1_3gpuE0ELNS1_3repE0EEENS1_30default_config_static_selectorELNS0_4arch9wavefront6targetE1EEEvT1_
	.globl	_ZN7rocprim17ROCPRIM_400000_NS6detail17trampoline_kernelINS0_14default_configENS1_27scan_by_key_config_selectorIiiEEZZNS1_16scan_by_key_implILNS1_25lookback_scan_determinismE0ELb1ES3_N6thrust23THRUST_200600_302600_NS6detail15normal_iteratorINS9_10device_ptrIiEEEESE_SE_iNS9_4plusIvEE19head_flag_predicateIiEiEE10hipError_tPvRmT2_T3_T4_T5_mT6_T7_P12ihipStream_tbENKUlT_T0_E_clISt17integral_constantIbLb0EESY_IbLb1EEEEDaSU_SV_EUlSU_E_NS1_11comp_targetILNS1_3genE0ELNS1_11target_archE4294967295ELNS1_3gpuE0ELNS1_3repE0EEENS1_30default_config_static_selectorELNS0_4arch9wavefront6targetE1EEEvT1_
	.p2align	8
	.type	_ZN7rocprim17ROCPRIM_400000_NS6detail17trampoline_kernelINS0_14default_configENS1_27scan_by_key_config_selectorIiiEEZZNS1_16scan_by_key_implILNS1_25lookback_scan_determinismE0ELb1ES3_N6thrust23THRUST_200600_302600_NS6detail15normal_iteratorINS9_10device_ptrIiEEEESE_SE_iNS9_4plusIvEE19head_flag_predicateIiEiEE10hipError_tPvRmT2_T3_T4_T5_mT6_T7_P12ihipStream_tbENKUlT_T0_E_clISt17integral_constantIbLb0EESY_IbLb1EEEEDaSU_SV_EUlSU_E_NS1_11comp_targetILNS1_3genE0ELNS1_11target_archE4294967295ELNS1_3gpuE0ELNS1_3repE0EEENS1_30default_config_static_selectorELNS0_4arch9wavefront6targetE1EEEvT1_,@function
_ZN7rocprim17ROCPRIM_400000_NS6detail17trampoline_kernelINS0_14default_configENS1_27scan_by_key_config_selectorIiiEEZZNS1_16scan_by_key_implILNS1_25lookback_scan_determinismE0ELb1ES3_N6thrust23THRUST_200600_302600_NS6detail15normal_iteratorINS9_10device_ptrIiEEEESE_SE_iNS9_4plusIvEE19head_flag_predicateIiEiEE10hipError_tPvRmT2_T3_T4_T5_mT6_T7_P12ihipStream_tbENKUlT_T0_E_clISt17integral_constantIbLb0EESY_IbLb1EEEEDaSU_SV_EUlSU_E_NS1_11comp_targetILNS1_3genE0ELNS1_11target_archE4294967295ELNS1_3gpuE0ELNS1_3repE0EEENS1_30default_config_static_selectorELNS0_4arch9wavefront6targetE1EEEvT1_: ; @_ZN7rocprim17ROCPRIM_400000_NS6detail17trampoline_kernelINS0_14default_configENS1_27scan_by_key_config_selectorIiiEEZZNS1_16scan_by_key_implILNS1_25lookback_scan_determinismE0ELb1ES3_N6thrust23THRUST_200600_302600_NS6detail15normal_iteratorINS9_10device_ptrIiEEEESE_SE_iNS9_4plusIvEE19head_flag_predicateIiEiEE10hipError_tPvRmT2_T3_T4_T5_mT6_T7_P12ihipStream_tbENKUlT_T0_E_clISt17integral_constantIbLb0EESY_IbLb1EEEEDaSU_SV_EUlSU_E_NS1_11comp_targetILNS1_3genE0ELNS1_11target_archE4294967295ELNS1_3gpuE0ELNS1_3repE0EEENS1_30default_config_static_selectorELNS0_4arch9wavefront6targetE1EEEvT1_
; %bb.0:
	.section	.rodata,"a",@progbits
	.p2align	6, 0x0
	.amdhsa_kernel _ZN7rocprim17ROCPRIM_400000_NS6detail17trampoline_kernelINS0_14default_configENS1_27scan_by_key_config_selectorIiiEEZZNS1_16scan_by_key_implILNS1_25lookback_scan_determinismE0ELb1ES3_N6thrust23THRUST_200600_302600_NS6detail15normal_iteratorINS9_10device_ptrIiEEEESE_SE_iNS9_4plusIvEE19head_flag_predicateIiEiEE10hipError_tPvRmT2_T3_T4_T5_mT6_T7_P12ihipStream_tbENKUlT_T0_E_clISt17integral_constantIbLb0EESY_IbLb1EEEEDaSU_SV_EUlSU_E_NS1_11comp_targetILNS1_3genE0ELNS1_11target_archE4294967295ELNS1_3gpuE0ELNS1_3repE0EEENS1_30default_config_static_selectorELNS0_4arch9wavefront6targetE1EEEvT1_
		.amdhsa_group_segment_fixed_size 0
		.amdhsa_private_segment_fixed_size 0
		.amdhsa_kernarg_size 112
		.amdhsa_user_sgpr_count 6
		.amdhsa_user_sgpr_private_segment_buffer 1
		.amdhsa_user_sgpr_dispatch_ptr 0
		.amdhsa_user_sgpr_queue_ptr 0
		.amdhsa_user_sgpr_kernarg_segment_ptr 1
		.amdhsa_user_sgpr_dispatch_id 0
		.amdhsa_user_sgpr_flat_scratch_init 0
		.amdhsa_user_sgpr_kernarg_preload_length 0
		.amdhsa_user_sgpr_kernarg_preload_offset 0
		.amdhsa_user_sgpr_private_segment_size 0
		.amdhsa_uses_dynamic_stack 0
		.amdhsa_system_sgpr_private_segment_wavefront_offset 0
		.amdhsa_system_sgpr_workgroup_id_x 1
		.amdhsa_system_sgpr_workgroup_id_y 0
		.amdhsa_system_sgpr_workgroup_id_z 0
		.amdhsa_system_sgpr_workgroup_info 0
		.amdhsa_system_vgpr_workitem_id 0
		.amdhsa_next_free_vgpr 1
		.amdhsa_next_free_sgpr 0
		.amdhsa_accum_offset 4
		.amdhsa_reserve_vcc 0
		.amdhsa_reserve_flat_scratch 0
		.amdhsa_float_round_mode_32 0
		.amdhsa_float_round_mode_16_64 0
		.amdhsa_float_denorm_mode_32 3
		.amdhsa_float_denorm_mode_16_64 3
		.amdhsa_dx10_clamp 1
		.amdhsa_ieee_mode 1
		.amdhsa_fp16_overflow 0
		.amdhsa_tg_split 0
		.amdhsa_exception_fp_ieee_invalid_op 0
		.amdhsa_exception_fp_denorm_src 0
		.amdhsa_exception_fp_ieee_div_zero 0
		.amdhsa_exception_fp_ieee_overflow 0
		.amdhsa_exception_fp_ieee_underflow 0
		.amdhsa_exception_fp_ieee_inexact 0
		.amdhsa_exception_int_div_zero 0
	.end_amdhsa_kernel
	.section	.text._ZN7rocprim17ROCPRIM_400000_NS6detail17trampoline_kernelINS0_14default_configENS1_27scan_by_key_config_selectorIiiEEZZNS1_16scan_by_key_implILNS1_25lookback_scan_determinismE0ELb1ES3_N6thrust23THRUST_200600_302600_NS6detail15normal_iteratorINS9_10device_ptrIiEEEESE_SE_iNS9_4plusIvEE19head_flag_predicateIiEiEE10hipError_tPvRmT2_T3_T4_T5_mT6_T7_P12ihipStream_tbENKUlT_T0_E_clISt17integral_constantIbLb0EESY_IbLb1EEEEDaSU_SV_EUlSU_E_NS1_11comp_targetILNS1_3genE0ELNS1_11target_archE4294967295ELNS1_3gpuE0ELNS1_3repE0EEENS1_30default_config_static_selectorELNS0_4arch9wavefront6targetE1EEEvT1_,"axG",@progbits,_ZN7rocprim17ROCPRIM_400000_NS6detail17trampoline_kernelINS0_14default_configENS1_27scan_by_key_config_selectorIiiEEZZNS1_16scan_by_key_implILNS1_25lookback_scan_determinismE0ELb1ES3_N6thrust23THRUST_200600_302600_NS6detail15normal_iteratorINS9_10device_ptrIiEEEESE_SE_iNS9_4plusIvEE19head_flag_predicateIiEiEE10hipError_tPvRmT2_T3_T4_T5_mT6_T7_P12ihipStream_tbENKUlT_T0_E_clISt17integral_constantIbLb0EESY_IbLb1EEEEDaSU_SV_EUlSU_E_NS1_11comp_targetILNS1_3genE0ELNS1_11target_archE4294967295ELNS1_3gpuE0ELNS1_3repE0EEENS1_30default_config_static_selectorELNS0_4arch9wavefront6targetE1EEEvT1_,comdat
.Lfunc_end144:
	.size	_ZN7rocprim17ROCPRIM_400000_NS6detail17trampoline_kernelINS0_14default_configENS1_27scan_by_key_config_selectorIiiEEZZNS1_16scan_by_key_implILNS1_25lookback_scan_determinismE0ELb1ES3_N6thrust23THRUST_200600_302600_NS6detail15normal_iteratorINS9_10device_ptrIiEEEESE_SE_iNS9_4plusIvEE19head_flag_predicateIiEiEE10hipError_tPvRmT2_T3_T4_T5_mT6_T7_P12ihipStream_tbENKUlT_T0_E_clISt17integral_constantIbLb0EESY_IbLb1EEEEDaSU_SV_EUlSU_E_NS1_11comp_targetILNS1_3genE0ELNS1_11target_archE4294967295ELNS1_3gpuE0ELNS1_3repE0EEENS1_30default_config_static_selectorELNS0_4arch9wavefront6targetE1EEEvT1_, .Lfunc_end144-_ZN7rocprim17ROCPRIM_400000_NS6detail17trampoline_kernelINS0_14default_configENS1_27scan_by_key_config_selectorIiiEEZZNS1_16scan_by_key_implILNS1_25lookback_scan_determinismE0ELb1ES3_N6thrust23THRUST_200600_302600_NS6detail15normal_iteratorINS9_10device_ptrIiEEEESE_SE_iNS9_4plusIvEE19head_flag_predicateIiEiEE10hipError_tPvRmT2_T3_T4_T5_mT6_T7_P12ihipStream_tbENKUlT_T0_E_clISt17integral_constantIbLb0EESY_IbLb1EEEEDaSU_SV_EUlSU_E_NS1_11comp_targetILNS1_3genE0ELNS1_11target_archE4294967295ELNS1_3gpuE0ELNS1_3repE0EEENS1_30default_config_static_selectorELNS0_4arch9wavefront6targetE1EEEvT1_
                                        ; -- End function
	.section	.AMDGPU.csdata,"",@progbits
; Kernel info:
; codeLenInByte = 0
; NumSgprs: 4
; NumVgprs: 0
; NumAgprs: 0
; TotalNumVgprs: 0
; ScratchSize: 0
; MemoryBound: 0
; FloatMode: 240
; IeeeMode: 1
; LDSByteSize: 0 bytes/workgroup (compile time only)
; SGPRBlocks: 0
; VGPRBlocks: 0
; NumSGPRsForWavesPerEU: 4
; NumVGPRsForWavesPerEU: 1
; AccumOffset: 4
; Occupancy: 8
; WaveLimiterHint : 0
; COMPUTE_PGM_RSRC2:SCRATCH_EN: 0
; COMPUTE_PGM_RSRC2:USER_SGPR: 6
; COMPUTE_PGM_RSRC2:TRAP_HANDLER: 0
; COMPUTE_PGM_RSRC2:TGID_X_EN: 1
; COMPUTE_PGM_RSRC2:TGID_Y_EN: 0
; COMPUTE_PGM_RSRC2:TGID_Z_EN: 0
; COMPUTE_PGM_RSRC2:TIDIG_COMP_CNT: 0
; COMPUTE_PGM_RSRC3_GFX90A:ACCUM_OFFSET: 0
; COMPUTE_PGM_RSRC3_GFX90A:TG_SPLIT: 0
	.section	.text._ZN7rocprim17ROCPRIM_400000_NS6detail17trampoline_kernelINS0_14default_configENS1_27scan_by_key_config_selectorIiiEEZZNS1_16scan_by_key_implILNS1_25lookback_scan_determinismE0ELb1ES3_N6thrust23THRUST_200600_302600_NS6detail15normal_iteratorINS9_10device_ptrIiEEEESE_SE_iNS9_4plusIvEE19head_flag_predicateIiEiEE10hipError_tPvRmT2_T3_T4_T5_mT6_T7_P12ihipStream_tbENKUlT_T0_E_clISt17integral_constantIbLb0EESY_IbLb1EEEEDaSU_SV_EUlSU_E_NS1_11comp_targetILNS1_3genE10ELNS1_11target_archE1201ELNS1_3gpuE5ELNS1_3repE0EEENS1_30default_config_static_selectorELNS0_4arch9wavefront6targetE1EEEvT1_,"axG",@progbits,_ZN7rocprim17ROCPRIM_400000_NS6detail17trampoline_kernelINS0_14default_configENS1_27scan_by_key_config_selectorIiiEEZZNS1_16scan_by_key_implILNS1_25lookback_scan_determinismE0ELb1ES3_N6thrust23THRUST_200600_302600_NS6detail15normal_iteratorINS9_10device_ptrIiEEEESE_SE_iNS9_4plusIvEE19head_flag_predicateIiEiEE10hipError_tPvRmT2_T3_T4_T5_mT6_T7_P12ihipStream_tbENKUlT_T0_E_clISt17integral_constantIbLb0EESY_IbLb1EEEEDaSU_SV_EUlSU_E_NS1_11comp_targetILNS1_3genE10ELNS1_11target_archE1201ELNS1_3gpuE5ELNS1_3repE0EEENS1_30default_config_static_selectorELNS0_4arch9wavefront6targetE1EEEvT1_,comdat
	.protected	_ZN7rocprim17ROCPRIM_400000_NS6detail17trampoline_kernelINS0_14default_configENS1_27scan_by_key_config_selectorIiiEEZZNS1_16scan_by_key_implILNS1_25lookback_scan_determinismE0ELb1ES3_N6thrust23THRUST_200600_302600_NS6detail15normal_iteratorINS9_10device_ptrIiEEEESE_SE_iNS9_4plusIvEE19head_flag_predicateIiEiEE10hipError_tPvRmT2_T3_T4_T5_mT6_T7_P12ihipStream_tbENKUlT_T0_E_clISt17integral_constantIbLb0EESY_IbLb1EEEEDaSU_SV_EUlSU_E_NS1_11comp_targetILNS1_3genE10ELNS1_11target_archE1201ELNS1_3gpuE5ELNS1_3repE0EEENS1_30default_config_static_selectorELNS0_4arch9wavefront6targetE1EEEvT1_ ; -- Begin function _ZN7rocprim17ROCPRIM_400000_NS6detail17trampoline_kernelINS0_14default_configENS1_27scan_by_key_config_selectorIiiEEZZNS1_16scan_by_key_implILNS1_25lookback_scan_determinismE0ELb1ES3_N6thrust23THRUST_200600_302600_NS6detail15normal_iteratorINS9_10device_ptrIiEEEESE_SE_iNS9_4plusIvEE19head_flag_predicateIiEiEE10hipError_tPvRmT2_T3_T4_T5_mT6_T7_P12ihipStream_tbENKUlT_T0_E_clISt17integral_constantIbLb0EESY_IbLb1EEEEDaSU_SV_EUlSU_E_NS1_11comp_targetILNS1_3genE10ELNS1_11target_archE1201ELNS1_3gpuE5ELNS1_3repE0EEENS1_30default_config_static_selectorELNS0_4arch9wavefront6targetE1EEEvT1_
	.globl	_ZN7rocprim17ROCPRIM_400000_NS6detail17trampoline_kernelINS0_14default_configENS1_27scan_by_key_config_selectorIiiEEZZNS1_16scan_by_key_implILNS1_25lookback_scan_determinismE0ELb1ES3_N6thrust23THRUST_200600_302600_NS6detail15normal_iteratorINS9_10device_ptrIiEEEESE_SE_iNS9_4plusIvEE19head_flag_predicateIiEiEE10hipError_tPvRmT2_T3_T4_T5_mT6_T7_P12ihipStream_tbENKUlT_T0_E_clISt17integral_constantIbLb0EESY_IbLb1EEEEDaSU_SV_EUlSU_E_NS1_11comp_targetILNS1_3genE10ELNS1_11target_archE1201ELNS1_3gpuE5ELNS1_3repE0EEENS1_30default_config_static_selectorELNS0_4arch9wavefront6targetE1EEEvT1_
	.p2align	8
	.type	_ZN7rocprim17ROCPRIM_400000_NS6detail17trampoline_kernelINS0_14default_configENS1_27scan_by_key_config_selectorIiiEEZZNS1_16scan_by_key_implILNS1_25lookback_scan_determinismE0ELb1ES3_N6thrust23THRUST_200600_302600_NS6detail15normal_iteratorINS9_10device_ptrIiEEEESE_SE_iNS9_4plusIvEE19head_flag_predicateIiEiEE10hipError_tPvRmT2_T3_T4_T5_mT6_T7_P12ihipStream_tbENKUlT_T0_E_clISt17integral_constantIbLb0EESY_IbLb1EEEEDaSU_SV_EUlSU_E_NS1_11comp_targetILNS1_3genE10ELNS1_11target_archE1201ELNS1_3gpuE5ELNS1_3repE0EEENS1_30default_config_static_selectorELNS0_4arch9wavefront6targetE1EEEvT1_,@function
_ZN7rocprim17ROCPRIM_400000_NS6detail17trampoline_kernelINS0_14default_configENS1_27scan_by_key_config_selectorIiiEEZZNS1_16scan_by_key_implILNS1_25lookback_scan_determinismE0ELb1ES3_N6thrust23THRUST_200600_302600_NS6detail15normal_iteratorINS9_10device_ptrIiEEEESE_SE_iNS9_4plusIvEE19head_flag_predicateIiEiEE10hipError_tPvRmT2_T3_T4_T5_mT6_T7_P12ihipStream_tbENKUlT_T0_E_clISt17integral_constantIbLb0EESY_IbLb1EEEEDaSU_SV_EUlSU_E_NS1_11comp_targetILNS1_3genE10ELNS1_11target_archE1201ELNS1_3gpuE5ELNS1_3repE0EEENS1_30default_config_static_selectorELNS0_4arch9wavefront6targetE1EEEvT1_: ; @_ZN7rocprim17ROCPRIM_400000_NS6detail17trampoline_kernelINS0_14default_configENS1_27scan_by_key_config_selectorIiiEEZZNS1_16scan_by_key_implILNS1_25lookback_scan_determinismE0ELb1ES3_N6thrust23THRUST_200600_302600_NS6detail15normal_iteratorINS9_10device_ptrIiEEEESE_SE_iNS9_4plusIvEE19head_flag_predicateIiEiEE10hipError_tPvRmT2_T3_T4_T5_mT6_T7_P12ihipStream_tbENKUlT_T0_E_clISt17integral_constantIbLb0EESY_IbLb1EEEEDaSU_SV_EUlSU_E_NS1_11comp_targetILNS1_3genE10ELNS1_11target_archE1201ELNS1_3gpuE5ELNS1_3repE0EEENS1_30default_config_static_selectorELNS0_4arch9wavefront6targetE1EEEvT1_
; %bb.0:
	.section	.rodata,"a",@progbits
	.p2align	6, 0x0
	.amdhsa_kernel _ZN7rocprim17ROCPRIM_400000_NS6detail17trampoline_kernelINS0_14default_configENS1_27scan_by_key_config_selectorIiiEEZZNS1_16scan_by_key_implILNS1_25lookback_scan_determinismE0ELb1ES3_N6thrust23THRUST_200600_302600_NS6detail15normal_iteratorINS9_10device_ptrIiEEEESE_SE_iNS9_4plusIvEE19head_flag_predicateIiEiEE10hipError_tPvRmT2_T3_T4_T5_mT6_T7_P12ihipStream_tbENKUlT_T0_E_clISt17integral_constantIbLb0EESY_IbLb1EEEEDaSU_SV_EUlSU_E_NS1_11comp_targetILNS1_3genE10ELNS1_11target_archE1201ELNS1_3gpuE5ELNS1_3repE0EEENS1_30default_config_static_selectorELNS0_4arch9wavefront6targetE1EEEvT1_
		.amdhsa_group_segment_fixed_size 0
		.amdhsa_private_segment_fixed_size 0
		.amdhsa_kernarg_size 112
		.amdhsa_user_sgpr_count 6
		.amdhsa_user_sgpr_private_segment_buffer 1
		.amdhsa_user_sgpr_dispatch_ptr 0
		.amdhsa_user_sgpr_queue_ptr 0
		.amdhsa_user_sgpr_kernarg_segment_ptr 1
		.amdhsa_user_sgpr_dispatch_id 0
		.amdhsa_user_sgpr_flat_scratch_init 0
		.amdhsa_user_sgpr_kernarg_preload_length 0
		.amdhsa_user_sgpr_kernarg_preload_offset 0
		.amdhsa_user_sgpr_private_segment_size 0
		.amdhsa_uses_dynamic_stack 0
		.amdhsa_system_sgpr_private_segment_wavefront_offset 0
		.amdhsa_system_sgpr_workgroup_id_x 1
		.amdhsa_system_sgpr_workgroup_id_y 0
		.amdhsa_system_sgpr_workgroup_id_z 0
		.amdhsa_system_sgpr_workgroup_info 0
		.amdhsa_system_vgpr_workitem_id 0
		.amdhsa_next_free_vgpr 1
		.amdhsa_next_free_sgpr 0
		.amdhsa_accum_offset 4
		.amdhsa_reserve_vcc 0
		.amdhsa_reserve_flat_scratch 0
		.amdhsa_float_round_mode_32 0
		.amdhsa_float_round_mode_16_64 0
		.amdhsa_float_denorm_mode_32 3
		.amdhsa_float_denorm_mode_16_64 3
		.amdhsa_dx10_clamp 1
		.amdhsa_ieee_mode 1
		.amdhsa_fp16_overflow 0
		.amdhsa_tg_split 0
		.amdhsa_exception_fp_ieee_invalid_op 0
		.amdhsa_exception_fp_denorm_src 0
		.amdhsa_exception_fp_ieee_div_zero 0
		.amdhsa_exception_fp_ieee_overflow 0
		.amdhsa_exception_fp_ieee_underflow 0
		.amdhsa_exception_fp_ieee_inexact 0
		.amdhsa_exception_int_div_zero 0
	.end_amdhsa_kernel
	.section	.text._ZN7rocprim17ROCPRIM_400000_NS6detail17trampoline_kernelINS0_14default_configENS1_27scan_by_key_config_selectorIiiEEZZNS1_16scan_by_key_implILNS1_25lookback_scan_determinismE0ELb1ES3_N6thrust23THRUST_200600_302600_NS6detail15normal_iteratorINS9_10device_ptrIiEEEESE_SE_iNS9_4plusIvEE19head_flag_predicateIiEiEE10hipError_tPvRmT2_T3_T4_T5_mT6_T7_P12ihipStream_tbENKUlT_T0_E_clISt17integral_constantIbLb0EESY_IbLb1EEEEDaSU_SV_EUlSU_E_NS1_11comp_targetILNS1_3genE10ELNS1_11target_archE1201ELNS1_3gpuE5ELNS1_3repE0EEENS1_30default_config_static_selectorELNS0_4arch9wavefront6targetE1EEEvT1_,"axG",@progbits,_ZN7rocprim17ROCPRIM_400000_NS6detail17trampoline_kernelINS0_14default_configENS1_27scan_by_key_config_selectorIiiEEZZNS1_16scan_by_key_implILNS1_25lookback_scan_determinismE0ELb1ES3_N6thrust23THRUST_200600_302600_NS6detail15normal_iteratorINS9_10device_ptrIiEEEESE_SE_iNS9_4plusIvEE19head_flag_predicateIiEiEE10hipError_tPvRmT2_T3_T4_T5_mT6_T7_P12ihipStream_tbENKUlT_T0_E_clISt17integral_constantIbLb0EESY_IbLb1EEEEDaSU_SV_EUlSU_E_NS1_11comp_targetILNS1_3genE10ELNS1_11target_archE1201ELNS1_3gpuE5ELNS1_3repE0EEENS1_30default_config_static_selectorELNS0_4arch9wavefront6targetE1EEEvT1_,comdat
.Lfunc_end145:
	.size	_ZN7rocprim17ROCPRIM_400000_NS6detail17trampoline_kernelINS0_14default_configENS1_27scan_by_key_config_selectorIiiEEZZNS1_16scan_by_key_implILNS1_25lookback_scan_determinismE0ELb1ES3_N6thrust23THRUST_200600_302600_NS6detail15normal_iteratorINS9_10device_ptrIiEEEESE_SE_iNS9_4plusIvEE19head_flag_predicateIiEiEE10hipError_tPvRmT2_T3_T4_T5_mT6_T7_P12ihipStream_tbENKUlT_T0_E_clISt17integral_constantIbLb0EESY_IbLb1EEEEDaSU_SV_EUlSU_E_NS1_11comp_targetILNS1_3genE10ELNS1_11target_archE1201ELNS1_3gpuE5ELNS1_3repE0EEENS1_30default_config_static_selectorELNS0_4arch9wavefront6targetE1EEEvT1_, .Lfunc_end145-_ZN7rocprim17ROCPRIM_400000_NS6detail17trampoline_kernelINS0_14default_configENS1_27scan_by_key_config_selectorIiiEEZZNS1_16scan_by_key_implILNS1_25lookback_scan_determinismE0ELb1ES3_N6thrust23THRUST_200600_302600_NS6detail15normal_iteratorINS9_10device_ptrIiEEEESE_SE_iNS9_4plusIvEE19head_flag_predicateIiEiEE10hipError_tPvRmT2_T3_T4_T5_mT6_T7_P12ihipStream_tbENKUlT_T0_E_clISt17integral_constantIbLb0EESY_IbLb1EEEEDaSU_SV_EUlSU_E_NS1_11comp_targetILNS1_3genE10ELNS1_11target_archE1201ELNS1_3gpuE5ELNS1_3repE0EEENS1_30default_config_static_selectorELNS0_4arch9wavefront6targetE1EEEvT1_
                                        ; -- End function
	.section	.AMDGPU.csdata,"",@progbits
; Kernel info:
; codeLenInByte = 0
; NumSgprs: 4
; NumVgprs: 0
; NumAgprs: 0
; TotalNumVgprs: 0
; ScratchSize: 0
; MemoryBound: 0
; FloatMode: 240
; IeeeMode: 1
; LDSByteSize: 0 bytes/workgroup (compile time only)
; SGPRBlocks: 0
; VGPRBlocks: 0
; NumSGPRsForWavesPerEU: 4
; NumVGPRsForWavesPerEU: 1
; AccumOffset: 4
; Occupancy: 8
; WaveLimiterHint : 0
; COMPUTE_PGM_RSRC2:SCRATCH_EN: 0
; COMPUTE_PGM_RSRC2:USER_SGPR: 6
; COMPUTE_PGM_RSRC2:TRAP_HANDLER: 0
; COMPUTE_PGM_RSRC2:TGID_X_EN: 1
; COMPUTE_PGM_RSRC2:TGID_Y_EN: 0
; COMPUTE_PGM_RSRC2:TGID_Z_EN: 0
; COMPUTE_PGM_RSRC2:TIDIG_COMP_CNT: 0
; COMPUTE_PGM_RSRC3_GFX90A:ACCUM_OFFSET: 0
; COMPUTE_PGM_RSRC3_GFX90A:TG_SPLIT: 0
	.section	.text._ZN7rocprim17ROCPRIM_400000_NS6detail17trampoline_kernelINS0_14default_configENS1_27scan_by_key_config_selectorIiiEEZZNS1_16scan_by_key_implILNS1_25lookback_scan_determinismE0ELb1ES3_N6thrust23THRUST_200600_302600_NS6detail15normal_iteratorINS9_10device_ptrIiEEEESE_SE_iNS9_4plusIvEE19head_flag_predicateIiEiEE10hipError_tPvRmT2_T3_T4_T5_mT6_T7_P12ihipStream_tbENKUlT_T0_E_clISt17integral_constantIbLb0EESY_IbLb1EEEEDaSU_SV_EUlSU_E_NS1_11comp_targetILNS1_3genE5ELNS1_11target_archE942ELNS1_3gpuE9ELNS1_3repE0EEENS1_30default_config_static_selectorELNS0_4arch9wavefront6targetE1EEEvT1_,"axG",@progbits,_ZN7rocprim17ROCPRIM_400000_NS6detail17trampoline_kernelINS0_14default_configENS1_27scan_by_key_config_selectorIiiEEZZNS1_16scan_by_key_implILNS1_25lookback_scan_determinismE0ELb1ES3_N6thrust23THRUST_200600_302600_NS6detail15normal_iteratorINS9_10device_ptrIiEEEESE_SE_iNS9_4plusIvEE19head_flag_predicateIiEiEE10hipError_tPvRmT2_T3_T4_T5_mT6_T7_P12ihipStream_tbENKUlT_T0_E_clISt17integral_constantIbLb0EESY_IbLb1EEEEDaSU_SV_EUlSU_E_NS1_11comp_targetILNS1_3genE5ELNS1_11target_archE942ELNS1_3gpuE9ELNS1_3repE0EEENS1_30default_config_static_selectorELNS0_4arch9wavefront6targetE1EEEvT1_,comdat
	.protected	_ZN7rocprim17ROCPRIM_400000_NS6detail17trampoline_kernelINS0_14default_configENS1_27scan_by_key_config_selectorIiiEEZZNS1_16scan_by_key_implILNS1_25lookback_scan_determinismE0ELb1ES3_N6thrust23THRUST_200600_302600_NS6detail15normal_iteratorINS9_10device_ptrIiEEEESE_SE_iNS9_4plusIvEE19head_flag_predicateIiEiEE10hipError_tPvRmT2_T3_T4_T5_mT6_T7_P12ihipStream_tbENKUlT_T0_E_clISt17integral_constantIbLb0EESY_IbLb1EEEEDaSU_SV_EUlSU_E_NS1_11comp_targetILNS1_3genE5ELNS1_11target_archE942ELNS1_3gpuE9ELNS1_3repE0EEENS1_30default_config_static_selectorELNS0_4arch9wavefront6targetE1EEEvT1_ ; -- Begin function _ZN7rocprim17ROCPRIM_400000_NS6detail17trampoline_kernelINS0_14default_configENS1_27scan_by_key_config_selectorIiiEEZZNS1_16scan_by_key_implILNS1_25lookback_scan_determinismE0ELb1ES3_N6thrust23THRUST_200600_302600_NS6detail15normal_iteratorINS9_10device_ptrIiEEEESE_SE_iNS9_4plusIvEE19head_flag_predicateIiEiEE10hipError_tPvRmT2_T3_T4_T5_mT6_T7_P12ihipStream_tbENKUlT_T0_E_clISt17integral_constantIbLb0EESY_IbLb1EEEEDaSU_SV_EUlSU_E_NS1_11comp_targetILNS1_3genE5ELNS1_11target_archE942ELNS1_3gpuE9ELNS1_3repE0EEENS1_30default_config_static_selectorELNS0_4arch9wavefront6targetE1EEEvT1_
	.globl	_ZN7rocprim17ROCPRIM_400000_NS6detail17trampoline_kernelINS0_14default_configENS1_27scan_by_key_config_selectorIiiEEZZNS1_16scan_by_key_implILNS1_25lookback_scan_determinismE0ELb1ES3_N6thrust23THRUST_200600_302600_NS6detail15normal_iteratorINS9_10device_ptrIiEEEESE_SE_iNS9_4plusIvEE19head_flag_predicateIiEiEE10hipError_tPvRmT2_T3_T4_T5_mT6_T7_P12ihipStream_tbENKUlT_T0_E_clISt17integral_constantIbLb0EESY_IbLb1EEEEDaSU_SV_EUlSU_E_NS1_11comp_targetILNS1_3genE5ELNS1_11target_archE942ELNS1_3gpuE9ELNS1_3repE0EEENS1_30default_config_static_selectorELNS0_4arch9wavefront6targetE1EEEvT1_
	.p2align	8
	.type	_ZN7rocprim17ROCPRIM_400000_NS6detail17trampoline_kernelINS0_14default_configENS1_27scan_by_key_config_selectorIiiEEZZNS1_16scan_by_key_implILNS1_25lookback_scan_determinismE0ELb1ES3_N6thrust23THRUST_200600_302600_NS6detail15normal_iteratorINS9_10device_ptrIiEEEESE_SE_iNS9_4plusIvEE19head_flag_predicateIiEiEE10hipError_tPvRmT2_T3_T4_T5_mT6_T7_P12ihipStream_tbENKUlT_T0_E_clISt17integral_constantIbLb0EESY_IbLb1EEEEDaSU_SV_EUlSU_E_NS1_11comp_targetILNS1_3genE5ELNS1_11target_archE942ELNS1_3gpuE9ELNS1_3repE0EEENS1_30default_config_static_selectorELNS0_4arch9wavefront6targetE1EEEvT1_,@function
_ZN7rocprim17ROCPRIM_400000_NS6detail17trampoline_kernelINS0_14default_configENS1_27scan_by_key_config_selectorIiiEEZZNS1_16scan_by_key_implILNS1_25lookback_scan_determinismE0ELb1ES3_N6thrust23THRUST_200600_302600_NS6detail15normal_iteratorINS9_10device_ptrIiEEEESE_SE_iNS9_4plusIvEE19head_flag_predicateIiEiEE10hipError_tPvRmT2_T3_T4_T5_mT6_T7_P12ihipStream_tbENKUlT_T0_E_clISt17integral_constantIbLb0EESY_IbLb1EEEEDaSU_SV_EUlSU_E_NS1_11comp_targetILNS1_3genE5ELNS1_11target_archE942ELNS1_3gpuE9ELNS1_3repE0EEENS1_30default_config_static_selectorELNS0_4arch9wavefront6targetE1EEEvT1_: ; @_ZN7rocprim17ROCPRIM_400000_NS6detail17trampoline_kernelINS0_14default_configENS1_27scan_by_key_config_selectorIiiEEZZNS1_16scan_by_key_implILNS1_25lookback_scan_determinismE0ELb1ES3_N6thrust23THRUST_200600_302600_NS6detail15normal_iteratorINS9_10device_ptrIiEEEESE_SE_iNS9_4plusIvEE19head_flag_predicateIiEiEE10hipError_tPvRmT2_T3_T4_T5_mT6_T7_P12ihipStream_tbENKUlT_T0_E_clISt17integral_constantIbLb0EESY_IbLb1EEEEDaSU_SV_EUlSU_E_NS1_11comp_targetILNS1_3genE5ELNS1_11target_archE942ELNS1_3gpuE9ELNS1_3repE0EEENS1_30default_config_static_selectorELNS0_4arch9wavefront6targetE1EEEvT1_
; %bb.0:
	.section	.rodata,"a",@progbits
	.p2align	6, 0x0
	.amdhsa_kernel _ZN7rocprim17ROCPRIM_400000_NS6detail17trampoline_kernelINS0_14default_configENS1_27scan_by_key_config_selectorIiiEEZZNS1_16scan_by_key_implILNS1_25lookback_scan_determinismE0ELb1ES3_N6thrust23THRUST_200600_302600_NS6detail15normal_iteratorINS9_10device_ptrIiEEEESE_SE_iNS9_4plusIvEE19head_flag_predicateIiEiEE10hipError_tPvRmT2_T3_T4_T5_mT6_T7_P12ihipStream_tbENKUlT_T0_E_clISt17integral_constantIbLb0EESY_IbLb1EEEEDaSU_SV_EUlSU_E_NS1_11comp_targetILNS1_3genE5ELNS1_11target_archE942ELNS1_3gpuE9ELNS1_3repE0EEENS1_30default_config_static_selectorELNS0_4arch9wavefront6targetE1EEEvT1_
		.amdhsa_group_segment_fixed_size 0
		.amdhsa_private_segment_fixed_size 0
		.amdhsa_kernarg_size 112
		.amdhsa_user_sgpr_count 6
		.amdhsa_user_sgpr_private_segment_buffer 1
		.amdhsa_user_sgpr_dispatch_ptr 0
		.amdhsa_user_sgpr_queue_ptr 0
		.amdhsa_user_sgpr_kernarg_segment_ptr 1
		.amdhsa_user_sgpr_dispatch_id 0
		.amdhsa_user_sgpr_flat_scratch_init 0
		.amdhsa_user_sgpr_kernarg_preload_length 0
		.amdhsa_user_sgpr_kernarg_preload_offset 0
		.amdhsa_user_sgpr_private_segment_size 0
		.amdhsa_uses_dynamic_stack 0
		.amdhsa_system_sgpr_private_segment_wavefront_offset 0
		.amdhsa_system_sgpr_workgroup_id_x 1
		.amdhsa_system_sgpr_workgroup_id_y 0
		.amdhsa_system_sgpr_workgroup_id_z 0
		.amdhsa_system_sgpr_workgroup_info 0
		.amdhsa_system_vgpr_workitem_id 0
		.amdhsa_next_free_vgpr 1
		.amdhsa_next_free_sgpr 0
		.amdhsa_accum_offset 4
		.amdhsa_reserve_vcc 0
		.amdhsa_reserve_flat_scratch 0
		.amdhsa_float_round_mode_32 0
		.amdhsa_float_round_mode_16_64 0
		.amdhsa_float_denorm_mode_32 3
		.amdhsa_float_denorm_mode_16_64 3
		.amdhsa_dx10_clamp 1
		.amdhsa_ieee_mode 1
		.amdhsa_fp16_overflow 0
		.amdhsa_tg_split 0
		.amdhsa_exception_fp_ieee_invalid_op 0
		.amdhsa_exception_fp_denorm_src 0
		.amdhsa_exception_fp_ieee_div_zero 0
		.amdhsa_exception_fp_ieee_overflow 0
		.amdhsa_exception_fp_ieee_underflow 0
		.amdhsa_exception_fp_ieee_inexact 0
		.amdhsa_exception_int_div_zero 0
	.end_amdhsa_kernel
	.section	.text._ZN7rocprim17ROCPRIM_400000_NS6detail17trampoline_kernelINS0_14default_configENS1_27scan_by_key_config_selectorIiiEEZZNS1_16scan_by_key_implILNS1_25lookback_scan_determinismE0ELb1ES3_N6thrust23THRUST_200600_302600_NS6detail15normal_iteratorINS9_10device_ptrIiEEEESE_SE_iNS9_4plusIvEE19head_flag_predicateIiEiEE10hipError_tPvRmT2_T3_T4_T5_mT6_T7_P12ihipStream_tbENKUlT_T0_E_clISt17integral_constantIbLb0EESY_IbLb1EEEEDaSU_SV_EUlSU_E_NS1_11comp_targetILNS1_3genE5ELNS1_11target_archE942ELNS1_3gpuE9ELNS1_3repE0EEENS1_30default_config_static_selectorELNS0_4arch9wavefront6targetE1EEEvT1_,"axG",@progbits,_ZN7rocprim17ROCPRIM_400000_NS6detail17trampoline_kernelINS0_14default_configENS1_27scan_by_key_config_selectorIiiEEZZNS1_16scan_by_key_implILNS1_25lookback_scan_determinismE0ELb1ES3_N6thrust23THRUST_200600_302600_NS6detail15normal_iteratorINS9_10device_ptrIiEEEESE_SE_iNS9_4plusIvEE19head_flag_predicateIiEiEE10hipError_tPvRmT2_T3_T4_T5_mT6_T7_P12ihipStream_tbENKUlT_T0_E_clISt17integral_constantIbLb0EESY_IbLb1EEEEDaSU_SV_EUlSU_E_NS1_11comp_targetILNS1_3genE5ELNS1_11target_archE942ELNS1_3gpuE9ELNS1_3repE0EEENS1_30default_config_static_selectorELNS0_4arch9wavefront6targetE1EEEvT1_,comdat
.Lfunc_end146:
	.size	_ZN7rocprim17ROCPRIM_400000_NS6detail17trampoline_kernelINS0_14default_configENS1_27scan_by_key_config_selectorIiiEEZZNS1_16scan_by_key_implILNS1_25lookback_scan_determinismE0ELb1ES3_N6thrust23THRUST_200600_302600_NS6detail15normal_iteratorINS9_10device_ptrIiEEEESE_SE_iNS9_4plusIvEE19head_flag_predicateIiEiEE10hipError_tPvRmT2_T3_T4_T5_mT6_T7_P12ihipStream_tbENKUlT_T0_E_clISt17integral_constantIbLb0EESY_IbLb1EEEEDaSU_SV_EUlSU_E_NS1_11comp_targetILNS1_3genE5ELNS1_11target_archE942ELNS1_3gpuE9ELNS1_3repE0EEENS1_30default_config_static_selectorELNS0_4arch9wavefront6targetE1EEEvT1_, .Lfunc_end146-_ZN7rocprim17ROCPRIM_400000_NS6detail17trampoline_kernelINS0_14default_configENS1_27scan_by_key_config_selectorIiiEEZZNS1_16scan_by_key_implILNS1_25lookback_scan_determinismE0ELb1ES3_N6thrust23THRUST_200600_302600_NS6detail15normal_iteratorINS9_10device_ptrIiEEEESE_SE_iNS9_4plusIvEE19head_flag_predicateIiEiEE10hipError_tPvRmT2_T3_T4_T5_mT6_T7_P12ihipStream_tbENKUlT_T0_E_clISt17integral_constantIbLb0EESY_IbLb1EEEEDaSU_SV_EUlSU_E_NS1_11comp_targetILNS1_3genE5ELNS1_11target_archE942ELNS1_3gpuE9ELNS1_3repE0EEENS1_30default_config_static_selectorELNS0_4arch9wavefront6targetE1EEEvT1_
                                        ; -- End function
	.section	.AMDGPU.csdata,"",@progbits
; Kernel info:
; codeLenInByte = 0
; NumSgprs: 4
; NumVgprs: 0
; NumAgprs: 0
; TotalNumVgprs: 0
; ScratchSize: 0
; MemoryBound: 0
; FloatMode: 240
; IeeeMode: 1
; LDSByteSize: 0 bytes/workgroup (compile time only)
; SGPRBlocks: 0
; VGPRBlocks: 0
; NumSGPRsForWavesPerEU: 4
; NumVGPRsForWavesPerEU: 1
; AccumOffset: 4
; Occupancy: 8
; WaveLimiterHint : 0
; COMPUTE_PGM_RSRC2:SCRATCH_EN: 0
; COMPUTE_PGM_RSRC2:USER_SGPR: 6
; COMPUTE_PGM_RSRC2:TRAP_HANDLER: 0
; COMPUTE_PGM_RSRC2:TGID_X_EN: 1
; COMPUTE_PGM_RSRC2:TGID_Y_EN: 0
; COMPUTE_PGM_RSRC2:TGID_Z_EN: 0
; COMPUTE_PGM_RSRC2:TIDIG_COMP_CNT: 0
; COMPUTE_PGM_RSRC3_GFX90A:ACCUM_OFFSET: 0
; COMPUTE_PGM_RSRC3_GFX90A:TG_SPLIT: 0
	.section	.text._ZN7rocprim17ROCPRIM_400000_NS6detail17trampoline_kernelINS0_14default_configENS1_27scan_by_key_config_selectorIiiEEZZNS1_16scan_by_key_implILNS1_25lookback_scan_determinismE0ELb1ES3_N6thrust23THRUST_200600_302600_NS6detail15normal_iteratorINS9_10device_ptrIiEEEESE_SE_iNS9_4plusIvEE19head_flag_predicateIiEiEE10hipError_tPvRmT2_T3_T4_T5_mT6_T7_P12ihipStream_tbENKUlT_T0_E_clISt17integral_constantIbLb0EESY_IbLb1EEEEDaSU_SV_EUlSU_E_NS1_11comp_targetILNS1_3genE4ELNS1_11target_archE910ELNS1_3gpuE8ELNS1_3repE0EEENS1_30default_config_static_selectorELNS0_4arch9wavefront6targetE1EEEvT1_,"axG",@progbits,_ZN7rocprim17ROCPRIM_400000_NS6detail17trampoline_kernelINS0_14default_configENS1_27scan_by_key_config_selectorIiiEEZZNS1_16scan_by_key_implILNS1_25lookback_scan_determinismE0ELb1ES3_N6thrust23THRUST_200600_302600_NS6detail15normal_iteratorINS9_10device_ptrIiEEEESE_SE_iNS9_4plusIvEE19head_flag_predicateIiEiEE10hipError_tPvRmT2_T3_T4_T5_mT6_T7_P12ihipStream_tbENKUlT_T0_E_clISt17integral_constantIbLb0EESY_IbLb1EEEEDaSU_SV_EUlSU_E_NS1_11comp_targetILNS1_3genE4ELNS1_11target_archE910ELNS1_3gpuE8ELNS1_3repE0EEENS1_30default_config_static_selectorELNS0_4arch9wavefront6targetE1EEEvT1_,comdat
	.protected	_ZN7rocprim17ROCPRIM_400000_NS6detail17trampoline_kernelINS0_14default_configENS1_27scan_by_key_config_selectorIiiEEZZNS1_16scan_by_key_implILNS1_25lookback_scan_determinismE0ELb1ES3_N6thrust23THRUST_200600_302600_NS6detail15normal_iteratorINS9_10device_ptrIiEEEESE_SE_iNS9_4plusIvEE19head_flag_predicateIiEiEE10hipError_tPvRmT2_T3_T4_T5_mT6_T7_P12ihipStream_tbENKUlT_T0_E_clISt17integral_constantIbLb0EESY_IbLb1EEEEDaSU_SV_EUlSU_E_NS1_11comp_targetILNS1_3genE4ELNS1_11target_archE910ELNS1_3gpuE8ELNS1_3repE0EEENS1_30default_config_static_selectorELNS0_4arch9wavefront6targetE1EEEvT1_ ; -- Begin function _ZN7rocprim17ROCPRIM_400000_NS6detail17trampoline_kernelINS0_14default_configENS1_27scan_by_key_config_selectorIiiEEZZNS1_16scan_by_key_implILNS1_25lookback_scan_determinismE0ELb1ES3_N6thrust23THRUST_200600_302600_NS6detail15normal_iteratorINS9_10device_ptrIiEEEESE_SE_iNS9_4plusIvEE19head_flag_predicateIiEiEE10hipError_tPvRmT2_T3_T4_T5_mT6_T7_P12ihipStream_tbENKUlT_T0_E_clISt17integral_constantIbLb0EESY_IbLb1EEEEDaSU_SV_EUlSU_E_NS1_11comp_targetILNS1_3genE4ELNS1_11target_archE910ELNS1_3gpuE8ELNS1_3repE0EEENS1_30default_config_static_selectorELNS0_4arch9wavefront6targetE1EEEvT1_
	.globl	_ZN7rocprim17ROCPRIM_400000_NS6detail17trampoline_kernelINS0_14default_configENS1_27scan_by_key_config_selectorIiiEEZZNS1_16scan_by_key_implILNS1_25lookback_scan_determinismE0ELb1ES3_N6thrust23THRUST_200600_302600_NS6detail15normal_iteratorINS9_10device_ptrIiEEEESE_SE_iNS9_4plusIvEE19head_flag_predicateIiEiEE10hipError_tPvRmT2_T3_T4_T5_mT6_T7_P12ihipStream_tbENKUlT_T0_E_clISt17integral_constantIbLb0EESY_IbLb1EEEEDaSU_SV_EUlSU_E_NS1_11comp_targetILNS1_3genE4ELNS1_11target_archE910ELNS1_3gpuE8ELNS1_3repE0EEENS1_30default_config_static_selectorELNS0_4arch9wavefront6targetE1EEEvT1_
	.p2align	8
	.type	_ZN7rocprim17ROCPRIM_400000_NS6detail17trampoline_kernelINS0_14default_configENS1_27scan_by_key_config_selectorIiiEEZZNS1_16scan_by_key_implILNS1_25lookback_scan_determinismE0ELb1ES3_N6thrust23THRUST_200600_302600_NS6detail15normal_iteratorINS9_10device_ptrIiEEEESE_SE_iNS9_4plusIvEE19head_flag_predicateIiEiEE10hipError_tPvRmT2_T3_T4_T5_mT6_T7_P12ihipStream_tbENKUlT_T0_E_clISt17integral_constantIbLb0EESY_IbLb1EEEEDaSU_SV_EUlSU_E_NS1_11comp_targetILNS1_3genE4ELNS1_11target_archE910ELNS1_3gpuE8ELNS1_3repE0EEENS1_30default_config_static_selectorELNS0_4arch9wavefront6targetE1EEEvT1_,@function
_ZN7rocprim17ROCPRIM_400000_NS6detail17trampoline_kernelINS0_14default_configENS1_27scan_by_key_config_selectorIiiEEZZNS1_16scan_by_key_implILNS1_25lookback_scan_determinismE0ELb1ES3_N6thrust23THRUST_200600_302600_NS6detail15normal_iteratorINS9_10device_ptrIiEEEESE_SE_iNS9_4plusIvEE19head_flag_predicateIiEiEE10hipError_tPvRmT2_T3_T4_T5_mT6_T7_P12ihipStream_tbENKUlT_T0_E_clISt17integral_constantIbLb0EESY_IbLb1EEEEDaSU_SV_EUlSU_E_NS1_11comp_targetILNS1_3genE4ELNS1_11target_archE910ELNS1_3gpuE8ELNS1_3repE0EEENS1_30default_config_static_selectorELNS0_4arch9wavefront6targetE1EEEvT1_: ; @_ZN7rocprim17ROCPRIM_400000_NS6detail17trampoline_kernelINS0_14default_configENS1_27scan_by_key_config_selectorIiiEEZZNS1_16scan_by_key_implILNS1_25lookback_scan_determinismE0ELb1ES3_N6thrust23THRUST_200600_302600_NS6detail15normal_iteratorINS9_10device_ptrIiEEEESE_SE_iNS9_4plusIvEE19head_flag_predicateIiEiEE10hipError_tPvRmT2_T3_T4_T5_mT6_T7_P12ihipStream_tbENKUlT_T0_E_clISt17integral_constantIbLb0EESY_IbLb1EEEEDaSU_SV_EUlSU_E_NS1_11comp_targetILNS1_3genE4ELNS1_11target_archE910ELNS1_3gpuE8ELNS1_3repE0EEENS1_30default_config_static_selectorELNS0_4arch9wavefront6targetE1EEEvT1_
; %bb.0:
	s_load_dword s54, s[4:5], 0x20
	s_load_dwordx4 s[44:47], s[4:5], 0x28
	s_load_dwordx2 s[52:53], s[4:5], 0x38
	v_cmp_eq_u32_e64 s[0:1], 0, v0
	s_and_saveexec_b64 s[2:3], s[0:1]
	s_cbranch_execz .LBB147_4
; %bb.1:
	s_mov_b64 s[8:9], exec
	v_mbcnt_lo_u32_b32 v1, s8, 0
	v_mbcnt_hi_u32_b32 v1, s9, v1
	v_cmp_eq_u32_e32 vcc, 0, v1
                                        ; implicit-def: $vgpr2
	s_and_saveexec_b64 s[6:7], vcc
	s_cbranch_execz .LBB147_3
; %bb.2:
	s_load_dwordx2 s[10:11], s[4:5], 0x68
	s_bcnt1_i32_b64 s8, s[8:9]
	v_mov_b32_e32 v2, 0
	v_mov_b32_e32 v3, s8
	s_waitcnt lgkmcnt(0)
	global_atomic_add v2, v2, v3, s[10:11] glc
.LBB147_3:
	s_or_b64 exec, exec, s[6:7]
	s_waitcnt vmcnt(0)
	v_readfirstlane_b32 s6, v2
	v_add_u32_e32 v1, s6, v1
	v_mov_b32_e32 v2, 0
	ds_write_b32 v2, v1
.LBB147_4:
	s_or_b64 exec, exec, s[2:3]
	s_load_dwordx8 s[36:43], s[4:5], 0x0
	s_load_dword s2, s[4:5], 0x40
	s_load_dwordx4 s[48:51], s[4:5], 0x48
	v_mov_b32_e32 v3, 0
	s_waitcnt lgkmcnt(0)
	s_lshl_b64 s[34:35], s[38:39], 2
	s_barrier
	ds_read_b32 v4, v3
	s_add_u32 s3, s36, s34
	s_addc_u32 s4, s37, s35
	s_add_u32 s5, s40, s34
	s_mul_i32 s7, s53, s2
	s_mul_hi_u32 s8, s52, s2
	s_addc_u32 s6, s41, s35
	s_add_i32 s7, s8, s7
	s_movk_i32 s8, 0xe00
	s_waitcnt lgkmcnt(0)
	v_mul_lo_u32 v2, v4, s8
	v_lshlrev_b64 v[38:39], 2, v[2:3]
	v_mov_b32_e32 v1, s4
	v_add_co_u32_e32 v42, vcc, s3, v38
	v_addc_co_u32_e32 v43, vcc, v1, v39, vcc
	v_mov_b32_e32 v2, s6
	v_add_co_u32_e32 v1, vcc, s5, v38
	s_mul_i32 s2, s52, s2
	v_addc_co_u32_e32 v46, vcc, v2, v39, vcc
	v_mov_b32_e32 v3, s7
	v_add_co_u32_e32 v2, vcc, s2, v4
	s_add_u32 s4, s48, -1
	v_addc_co_u32_e32 v3, vcc, 0, v3, vcc
	s_addc_u32 s5, s49, -1
	v_cmp_le_u64_e64 s[2:3], s[4:5], v[2:3]
	v_readfirstlane_b32 s47, v4
	s_mov_b64 s[12:13], -1
	s_and_b64 vcc, exec, s[2:3]
	s_mul_i32 s33, s4, 0xfffff200
	s_barrier
	s_barrier
	s_cbranch_vccz .LBB147_80
; %bb.5:
	flat_load_dword v13, v[42:43]
	s_add_i32 s40, s33, s46
	v_cmp_gt_u32_e32 vcc, s40, v0
	s_waitcnt vmcnt(0) lgkmcnt(0)
	v_mov_b32_e32 v14, v13
	s_and_saveexec_b64 s[6:7], vcc
	s_cbranch_execz .LBB147_7
; %bb.6:
	v_lshlrev_b32_e32 v2, 2, v0
	v_add_co_u32_e64 v2, s[4:5], v42, v2
	v_addc_co_u32_e64 v3, s[4:5], 0, v43, s[4:5]
	flat_load_dword v14, v[2:3]
.LBB147_7:
	s_or_b64 exec, exec, s[6:7]
	v_or_b32_e32 v2, 0x100, v0
	v_cmp_gt_u32_e64 s[4:5], s40, v2
	v_mov_b32_e32 v15, v13
	s_and_saveexec_b64 s[8:9], s[4:5]
	s_cbranch_execz .LBB147_9
; %bb.8:
	v_lshlrev_b32_e32 v2, 2, v0
	v_add_co_u32_e64 v2, s[6:7], v42, v2
	v_addc_co_u32_e64 v3, s[6:7], 0, v43, s[6:7]
	flat_load_dword v15, v[2:3] offset:1024
.LBB147_9:
	s_or_b64 exec, exec, s[8:9]
	v_or_b32_e32 v2, 0x200, v0
	v_cmp_gt_u32_e64 s[6:7], s40, v2
	v_mov_b32_e32 v16, v13
	s_and_saveexec_b64 s[10:11], s[6:7]
	s_cbranch_execz .LBB147_11
; %bb.10:
	v_lshlrev_b32_e32 v2, 2, v0
	v_add_co_u32_e64 v2, s[8:9], v42, v2
	v_addc_co_u32_e64 v3, s[8:9], 0, v43, s[8:9]
	flat_load_dword v16, v[2:3] offset:2048
.LBB147_11:
	;; [unrolled: 12-line block ×3, first 2 shown]
	s_or_b64 exec, exec, s[12:13]
	v_or_b32_e32 v2, 0x400, v0
	v_cmp_gt_u32_e64 s[10:11], s40, v2
	v_lshlrev_b32_e32 v2, 2, v2
	v_mov_b32_e32 v18, v13
	s_and_saveexec_b64 s[14:15], s[10:11]
	s_cbranch_execz .LBB147_15
; %bb.14:
	v_add_co_u32_e64 v4, s[12:13], v42, v2
	v_addc_co_u32_e64 v5, s[12:13], 0, v43, s[12:13]
	flat_load_dword v18, v[4:5]
.LBB147_15:
	s_or_b64 exec, exec, s[14:15]
	v_or_b32_e32 v3, 0x500, v0
	v_cmp_gt_u32_e64 s[12:13], s40, v3
	v_lshlrev_b32_e32 v3, 2, v3
	v_mov_b32_e32 v19, v13
	s_and_saveexec_b64 s[16:17], s[12:13]
	s_cbranch_execz .LBB147_17
; %bb.16:
	v_add_co_u32_e64 v4, s[14:15], v42, v3
	v_addc_co_u32_e64 v5, s[14:15], 0, v43, s[14:15]
	flat_load_dword v19, v[4:5]
.LBB147_17:
	;; [unrolled: 12-line block ×9, first 2 shown]
	s_or_b64 exec, exec, s[30:31]
	v_or_b32_e32 v11, 0xd00, v0
	v_cmp_gt_u32_e64 s[28:29], s40, v11
	v_lshlrev_b32_e32 v11, 2, v11
	s_and_saveexec_b64 s[36:37], s[28:29]
	s_cbranch_execz .LBB147_33
; %bb.32:
	v_add_co_u32_e64 v12, s[30:31], v42, v11
	v_addc_co_u32_e64 v13, s[30:31], 0, v43, s[30:31]
	flat_load_dword v13, v[12:13]
.LBB147_33:
	s_or_b64 exec, exec, s[36:37]
	v_lshlrev_b32_e32 v12, 2, v0
	s_waitcnt vmcnt(0) lgkmcnt(0)
	ds_write2st64_b32 v12, v14, v15 offset1:4
	ds_write2st64_b32 v12, v16, v17 offset0:8 offset1:12
	ds_write2st64_b32 v12, v18, v19 offset0:16 offset1:20
	;; [unrolled: 1-line block ×6, first 2 shown]
	s_waitcnt lgkmcnt(0)
	s_barrier
	flat_load_dword v47, v[42:43]
	v_mad_u32_u24 v48, v0, 52, v12
	s_movk_i32 s30, 0xffcc
	ds_read2_b64 v[34:37], v48 offset1:1
	ds_read2_b64 v[30:33], v48 offset0:2 offset1:3
	ds_read2_b64 v[26:29], v48 offset0:4 offset1:5
	ds_read_b64 v[44:45], v48 offset:48
	v_mad_i32_i24 v13, v0, s30, v48
	s_movk_i32 s30, 0xff
	v_cmp_ne_u32_e64 s[30:31], s30, v0
	s_waitcnt lgkmcnt(0)
	ds_write_b32 v13, v34 offset:15360
	s_waitcnt lgkmcnt(0)
	s_barrier
	s_and_saveexec_b64 s[36:37], s[30:31]
	s_cbranch_execz .LBB147_35
; %bb.34:
	s_waitcnt vmcnt(0)
	ds_read_b32 v47, v12 offset:15364
.LBB147_35:
	s_or_b64 exec, exec, s[36:37]
	s_waitcnt lgkmcnt(0)
	s_barrier
	s_waitcnt lgkmcnt(0)
                                        ; implicit-def: $vgpr13
	s_and_saveexec_b64 s[30:31], vcc
	s_cbranch_execz .LBB147_117
; %bb.36:
	v_add_co_u32_e32 v14, vcc, v1, v12
	v_addc_co_u32_e32 v15, vcc, 0, v46, vcc
	flat_load_dword v13, v[14:15]
	s_or_b64 exec, exec, s[30:31]
                                        ; implicit-def: $vgpr14
	s_and_saveexec_b64 s[30:31], s[4:5]
	s_cbranch_execnz .LBB147_118
.LBB147_37:
	s_or_b64 exec, exec, s[30:31]
                                        ; implicit-def: $vgpr15
	s_and_saveexec_b64 s[4:5], s[6:7]
	s_cbranch_execz .LBB147_119
.LBB147_38:
	v_add_co_u32_e32 v16, vcc, v1, v12
	v_addc_co_u32_e32 v17, vcc, 0, v46, vcc
	flat_load_dword v15, v[16:17] offset:2048
	s_or_b64 exec, exec, s[4:5]
                                        ; implicit-def: $vgpr16
	s_and_saveexec_b64 s[4:5], s[8:9]
	s_cbranch_execnz .LBB147_120
.LBB147_39:
	s_or_b64 exec, exec, s[4:5]
                                        ; implicit-def: $vgpr17
	s_and_saveexec_b64 s[4:5], s[10:11]
	s_cbranch_execz .LBB147_121
.LBB147_40:
	v_add_co_u32_e32 v18, vcc, v1, v2
	v_addc_co_u32_e32 v19, vcc, 0, v46, vcc
	flat_load_dword v17, v[18:19]
	s_or_b64 exec, exec, s[4:5]
                                        ; implicit-def: $vgpr2
	s_and_saveexec_b64 s[4:5], s[12:13]
	s_cbranch_execnz .LBB147_122
.LBB147_41:
	s_or_b64 exec, exec, s[4:5]
                                        ; implicit-def: $vgpr3
	s_and_saveexec_b64 s[4:5], s[14:15]
	s_cbranch_execz .LBB147_123
.LBB147_42:
	v_add_co_u32_e32 v18, vcc, v1, v4
	v_addc_co_u32_e32 v19, vcc, 0, v46, vcc
	flat_load_dword v3, v[18:19]
	s_or_b64 exec, exec, s[4:5]
                                        ; implicit-def: $vgpr4
	s_and_saveexec_b64 s[4:5], s[16:17]
	s_cbranch_execnz .LBB147_124
.LBB147_43:
	s_or_b64 exec, exec, s[4:5]
                                        ; implicit-def: $vgpr5
	s_and_saveexec_b64 s[4:5], s[18:19]
	s_cbranch_execz .LBB147_125
.LBB147_44:
	v_add_co_u32_e32 v18, vcc, v1, v6
	v_addc_co_u32_e32 v19, vcc, 0, v46, vcc
	flat_load_dword v5, v[18:19]
	s_or_b64 exec, exec, s[4:5]
                                        ; implicit-def: $vgpr6
	s_and_saveexec_b64 s[4:5], s[20:21]
	s_cbranch_execnz .LBB147_126
.LBB147_45:
	s_or_b64 exec, exec, s[4:5]
                                        ; implicit-def: $vgpr7
	s_and_saveexec_b64 s[4:5], s[22:23]
	s_cbranch_execz .LBB147_127
.LBB147_46:
	v_add_co_u32_e32 v18, vcc, v1, v8
	v_addc_co_u32_e32 v19, vcc, 0, v46, vcc
	flat_load_dword v7, v[18:19]
	s_or_b64 exec, exec, s[4:5]
                                        ; implicit-def: $vgpr8
	s_and_saveexec_b64 s[4:5], s[24:25]
	s_cbranch_execnz .LBB147_128
.LBB147_47:
	s_or_b64 exec, exec, s[4:5]
                                        ; implicit-def: $vgpr9
	s_and_saveexec_b64 s[4:5], s[26:27]
	s_cbranch_execz .LBB147_49
.LBB147_48:
	v_add_co_u32_e32 v18, vcc, v1, v10
	v_addc_co_u32_e32 v19, vcc, 0, v46, vcc
	flat_load_dword v9, v[18:19]
.LBB147_49:
	s_or_b64 exec, exec, s[4:5]
	v_mul_u32_u24_e32 v49, 14, v0
                                        ; implicit-def: $vgpr10
	s_and_saveexec_b64 s[4:5], s[28:29]
	s_cbranch_execz .LBB147_51
; %bb.50:
	v_add_co_u32_e32 v10, vcc, v1, v11
	v_addc_co_u32_e32 v11, vcc, 0, v46, vcc
	flat_load_dword v10, v[10:11]
.LBB147_51:
	s_or_b64 exec, exec, s[4:5]
	s_mov_b32 s4, 0
	s_mov_b32 s5, s4
	s_waitcnt vmcnt(0) lgkmcnt(0)
	ds_write2st64_b32 v12, v13, v14 offset1:4
	ds_write2st64_b32 v12, v15, v16 offset0:8 offset1:12
	ds_write2st64_b32 v12, v17, v2 offset0:16 offset1:20
	;; [unrolled: 1-line block ×6, first 2 shown]
	s_mov_b32 s6, s4
	s_mov_b32 s7, s4
	s_mov_b32 s8, s4
	s_mov_b32 s9, s4
	s_mov_b32 s10, s4
	s_mov_b32 s11, s4
	v_pk_mov_b32 v[2:3], s[4:5], s[4:5] op_sel:[0,1]
	v_pk_mov_b32 v[8:9], s[10:11], s[10:11] op_sel:[0,1]
	;; [unrolled: 1-line block ×6, first 2 shown]
	v_cmp_gt_u32_e32 vcc, s40, v49
	s_mov_b64 s[12:13], 0
	v_pk_mov_b32 v[40:41], 0, 0
	s_mov_b64 s[18:19], 0
	v_pk_mov_b32 v[14:15], v[6:7], v[6:7] op_sel:[0,1]
	v_pk_mov_b32 v[12:13], v[4:5], v[4:5] op_sel:[0,1]
	;; [unrolled: 1-line block ×6, first 2 shown]
	s_waitcnt lgkmcnt(0)
	s_barrier
	s_waitcnt lgkmcnt(0)
                                        ; implicit-def: $sgpr16_sgpr17
                                        ; implicit-def: $vgpr34
	s_and_saveexec_b64 s[14:15], vcc
	s_cbranch_execz .LBB147_79
; %bb.52:
	ds_read_b32 v2, v48
	v_mov_b32_e32 v4, s54
	v_cmp_eq_u32_e32 vcc, 0, v35
	v_or_b32_e32 v3, 1, v49
                                        ; implicit-def: $vgpr34
	s_waitcnt lgkmcnt(0)
	v_cndmask_b32_e32 v40, v4, v2, vcc
	v_cmp_ne_u32_e32 vcc, 0, v35
	v_cndmask_b32_e64 v41, 0, 1, vcc
	v_cmp_gt_u32_e32 vcc, s40, v3
	v_pk_mov_b32 v[2:3], s[4:5], s[4:5] op_sel:[0,1]
	v_pk_mov_b32 v[8:9], s[10:11], s[10:11] op_sel:[0,1]
	;; [unrolled: 1-line block ×12, first 2 shown]
                                        ; implicit-def: $sgpr4_sgpr5
	s_and_saveexec_b64 s[16:17], vcc
	s_cbranch_execz .LBB147_78
; %bb.53:
	ds_read2_b32 v[34:35], v48 offset0:1 offset1:2
	s_mov_b32 s4, 0
	v_mov_b32_e32 v3, s54
	v_cmp_eq_u32_e32 vcc, 0, v36
	s_mov_b32 s10, s4
	s_mov_b32 s11, s4
	v_add_u32_e32 v2, 2, v49
	s_waitcnt lgkmcnt(0)
	v_cndmask_b32_e32 v8, v3, v34, vcc
	v_cmp_ne_u32_e32 vcc, 0, v36
	s_mov_b32 s5, s4
	s_mov_b32 s6, s4
	;; [unrolled: 1-line block ×5, first 2 shown]
	v_pk_mov_b32 v[16:17], s[10:11], s[10:11] op_sel:[0,1]
	v_cndmask_b32_e64 v9, 0, 1, vcc
	v_cmp_gt_u32_e32 vcc, s40, v2
	v_mov_b32_e32 v2, 0
	v_pk_mov_b32 v[14:15], s[8:9], s[8:9] op_sel:[0,1]
	v_pk_mov_b32 v[12:13], s[6:7], s[6:7] op_sel:[0,1]
	;; [unrolled: 1-line block ×4, first 2 shown]
	v_mov_b32_e32 v3, v2
	v_mov_b32_e32 v4, v2
	;; [unrolled: 1-line block ×5, first 2 shown]
	s_mov_b64 s[20:21], 0
	v_pk_mov_b32 v[22:23], v[14:15], v[14:15] op_sel:[0,1]
	v_pk_mov_b32 v[20:21], v[12:13], v[12:13] op_sel:[0,1]
	;; [unrolled: 1-line block ×3, first 2 shown]
                                        ; implicit-def: $sgpr24_sgpr25
                                        ; implicit-def: $vgpr34
	s_and_saveexec_b64 s[18:19], vcc
	s_cbranch_execz .LBB147_77
; %bb.54:
	v_mov_b32_e32 v4, s54
	v_cmp_eq_u32_e32 vcc, 0, v37
	v_pk_mov_b32 v[16:17], s[10:11], s[10:11] op_sel:[0,1]
	v_add_u32_e32 v3, 3, v49
	v_cndmask_b32_e32 v6, v4, v35, vcc
	v_cmp_ne_u32_e32 vcc, 0, v37
	v_pk_mov_b32 v[14:15], s[8:9], s[8:9] op_sel:[0,1]
	v_pk_mov_b32 v[12:13], s[6:7], s[6:7] op_sel:[0,1]
	;; [unrolled: 1-line block ×4, first 2 shown]
	v_cndmask_b32_e64 v7, 0, 1, vcc
	v_cmp_gt_u32_e32 vcc, s40, v3
	v_mov_b32_e32 v3, v2
	v_mov_b32_e32 v4, v2
	;; [unrolled: 1-line block ×3, first 2 shown]
	s_mov_b64 s[22:23], 0
	v_pk_mov_b32 v[22:23], v[14:15], v[14:15] op_sel:[0,1]
	v_pk_mov_b32 v[20:21], v[12:13], v[12:13] op_sel:[0,1]
	;; [unrolled: 1-line block ×3, first 2 shown]
                                        ; implicit-def: $sgpr4_sgpr5
                                        ; implicit-def: $vgpr34
	s_and_saveexec_b64 s[20:21], vcc
	s_cbranch_execz .LBB147_76
; %bb.55:
	ds_read2_b32 v[34:35], v48 offset0:3 offset1:4
	s_mov_b32 s4, 0
	s_mov_b32 s10, s4
	;; [unrolled: 1-line block ×3, first 2 shown]
	v_mov_b32_e32 v3, s54
	v_cmp_eq_u32_e32 vcc, 0, v30
	s_mov_b32 s5, s4
	s_mov_b32 s6, s4
	;; [unrolled: 1-line block ×5, first 2 shown]
	v_pk_mov_b32 v[16:17], s[10:11], s[10:11] op_sel:[0,1]
	v_add_u32_e32 v2, 4, v49
	s_waitcnt lgkmcnt(0)
	v_cndmask_b32_e32 v4, v3, v34, vcc
	v_cmp_ne_u32_e32 vcc, 0, v30
	v_pk_mov_b32 v[14:15], s[8:9], s[8:9] op_sel:[0,1]
	v_pk_mov_b32 v[12:13], s[6:7], s[6:7] op_sel:[0,1]
	;; [unrolled: 1-line block ×4, first 2 shown]
	v_cndmask_b32_e64 v5, 0, 1, vcc
	v_cmp_gt_u32_e32 vcc, s40, v2
	v_mov_b32_e32 v2, s4
	v_mov_b32_e32 v3, s4
	s_mov_b64 s[24:25], 0
	v_pk_mov_b32 v[22:23], v[14:15], v[14:15] op_sel:[0,1]
	v_pk_mov_b32 v[20:21], v[12:13], v[12:13] op_sel:[0,1]
	;; [unrolled: 1-line block ×3, first 2 shown]
                                        ; implicit-def: $sgpr26_sgpr27
                                        ; implicit-def: $vgpr34
	s_and_saveexec_b64 s[22:23], vcc
	s_cbranch_execz .LBB147_75
; %bb.56:
	v_mov_b32_e32 v2, s54
	v_cmp_eq_u32_e32 vcc, 0, v31
	v_add_u32_e32 v10, 5, v49
	v_cndmask_b32_e32 v2, v2, v35, vcc
	v_cmp_ne_u32_e32 vcc, 0, v31
	v_cndmask_b32_e64 v3, 0, 1, vcc
	v_cmp_gt_u32_e32 vcc, s40, v10
	v_pk_mov_b32 v[16:17], s[10:11], s[10:11] op_sel:[0,1]
	v_pk_mov_b32 v[14:15], s[8:9], s[8:9] op_sel:[0,1]
	;; [unrolled: 1-line block ×5, first 2 shown]
	s_mov_b64 s[28:29], 0
	v_pk_mov_b32 v[22:23], v[14:15], v[14:15] op_sel:[0,1]
	v_pk_mov_b32 v[20:21], v[12:13], v[12:13] op_sel:[0,1]
	;; [unrolled: 1-line block ×3, first 2 shown]
                                        ; implicit-def: $sgpr4_sgpr5
                                        ; implicit-def: $vgpr34
	s_and_saveexec_b64 s[24:25], vcc
	s_cbranch_execz .LBB147_74
; %bb.57:
	ds_read2_b32 v[30:31], v48 offset0:5 offset1:6
	s_mov_b32 s4, 0
	v_mov_b32_e32 v11, s54
	v_cmp_eq_u32_e32 vcc, 0, v32
	v_add_u32_e32 v10, 6, v49
	s_waitcnt lgkmcnt(0)
	v_cndmask_b32_e32 v16, v11, v30, vcc
	v_cmp_ne_u32_e32 vcc, 0, v32
	s_mov_b32 s10, s4
	s_mov_b32 s11, s4
	v_cndmask_b32_e64 v17, 0, 1, vcc
	v_cmp_gt_u32_e32 vcc, s40, v10
	v_mov_b32_e32 v10, 0
	s_mov_b32 s5, s4
	s_mov_b32 s6, s4
	s_mov_b32 s7, s4
	s_mov_b32 s8, s4
	s_mov_b32 s9, s4
	v_pk_mov_b32 v[24:25], s[10:11], s[10:11] op_sel:[0,1]
	v_mov_b32_e32 v11, v10
	v_mov_b32_e32 v12, v10
	;; [unrolled: 1-line block ×5, first 2 shown]
	v_pk_mov_b32 v[22:23], s[8:9], s[8:9] op_sel:[0,1]
	v_pk_mov_b32 v[20:21], s[6:7], s[6:7] op_sel:[0,1]
	;; [unrolled: 1-line block ×3, first 2 shown]
                                        ; implicit-def: $sgpr36_sgpr37
                                        ; implicit-def: $vgpr34
	s_and_saveexec_b64 s[26:27], vcc
	s_cbranch_execz .LBB147_73
; %bb.58:
	v_mov_b32_e32 v12, s54
	v_cmp_eq_u32_e32 vcc, 0, v33
	v_add_u32_e32 v11, 7, v49
	v_cndmask_b32_e32 v14, v12, v31, vcc
	v_cmp_ne_u32_e32 vcc, 0, v33
	v_pk_mov_b32 v[24:25], s[10:11], s[10:11] op_sel:[0,1]
	v_cndmask_b32_e64 v15, 0, 1, vcc
	v_cmp_gt_u32_e32 vcc, s40, v11
	v_mov_b32_e32 v11, v10
	v_mov_b32_e32 v12, v10
	v_mov_b32_e32 v13, v10
	s_mov_b64 s[30:31], 0
	v_pk_mov_b32 v[22:23], s[8:9], s[8:9] op_sel:[0,1]
	v_pk_mov_b32 v[20:21], s[6:7], s[6:7] op_sel:[0,1]
	v_pk_mov_b32 v[18:19], s[4:5], s[4:5] op_sel:[0,1]
                                        ; implicit-def: $sgpr4_sgpr5
                                        ; implicit-def: $vgpr34
	s_and_saveexec_b64 s[28:29], vcc
	s_cbranch_execz .LBB147_72
; %bb.59:
	ds_read2_b32 v[30:31], v48 offset0:7 offset1:8
	s_mov_b32 s4, 0
	v_mov_b32_e32 v11, s54
	v_cmp_eq_u32_e32 vcc, 0, v26
	s_mov_b32 s10, s4
	s_mov_b32 s11, s4
	v_add_u32_e32 v10, 8, v49
	s_waitcnt lgkmcnt(0)
	v_cndmask_b32_e32 v12, v11, v30, vcc
	v_cmp_ne_u32_e32 vcc, 0, v26
	s_mov_b32 s5, s4
	s_mov_b32 s6, s4
	s_mov_b32 s7, s4
	s_mov_b32 s8, s4
	s_mov_b32 s9, s4
	v_pk_mov_b32 v[24:25], s[10:11], s[10:11] op_sel:[0,1]
	v_cndmask_b32_e64 v13, 0, 1, vcc
	v_cmp_gt_u32_e32 vcc, s40, v10
	v_mov_b32_e32 v10, s4
	v_mov_b32_e32 v11, s4
	s_mov_b64 s[36:37], 0
	v_pk_mov_b32 v[22:23], s[8:9], s[8:9] op_sel:[0,1]
	v_pk_mov_b32 v[20:21], s[6:7], s[6:7] op_sel:[0,1]
	;; [unrolled: 1-line block ×3, first 2 shown]
                                        ; implicit-def: $sgpr38_sgpr39
                                        ; implicit-def: $vgpr34
	s_and_saveexec_b64 s[30:31], vcc
	s_cbranch_execz .LBB147_71
; %bb.60:
	v_mov_b32_e32 v10, s54
	v_cmp_eq_u32_e32 vcc, 0, v27
	v_add_u32_e32 v18, 9, v49
	v_cndmask_b32_e32 v10, v10, v31, vcc
	v_cmp_ne_u32_e32 vcc, 0, v27
	v_cndmask_b32_e64 v11, 0, 1, vcc
	v_cmp_gt_u32_e32 vcc, s40, v18
	v_pk_mov_b32 v[24:25], s[10:11], s[10:11] op_sel:[0,1]
	v_pk_mov_b32 v[22:23], s[8:9], s[8:9] op_sel:[0,1]
	;; [unrolled: 1-line block ×4, first 2 shown]
                                        ; implicit-def: $sgpr6_sgpr7
                                        ; implicit-def: $vgpr34
	s_and_saveexec_b64 s[4:5], vcc
	s_cbranch_execz .LBB147_70
; %bb.61:
	ds_read2_b32 v[26:27], v48 offset0:9 offset1:10
	v_mov_b32_e32 v18, s54
	v_cmp_eq_u32_e32 vcc, 0, v28
	v_add_u32_e32 v20, 10, v49
	v_mov_b32_e32 v22, 0
	s_waitcnt lgkmcnt(0)
	v_cndmask_b32_e32 v18, v18, v26, vcc
	v_cmp_ne_u32_e32 vcc, 0, v28
	v_cndmask_b32_e64 v19, 0, 1, vcc
	v_cmp_gt_u32_e32 vcc, s40, v20
	v_mov_b32_e32 v20, v22
	v_mov_b32_e32 v21, v22
	v_mov_b32_e32 v23, v22
	v_mov_b32_e32 v24, v22
	v_mov_b32_e32 v25, v22
	s_mov_b64 s[8:9], 0
                                        ; implicit-def: $sgpr36_sgpr37
                                        ; implicit-def: $vgpr34
	s_and_saveexec_b64 s[6:7], vcc
	s_cbranch_execz .LBB147_69
; %bb.62:
	v_mov_b32_e32 v20, s54
	v_cmp_eq_u32_e32 vcc, 0, v29
	v_add_u32_e32 v23, 11, v49
	v_cndmask_b32_e32 v20, v20, v27, vcc
	v_cmp_ne_u32_e32 vcc, 0, v29
	v_cndmask_b32_e64 v21, 0, 1, vcc
	v_cmp_gt_u32_e32 vcc, s40, v23
	v_mov_b32_e32 v23, v22
	v_mov_b32_e32 v24, v22
	;; [unrolled: 1-line block ×3, first 2 shown]
	s_mov_b64 s[10:11], 0
                                        ; implicit-def: $sgpr38_sgpr39
                                        ; implicit-def: $vgpr34
	s_and_saveexec_b64 s[8:9], vcc
	s_cbranch_execz .LBB147_68
; %bb.63:
	ds_read2_b32 v[26:27], v48 offset0:11 offset1:12
	v_mov_b32_e32 v22, s54
	v_cmp_eq_u32_e32 vcc, 0, v44
	v_add_u32_e32 v24, 12, v49
	s_mov_b32 s10, 0
	s_waitcnt lgkmcnt(0)
	v_cndmask_b32_e32 v22, v22, v26, vcc
	v_cmp_ne_u32_e32 vcc, 0, v44
	v_cndmask_b32_e64 v23, 0, 1, vcc
	v_cmp_gt_u32_e32 vcc, s40, v24
	v_mov_b32_e32 v24, s10
	v_mov_b32_e32 v25, s10
	s_mov_b64 s[36:37], 0
                                        ; implicit-def: $sgpr38_sgpr39
                                        ; implicit-def: $vgpr34
	s_and_saveexec_b64 s[10:11], vcc
	s_cbranch_execz .LBB147_67
; %bb.64:
	v_mov_b32_e32 v24, s54
	v_cmp_eq_u32_e32 vcc, 0, v45
	v_add_u32_e32 v26, 13, v49
	v_cndmask_b32_e32 v24, v24, v27, vcc
	v_cmp_ne_u32_e32 vcc, 0, v45
	v_cndmask_b32_e64 v25, 0, 1, vcc
	v_cmp_gt_u32_e32 vcc, s40, v26
                                        ; implicit-def: $sgpr38_sgpr39
                                        ; implicit-def: $vgpr34
	s_and_saveexec_b64 s[40:41], vcc
	s_xor_b64 s[40:41], exec, s[40:41]
	s_cbranch_execz .LBB147_66
; %bb.65:
	ds_read_b32 v26, v48 offset:52
	v_mov_b32_e32 v27, s54
	v_cmp_ne_u32_e32 vcc, 0, v47
	s_mov_b64 s[36:37], exec
	s_and_b64 s[38:39], vcc, exec
	s_waitcnt lgkmcnt(0)
	v_cndmask_b32_e32 v34, v26, v27, vcc
.LBB147_66:
	s_or_b64 exec, exec, s[40:41]
	s_and_b64 s[38:39], s[38:39], exec
	s_and_b64 s[36:37], s[36:37], exec
.LBB147_67:
	s_or_b64 exec, exec, s[10:11]
	s_and_b64 s[38:39], s[38:39], exec
	s_and_b64 s[10:11], s[36:37], exec
.LBB147_68:
	s_or_b64 exec, exec, s[8:9]
	s_and_b64 s[36:37], s[38:39], exec
	s_and_b64 s[8:9], s[10:11], exec
.LBB147_69:
	s_or_b64 exec, exec, s[6:7]
	s_and_b64 s[6:7], s[36:37], exec
	s_and_b64 s[36:37], s[8:9], exec
.LBB147_70:
	s_or_b64 exec, exec, s[4:5]
	s_and_b64 s[38:39], s[6:7], exec
	s_and_b64 s[36:37], s[36:37], exec
.LBB147_71:
	s_or_b64 exec, exec, s[30:31]
	s_and_b64 s[4:5], s[38:39], exec
	s_and_b64 s[30:31], s[36:37], exec
.LBB147_72:
	s_or_b64 exec, exec, s[28:29]
	s_and_b64 s[36:37], s[4:5], exec
	s_and_b64 s[28:29], s[30:31], exec
.LBB147_73:
	s_or_b64 exec, exec, s[26:27]
	s_and_b64 s[4:5], s[36:37], exec
	s_and_b64 s[28:29], s[28:29], exec
.LBB147_74:
	s_or_b64 exec, exec, s[24:25]
	s_and_b64 s[26:27], s[4:5], exec
	s_and_b64 s[24:25], s[28:29], exec
.LBB147_75:
	s_or_b64 exec, exec, s[22:23]
	s_and_b64 s[4:5], s[26:27], exec
	s_and_b64 s[22:23], s[24:25], exec
.LBB147_76:
	s_or_b64 exec, exec, s[20:21]
	s_and_b64 s[24:25], s[4:5], exec
	s_and_b64 s[20:21], s[22:23], exec
.LBB147_77:
	s_or_b64 exec, exec, s[18:19]
	s_and_b64 s[4:5], s[24:25], exec
	s_and_b64 s[18:19], s[20:21], exec
.LBB147_78:
	s_or_b64 exec, exec, s[16:17]
	s_and_b64 s[16:17], s[4:5], exec
	s_and_b64 s[18:19], s[18:19], exec
.LBB147_79:
	s_or_b64 exec, exec, s[14:15]
	s_and_b64 vcc, exec, s[12:13]
	v_lshlrev_b32_e32 v52, 2, v0
	s_cbranch_vccnz .LBB147_81
	s_branch .LBB147_86
.LBB147_80:
	s_mov_b64 s[18:19], 0
                                        ; implicit-def: $sgpr16_sgpr17
                                        ; implicit-def: $vgpr2_vgpr3_vgpr4_vgpr5_vgpr6_vgpr7_vgpr8_vgpr9
                                        ; implicit-def: $vgpr10_vgpr11_vgpr12_vgpr13_vgpr14_vgpr15_vgpr16_vgpr17
                                        ; implicit-def: $vgpr18_vgpr19_vgpr20_vgpr21_vgpr22_vgpr23_vgpr24_vgpr25
                                        ; implicit-def: $vgpr34
                                        ; implicit-def: $vgpr40_vgpr41
	s_and_b64 vcc, exec, s[12:13]
	v_lshlrev_b32_e32 v52, 2, v0
	s_cbranch_vccz .LBB147_86
.LBB147_81:
	v_add_co_u32_e32 v2, vcc, v42, v52
	v_addc_co_u32_e32 v3, vcc, 0, v43, vcc
	v_add_co_u32_e32 v4, vcc, 0x1000, v2
	v_addc_co_u32_e32 v5, vcc, 0, v3, vcc
	flat_load_dword v6, v[2:3]
	flat_load_dword v7, v[2:3] offset:1024
	flat_load_dword v8, v[2:3] offset:2048
	;; [unrolled: 1-line block ×3, first 2 shown]
	flat_load_dword v10, v[4:5]
	flat_load_dword v11, v[4:5] offset:1024
	flat_load_dword v12, v[4:5] offset:2048
	;; [unrolled: 1-line block ×3, first 2 shown]
	v_add_co_u32_e32 v4, vcc, 0x2000, v2
	v_addc_co_u32_e32 v5, vcc, 0, v3, vcc
	v_add_co_u32_e32 v2, vcc, 0x3000, v2
	v_addc_co_u32_e32 v3, vcc, 0, v3, vcc
	flat_load_dword v14, v[4:5]
	flat_load_dword v15, v[4:5] offset:1024
	flat_load_dword v16, v[4:5] offset:2048
	;; [unrolled: 1-line block ×3, first 2 shown]
	flat_load_dword v18, v[2:3]
	flat_load_dword v19, v[2:3] offset:1024
	v_add_co_u32_e32 v2, vcc, 0x3000, v42
	v_addc_co_u32_e32 v3, vcc, 0, v43, vcc
	s_movk_i32 s6, 0xffcc
	s_movk_i32 s9, 0x1000
	s_mov_b32 s4, 0
	s_movk_i32 s8, 0x2000
	s_movk_i32 s5, 0x3000
	s_waitcnt vmcnt(0) lgkmcnt(0)
	ds_write2st64_b32 v52, v6, v7 offset1:4
	ds_write2st64_b32 v52, v8, v9 offset0:8 offset1:12
	ds_write2st64_b32 v52, v10, v11 offset0:16 offset1:20
	;; [unrolled: 1-line block ×6, first 2 shown]
	s_waitcnt lgkmcnt(0)
	s_barrier
	flat_load_dword v32, v[2:3] offset:2048
	v_mad_u32_u24 v8, v0, 52, v52
	ds_read_b64 v[2:3], v8
	ds_read2_b64 v[10:13], v8 offset0:1 offset1:2
	ds_read2_b64 v[18:21], v8 offset0:3 offset1:4
	;; [unrolled: 1-line block ×3, first 2 shown]
	v_mad_i32_i24 v4, v0, s6, v8
	s_movk_i32 s6, 0xff
	v_cmp_ne_u32_e32 vcc, s6, v0
	s_waitcnt lgkmcnt(0)
	ds_write_b32 v4, v2 offset:15360
	s_waitcnt lgkmcnt(0)
	s_barrier
	s_and_saveexec_b64 s[6:7], vcc
	s_cbranch_execz .LBB147_83
; %bb.82:
	s_waitcnt vmcnt(0)
	ds_read_b32 v32, v52 offset:15364
.LBB147_83:
	s_or_b64 exec, exec, s[6:7]
	v_add_co_u32_e32 v4, vcc, v1, v52
	v_addc_co_u32_e32 v5, vcc, 0, v46, vcc
	v_add_co_u32_e32 v6, vcc, s9, v4
	v_addc_co_u32_e32 v7, vcc, 0, v5, vcc
	s_waitcnt lgkmcnt(0)
	s_barrier
	flat_load_dword v1, v[4:5]
	flat_load_dword v2, v[4:5] offset:1024
	flat_load_dword v9, v[4:5] offset:2048
	;; [unrolled: 1-line block ×3, first 2 shown]
	flat_load_dword v15, v[6:7]
	flat_load_dword v16, v[6:7] offset:1024
	flat_load_dword v17, v[6:7] offset:2048
	flat_load_dword v22, v[6:7] offset:3072
	v_add_co_u32_e32 v6, vcc, s8, v4
	v_addc_co_u32_e32 v7, vcc, 0, v5, vcc
	v_add_co_u32_e32 v4, vcc, s5, v4
	v_addc_co_u32_e32 v5, vcc, 0, v5, vcc
	flat_load_dword v23, v[6:7]
	flat_load_dword v24, v[6:7] offset:1024
	flat_load_dword v25, v[6:7] offset:2048
	;; [unrolled: 1-line block ×3, first 2 shown]
	flat_load_dword v31, v[4:5]
	flat_load_dword v33, v[4:5] offset:1024
	s_mov_b32 s5, 1
	v_cmp_eq_u32_e32 vcc, 0, v3
	v_pk_mov_b32 v[40:41], s[4:5], s[4:5] op_sel:[0,1]
	s_waitcnt vmcnt(0) lgkmcnt(0)
	ds_write2st64_b32 v52, v1, v2 offset1:4
	ds_write2st64_b32 v52, v9, v14 offset0:8 offset1:12
	ds_write2st64_b32 v52, v15, v16 offset0:16 offset1:20
	;; [unrolled: 1-line block ×6, first 2 shown]
	s_waitcnt lgkmcnt(0)
	s_barrier
	ds_read2_b32 v[24:25], v8 offset0:7 offset1:8
	ds_read2_b32 v[14:15], v8 offset0:5 offset1:6
	;; [unrolled: 1-line block ×4, first 2 shown]
	ds_read_b32 v1, v8 offset:52
	ds_read2_b32 v[22:23], v8 offset0:11 offset1:12
	ds_read2_b32 v[30:31], v8 offset0:9 offset1:10
	v_mov_b32_e32 v2, s54
	s_and_saveexec_b64 s[4:5], vcc
	s_cbranch_execz .LBB147_85
; %bb.84:
	ds_read_b32 v2, v8
	v_pk_mov_b32 v[40:41], 0, 0
.LBB147_85:
	s_or_b64 exec, exec, s[4:5]
	v_mov_b32_e32 v33, s54
	v_cmp_eq_u32_e32 vcc, 0, v10
	s_waitcnt lgkmcnt(3)
	v_cndmask_b32_e32 v8, v33, v6, vcc
	v_cmp_eq_u32_e32 vcc, 0, v11
	v_cndmask_b32_e32 v6, v33, v7, vcc
	v_cmp_eq_u32_e32 vcc, 0, v12
	;; [unrolled: 2-line block ×3, first 2 shown]
	s_waitcnt lgkmcnt(0)
	v_or_b32_e32 v40, v40, v2
	v_cndmask_b32_e32 v2, v33, v5, vcc
	v_cmp_ne_u32_e32 vcc, 0, v10
	v_cndmask_b32_e64 v9, 0, 1, vcc
	v_cmp_ne_u32_e32 vcc, 0, v11
	v_cndmask_b32_e64 v7, 0, 1, vcc
	;; [unrolled: 2-line block ×4, first 2 shown]
	v_cmp_eq_u32_e32 vcc, 0, v18
	v_cndmask_b32_e32 v16, v33, v14, vcc
	v_cmp_eq_u32_e32 vcc, 0, v19
	v_cndmask_b32_e32 v14, v33, v15, vcc
	;; [unrolled: 2-line block ×4, first 2 shown]
	v_cmp_ne_u32_e32 vcc, 0, v18
	v_cndmask_b32_e64 v17, 0, 1, vcc
	v_cmp_ne_u32_e32 vcc, 0, v19
	v_cndmask_b32_e64 v15, 0, 1, vcc
	;; [unrolled: 2-line block ×4, first 2 shown]
	v_cmp_eq_u32_e32 vcc, 0, v29
	v_cndmask_b32_e32 v24, v33, v23, vcc
	v_cmp_eq_u32_e32 vcc, 0, v28
	v_cndmask_b32_e32 v22, v33, v22, vcc
	;; [unrolled: 2-line block ×4, first 2 shown]
	v_cmp_ne_u32_e32 vcc, 0, v29
	v_cndmask_b32_e64 v25, 0, 1, vcc
	v_cmp_ne_u32_e32 vcc, 0, v28
	v_cndmask_b32_e64 v23, 0, 1, vcc
	;; [unrolled: 2-line block ×3, first 2 shown]
	v_cmp_ne_u32_e32 vcc, 0, v26
	v_cmp_ne_u32_e64 s[16:17], 0, v32
	v_cndmask_b32_e64 v19, 0, 1, vcc
	v_cndmask_b32_e64 v34, v1, v33, s[16:17]
	s_mov_b64 s[18:19], -1
                                        ; implicit-def: $sgpr12_sgpr13
.LBB147_86:
	v_pk_mov_b32 v[42:43], s[12:13], s[12:13] op_sel:[0,1]
	s_and_saveexec_b64 s[4:5], s[18:19]
; %bb.87:
	v_cndmask_b32_e64 v35, 0, 1, s[16:17]
	v_pk_mov_b32 v[42:43], v[34:35], v[34:35] op_sel:[0,1]
; %bb.88:
	s_or_b64 exec, exec, s[4:5]
	s_mov_b32 s28, 0
	s_cmp_lg_u32 s47, 0
	v_mbcnt_lo_u32_b32 v54, -1, 0
	v_lshrrev_b32_e32 v1, 6, v0
	v_or_b32_e32 v53, 63, v0
	s_barrier
	s_cbranch_scc0 .LBB147_129
; %bb.89:
	s_mov_b32 s29, 1
	v_cmp_gt_u64_e64 s[4:5], s[28:29], v[8:9]
	v_cndmask_b32_e64 v27, 0, v40, s[4:5]
	v_add_u32_e32 v27, v27, v8
	v_cmp_gt_u64_e64 s[6:7], s[28:29], v[6:7]
	v_cndmask_b32_e64 v27, 0, v27, s[6:7]
	v_add_u32_e32 v27, v27, v6
	;; [unrolled: 3-line block ×12, first 2 shown]
	v_cmp_gt_u64_e32 vcc, s[28:29], v[42:43]
	v_cndmask_b32_e32 v27, 0, v27, vcc
	v_add_u32_e32 v28, v27, v42
	v_or3_b32 v27, v43, v25, v23
	v_or3_b32 v27, v27, v21, v19
	;; [unrolled: 1-line block ×6, first 2 shown]
	v_mov_b32_e32 v26, 0
	v_and_b32_e32 v27, 1, v27
	v_cmp_eq_u64_e32 vcc, 0, v[26:27]
	v_cndmask_b32_e32 v27, 1, v41, vcc
	v_and_b32_e32 v29, 0xff, v27
	v_mov_b32_dpp v31, v28 row_shr:1 row_mask:0xf bank_mask:0xf
	v_cmp_eq_u16_e32 vcc, 0, v29
	v_mov_b32_dpp v32, v29 row_shr:1 row_mask:0xf bank_mask:0xf
	v_and_b32_e32 v33, 1, v27
	v_mbcnt_hi_u32_b32 v48, -1, v54
	v_cndmask_b32_e32 v31, 0, v31, vcc
	v_and_b32_e32 v32, 1, v32
	v_cmp_eq_u32_e32 vcc, 1, v33
	v_and_b32_e32 v30, 15, v48
	v_cndmask_b32_e64 v32, v32, 1, vcc
	v_and_b32_e32 v33, 0xffff, v32
	v_cmp_eq_u32_e32 vcc, 0, v30
	v_cndmask_b32_e32 v27, v32, v27, vcc
	v_cndmask_b32_e32 v29, v33, v29, vcc
	v_and_b32_e32 v33, 1, v27
	v_cndmask_b32_e64 v31, v31, 0, vcc
	v_mov_b32_dpp v32, v29 row_shr:2 row_mask:0xf bank_mask:0xf
	v_and_b32_e32 v32, 1, v32
	v_cmp_eq_u32_e32 vcc, 1, v33
	v_cndmask_b32_e64 v32, v32, 1, vcc
	v_and_b32_e32 v33, 0xffff, v32
	v_cmp_lt_u32_e32 vcc, 1, v30
	v_add_u32_e32 v28, v31, v28
	v_cmp_eq_u16_sdwa s[28:29], v27, v26 src0_sel:BYTE_0 src1_sel:DWORD
	v_cndmask_b32_e32 v27, v27, v32, vcc
	v_cndmask_b32_e32 v29, v29, v33, vcc
	v_mov_b32_dpp v31, v28 row_shr:2 row_mask:0xf bank_mask:0xf
	s_and_b64 vcc, vcc, s[28:29]
	v_mov_b32_dpp v32, v29 row_shr:4 row_mask:0xf bank_mask:0xf
	v_and_b32_e32 v33, 1, v27
	v_cndmask_b32_e32 v31, 0, v31, vcc
	v_and_b32_e32 v32, 1, v32
	v_cmp_eq_u32_e32 vcc, 1, v33
	v_cndmask_b32_e64 v32, v32, 1, vcc
	v_and_b32_e32 v33, 0xffff, v32
	v_cmp_lt_u32_e32 vcc, 3, v30
	v_add_u32_e32 v28, v31, v28
	v_cmp_eq_u16_sdwa s[28:29], v27, v26 src0_sel:BYTE_0 src1_sel:DWORD
	v_cndmask_b32_e32 v27, v27, v32, vcc
	v_cndmask_b32_e32 v29, v29, v33, vcc
	v_mov_b32_dpp v31, v28 row_shr:4 row_mask:0xf bank_mask:0xf
	s_and_b64 vcc, vcc, s[28:29]
	v_mov_b32_dpp v32, v29 row_shr:8 row_mask:0xf bank_mask:0xf
	v_and_b32_e32 v33, 1, v27
	v_cndmask_b32_e32 v31, 0, v31, vcc
	v_and_b32_e32 v32, 1, v32
	v_cmp_eq_u32_e32 vcc, 1, v33
	v_cndmask_b32_e64 v32, v32, 1, vcc
	v_add_u32_e32 v28, v31, v28
	v_cmp_eq_u16_sdwa s[28:29], v27, v26 src0_sel:BYTE_0 src1_sel:DWORD
	v_and_b32_e32 v33, 0xffff, v32
	v_cmp_lt_u32_e32 vcc, 7, v30
	v_mov_b32_dpp v31, v28 row_shr:8 row_mask:0xf bank_mask:0xf
	v_cndmask_b32_e32 v27, v27, v32, vcc
	v_cndmask_b32_e32 v29, v29, v33, vcc
	s_and_b64 vcc, vcc, s[28:29]
	v_cndmask_b32_e32 v30, 0, v31, vcc
	v_add_u32_e32 v28, v30, v28
	v_mov_b32_dpp v31, v29 row_bcast:15 row_mask:0xf bank_mask:0xf
	v_cmp_eq_u16_sdwa vcc, v27, v26 src0_sel:BYTE_0 src1_sel:DWORD
	v_mov_b32_dpp v30, v28 row_bcast:15 row_mask:0xf bank_mask:0xf
	v_and_b32_e32 v34, 1, v27
	v_cndmask_b32_e32 v30, 0, v30, vcc
	v_and_b32_e32 v31, 1, v31
	v_cmp_eq_u32_e32 vcc, 1, v34
	v_and_b32_e32 v33, 16, v48
	v_cndmask_b32_e64 v31, v31, 1, vcc
	v_and_b32_e32 v34, 0xffff, v31
	v_cmp_eq_u32_e32 vcc, 0, v33
	v_cndmask_b32_e32 v27, v31, v27, vcc
	v_cndmask_b32_e32 v29, v34, v29, vcc
	v_bfe_i32 v32, v48, 4, 1
	v_cmp_eq_u16_sdwa s[28:29], v27, v26 src0_sel:BYTE_0 src1_sel:DWORD
	v_mov_b32_dpp v29, v29 row_bcast:31 row_mask:0xf bank_mask:0xf
	v_and_b32_e32 v26, 1, v27
	v_and_b32_e32 v30, v32, v30
	v_and_b32_e32 v29, 1, v29
	v_cmp_eq_u32_e32 vcc, 1, v26
	v_add_u32_e32 v28, v30, v28
	v_cndmask_b32_e64 v26, v29, 1, vcc
	v_cmp_lt_u32_e32 vcc, 31, v48
	v_mov_b32_dpp v30, v28 row_bcast:31 row_mask:0xf bank_mask:0xf
	v_cndmask_b32_e32 v29, v27, v26, vcc
	s_and_b64 vcc, vcc, s[28:29]
	v_cndmask_b32_e32 v26, 0, v30, vcc
	v_add_u32_e32 v28, v26, v28
	v_cmp_eq_u32_e32 vcc, v53, v0
	s_and_saveexec_b64 s[28:29], vcc
	s_cbranch_execz .LBB147_91
; %bb.90:
	v_lshlrev_b32_e32 v26, 3, v1
	ds_write_b32 v26, v28
	ds_write_b8 v26, v29 offset:4
.LBB147_91:
	s_or_b64 exec, exec, s[28:29]
	v_cmp_gt_u32_e32 vcc, 4, v0
	s_waitcnt lgkmcnt(0)
	s_barrier
	s_and_saveexec_b64 s[28:29], vcc
	s_cbranch_execz .LBB147_95
; %bb.92:
	v_lshlrev_b32_e32 v30, 3, v0
	ds_read_b64 v[26:27], v30
	v_and_b32_e32 v31, 3, v48
	v_cmp_ne_u32_e32 vcc, 0, v31
	s_waitcnt lgkmcnt(0)
	v_mov_b32_dpp v32, v26 row_shr:1 row_mask:0xf bank_mask:0xf
	v_mov_b32_dpp v34, v27 row_shr:1 row_mask:0xf bank_mask:0xf
	v_mov_b32_e32 v33, v27
	s_and_saveexec_b64 s[30:31], vcc
	s_cbranch_execz .LBB147_94
; %bb.93:
	v_and_b32_e32 v33, 1, v27
	v_and_b32_e32 v34, 1, v34
	v_cmp_eq_u32_e32 vcc, 1, v33
	v_mov_b32_e32 v33, 0
	v_cndmask_b32_e64 v34, v34, 1, vcc
	v_cmp_eq_u16_sdwa vcc, v27, v33 src0_sel:BYTE_0 src1_sel:DWORD
	v_cndmask_b32_e32 v32, 0, v32, vcc
	v_add_u32_e32 v26, v32, v26
	v_and_b32_e32 v32, 0xffff, v34
	s_movk_i32 s36, 0xff00
	v_and_or_b32 v33, v27, s36, v32
	v_mov_b32_e32 v27, v34
.LBB147_94:
	s_or_b64 exec, exec, s[30:31]
	v_mov_b32_dpp v33, v33 row_shr:2 row_mask:0xf bank_mask:0xf
	v_and_b32_e32 v34, 1, v27
	v_and_b32_e32 v33, 1, v33
	v_cmp_eq_u32_e32 vcc, 1, v34
	v_mov_b32_e32 v34, 0
	v_cndmask_b32_e64 v33, v33, 1, vcc
	v_cmp_eq_u16_sdwa s[30:31], v27, v34 src0_sel:BYTE_0 src1_sel:DWORD
	v_cmp_lt_u32_e32 vcc, 1, v31
	v_mov_b32_dpp v32, v26 row_shr:2 row_mask:0xf bank_mask:0xf
	v_cndmask_b32_e32 v27, v27, v33, vcc
	s_and_b64 vcc, vcc, s[30:31]
	v_cndmask_b32_e32 v31, 0, v32, vcc
	v_add_u32_e32 v26, v31, v26
	ds_write_b32 v30, v26
	ds_write_b8 v30, v27 offset:4
.LBB147_95:
	s_or_b64 exec, exec, s[28:29]
	v_cmp_gt_u32_e32 vcc, 64, v0
	v_cmp_lt_u32_e64 s[28:29], 63, v0
	v_mov_b32_e32 v44, 0
	v_mov_b32_e32 v45, 0
	s_waitcnt lgkmcnt(0)
	s_barrier
	s_and_saveexec_b64 s[30:31], s[28:29]
	s_cbranch_execz .LBB147_97
; %bb.96:
	v_lshl_add_u32 v26, v1, 3, -8
	ds_read_b32 v44, v26
	ds_read_u8 v45, v26 offset:4
	v_mov_b32_e32 v27, 0
	v_and_b32_e32 v30, 1, v29
	v_cmp_eq_u16_sdwa s[28:29], v29, v27 src0_sel:BYTE_0 src1_sel:DWORD
	s_waitcnt lgkmcnt(1)
	v_cndmask_b32_e64 v26, 0, v44, s[28:29]
	v_cmp_eq_u32_e64 s[28:29], 1, v30
	v_add_u32_e32 v28, v26, v28
	s_waitcnt lgkmcnt(0)
	v_cndmask_b32_e64 v29, v45, 1, s[28:29]
.LBB147_97:
	s_or_b64 exec, exec, s[30:31]
	v_and_b32_e32 v26, 0xff, v29
	v_add_u32_e32 v27, -1, v48
	v_and_b32_e32 v29, 64, v48
	v_cmp_lt_i32_e64 s[28:29], v27, v29
	v_cndmask_b32_e64 v27, v27, v48, s[28:29]
	v_lshlrev_b32_e32 v27, 2, v27
	ds_bpermute_b32 v46, v27, v28
	ds_bpermute_b32 v47, v27, v26
	v_cmp_eq_u32_e64 s[28:29], 0, v48
	s_and_saveexec_b64 s[36:37], vcc
	s_cbranch_execz .LBB147_116
; %bb.98:
	v_mov_b32_e32 v29, 0
	ds_read_b64 v[26:27], v29 offset:24
	s_waitcnt lgkmcnt(0)
	v_readfirstlane_b32 s48, v27
	s_and_saveexec_b64 s[30:31], s[28:29]
	s_cbranch_execz .LBB147_100
; %bb.99:
	s_add_i32 s38, s47, 64
	s_mov_b32 s39, 0
	s_lshl_b64 s[40:41], s[38:39], 4
	s_add_u32 s40, s44, s40
	s_addc_u32 s41, s45, s41
	s_and_b32 s57, s48, 0xff000000
	s_mov_b32 s56, s39
	s_and_b32 s59, s48, 0xff0000
	s_mov_b32 s58, s39
	s_or_b64 s[56:57], s[58:59], s[56:57]
	s_and_b32 s59, s48, 0xff00
	s_or_b64 s[56:57], s[56:57], s[58:59]
	s_and_b32 s59, s48, 0xff
	s_or_b64 s[38:39], s[56:57], s[58:59]
	v_mov_b32_e32 v27, s39
	v_mov_b32_e32 v28, 1
	v_pk_mov_b32 v[30:31], s[40:41], s[40:41] op_sel:[0,1]
	;;#ASMSTART
	global_store_dwordx4 v[30:31], v[26:29] off	
s_waitcnt vmcnt(0)
	;;#ASMEND
.LBB147_100:
	s_or_b64 exec, exec, s[30:31]
	v_xad_u32 v34, v48, -1, s47
	v_add_u32_e32 v28, 64, v34
	v_lshlrev_b64 v[30:31], 4, v[28:29]
	v_mov_b32_e32 v27, s45
	v_add_co_u32_e32 v36, vcc, s44, v30
	v_addc_co_u32_e32 v37, vcc, v27, v31, vcc
	;;#ASMSTART
	global_load_dwordx4 v[30:33], v[36:37] off glc	
s_waitcnt vmcnt(0)
	;;#ASMEND
	v_and_b32_e32 v27, 0xff0000, v30
	v_or_b32_sdwa v27, v30, v27 dst_sel:DWORD dst_unused:UNUSED_PAD src0_sel:WORD_0 src1_sel:DWORD
	v_and_b32_e32 v28, 0xff000000, v30
	v_and_b32_e32 v30, 0xff, v31
	v_or3_b32 v31, 0, 0, v30
	v_or3_b32 v30, v27, v28, 0
	v_cmp_eq_u16_sdwa s[38:39], v32, v29 src0_sel:BYTE_0 src1_sel:DWORD
	s_and_saveexec_b64 s[30:31], s[38:39]
	s_cbranch_execz .LBB147_104
; %bb.101:
	s_mov_b64 s[38:39], 0
	v_mov_b32_e32 v27, 0
.LBB147_102:                            ; =>This Inner Loop Header: Depth=1
	;;#ASMSTART
	global_load_dwordx4 v[30:33], v[36:37] off glc	
s_waitcnt vmcnt(0)
	;;#ASMEND
	v_cmp_ne_u16_sdwa s[40:41], v32, v27 src0_sel:BYTE_0 src1_sel:DWORD
	s_or_b64 s[38:39], s[40:41], s[38:39]
	s_andn2_b64 exec, exec, s[38:39]
	s_cbranch_execnz .LBB147_102
; %bb.103:
	s_or_b64 exec, exec, s[38:39]
	v_and_b32_e32 v31, 0xff, v31
.LBB147_104:
	s_or_b64 exec, exec, s[30:31]
	v_mov_b32_e32 v27, 2
	v_cmp_eq_u16_sdwa s[30:31], v32, v27 src0_sel:BYTE_0 src1_sel:DWORD
	v_lshlrev_b64 v[28:29], v48, -1
	v_and_b32_e32 v33, s31, v29
	v_or_b32_e32 v33, 0x80000000, v33
	v_and_b32_e32 v35, s30, v28
	v_ffbl_b32_e32 v33, v33
	v_and_b32_e32 v49, 63, v48
	v_add_u32_e32 v33, 32, v33
	v_ffbl_b32_e32 v35, v35
	v_cmp_ne_u32_e32 vcc, 63, v49
	v_min_u32_e32 v33, v35, v33
	v_addc_co_u32_e32 v35, vcc, 0, v48, vcc
	v_lshlrev_b32_e32 v50, 2, v35
	ds_bpermute_b32 v35, v50, v31
	ds_bpermute_b32 v36, v50, v30
	s_mov_b32 s38, 0
	v_and_b32_e32 v37, 1, v31
	s_mov_b32 s39, 1
	s_waitcnt lgkmcnt(1)
	v_and_b32_e32 v35, 1, v35
	v_cmp_eq_u32_e32 vcc, 1, v37
	v_cndmask_b32_e64 v35, v35, 1, vcc
	v_cmp_gt_u64_e32 vcc, s[38:39], v[30:31]
	v_cmp_lt_u32_e64 s[30:31], v49, v33
	s_and_b64 vcc, s[30:31], vcc
	v_and_b32_e32 v37, 0xffff, v35
	v_cndmask_b32_e64 v56, v31, v35, s[30:31]
	s_waitcnt lgkmcnt(0)
	v_cndmask_b32_e32 v35, 0, v36, vcc
	v_cmp_gt_u32_e32 vcc, 62, v49
	v_cndmask_b32_e64 v36, 0, 1, vcc
	v_lshlrev_b32_e32 v36, 1, v36
	v_cndmask_b32_e64 v31, v31, v37, s[30:31]
	v_add_lshl_u32 v51, v36, v48, 2
	ds_bpermute_b32 v36, v51, v31
	v_add_u32_e32 v30, v35, v30
	ds_bpermute_b32 v37, v51, v30
	v_and_b32_e32 v35, 1, v56
	v_cmp_eq_u32_e32 vcc, 1, v35
	s_waitcnt lgkmcnt(1)
	v_and_b32_e32 v36, 1, v36
	v_mov_b32_e32 v35, 0
	v_add_u32_e32 v55, 2, v49
	v_cndmask_b32_e64 v36, v36, 1, vcc
	v_cmp_eq_u16_sdwa vcc, v56, v35 src0_sel:BYTE_0 src1_sel:DWORD
	v_and_b32_e32 v57, 0xffff, v36
	s_waitcnt lgkmcnt(0)
	v_cndmask_b32_e32 v37, 0, v37, vcc
	v_cmp_gt_u32_e32 vcc, v55, v33
	v_cndmask_b32_e32 v36, v36, v56, vcc
	v_cndmask_b32_e64 v37, v37, 0, vcc
	v_cndmask_b32_e32 v31, v57, v31, vcc
	v_cmp_gt_u32_e32 vcc, 60, v49
	v_cndmask_b32_e64 v56, 0, 1, vcc
	v_lshlrev_b32_e32 v56, 2, v56
	v_add_lshl_u32 v56, v56, v48, 2
	ds_bpermute_b32 v58, v56, v31
	v_add_u32_e32 v30, v37, v30
	ds_bpermute_b32 v37, v56, v30
	v_and_b32_e32 v59, 1, v36
	v_cmp_eq_u32_e32 vcc, 1, v59
	s_waitcnt lgkmcnt(1)
	v_and_b32_e32 v58, 1, v58
	v_add_u32_e32 v57, 4, v49
	v_cndmask_b32_e64 v58, v58, 1, vcc
	v_cmp_eq_u16_sdwa vcc, v36, v35 src0_sel:BYTE_0 src1_sel:DWORD
	v_and_b32_e32 v59, 0xffff, v58
	s_waitcnt lgkmcnt(0)
	v_cndmask_b32_e32 v37, 0, v37, vcc
	v_cmp_gt_u32_e32 vcc, v57, v33
	v_cndmask_b32_e32 v36, v58, v36, vcc
	v_cndmask_b32_e64 v37, v37, 0, vcc
	v_cndmask_b32_e32 v31, v59, v31, vcc
	v_cmp_gt_u32_e32 vcc, 56, v49
	v_cndmask_b32_e64 v58, 0, 1, vcc
	v_lshlrev_b32_e32 v58, 3, v58
	v_add_lshl_u32 v58, v58, v48, 2
	ds_bpermute_b32 v60, v58, v31
	v_add_u32_e32 v30, v37, v30
	ds_bpermute_b32 v37, v58, v30
	v_and_b32_e32 v61, 1, v36
	v_cmp_eq_u32_e32 vcc, 1, v61
	s_waitcnt lgkmcnt(1)
	v_and_b32_e32 v60, 1, v60
	;; [unrolled: 21-line block ×4, first 2 shown]
	v_add_u32_e32 v64, 32, v49
	v_cndmask_b32_e64 v31, v31, 1, vcc
	v_cmp_eq_u16_sdwa vcc, v36, v35 src0_sel:BYTE_0 src1_sel:DWORD
	s_waitcnt lgkmcnt(0)
	v_cndmask_b32_e32 v37, 0, v37, vcc
	v_cmp_gt_u32_e32 vcc, v64, v33
	v_cndmask_b32_e64 v33, v37, 0, vcc
	v_cndmask_b32_e32 v31, v31, v36, vcc
	v_add_u32_e32 v30, v33, v30
	s_branch .LBB147_106
.LBB147_105:                            ;   in Loop: Header=BB147_106 Depth=1
	s_or_b64 exec, exec, s[30:31]
	v_cmp_eq_u16_sdwa s[30:31], v32, v27 src0_sel:BYTE_0 src1_sel:DWORD
	v_and_b32_e32 v33, s31, v29
	ds_bpermute_b32 v37, v50, v31
	v_or_b32_e32 v33, 0x80000000, v33
	v_and_b32_e32 v36, s30, v28
	v_ffbl_b32_e32 v33, v33
	v_add_u32_e32 v33, 32, v33
	v_ffbl_b32_e32 v36, v36
	v_min_u32_e32 v33, v36, v33
	ds_bpermute_b32 v36, v50, v30
	v_and_b32_e32 v65, 1, v31
	s_waitcnt lgkmcnt(1)
	v_and_b32_e32 v37, 1, v37
	v_cmp_eq_u32_e32 vcc, 1, v65
	v_cndmask_b32_e64 v37, v37, 1, vcc
	v_cmp_gt_u64_e32 vcc, s[38:39], v[30:31]
	v_and_b32_e32 v65, 0xffff, v37
	v_cmp_lt_u32_e64 s[30:31], v49, v33
	v_cndmask_b32_e64 v37, v31, v37, s[30:31]
	v_cndmask_b32_e64 v31, v31, v65, s[30:31]
	s_and_b64 vcc, s[30:31], vcc
	ds_bpermute_b32 v65, v51, v31
	s_waitcnt lgkmcnt(1)
	v_cndmask_b32_e32 v36, 0, v36, vcc
	v_add_u32_e32 v30, v36, v30
	ds_bpermute_b32 v36, v51, v30
	v_and_b32_e32 v66, 1, v37
	s_waitcnt lgkmcnt(1)
	v_and_b32_e32 v65, 1, v65
	v_cmp_eq_u32_e32 vcc, 1, v66
	v_cndmask_b32_e64 v65, v65, 1, vcc
	v_cmp_eq_u16_sdwa vcc, v37, v35 src0_sel:BYTE_0 src1_sel:DWORD
	v_and_b32_e32 v66, 0xffff, v65
	s_waitcnt lgkmcnt(0)
	v_cndmask_b32_e32 v36, 0, v36, vcc
	v_cmp_gt_u32_e32 vcc, v55, v33
	v_cndmask_b32_e32 v31, v66, v31, vcc
	v_cndmask_b32_e32 v37, v65, v37, vcc
	ds_bpermute_b32 v65, v56, v31
	v_cndmask_b32_e64 v36, v36, 0, vcc
	v_add_u32_e32 v30, v36, v30
	ds_bpermute_b32 v36, v56, v30
	v_and_b32_e32 v66, 1, v37
	s_waitcnt lgkmcnt(1)
	v_and_b32_e32 v65, 1, v65
	v_cmp_eq_u32_e32 vcc, 1, v66
	v_cndmask_b32_e64 v65, v65, 1, vcc
	v_cmp_eq_u16_sdwa vcc, v37, v35 src0_sel:BYTE_0 src1_sel:DWORD
	v_and_b32_e32 v66, 0xffff, v65
	s_waitcnt lgkmcnt(0)
	v_cndmask_b32_e32 v36, 0, v36, vcc
	v_cmp_gt_u32_e32 vcc, v57, v33
	v_cndmask_b32_e32 v31, v66, v31, vcc
	v_cndmask_b32_e32 v37, v65, v37, vcc
	ds_bpermute_b32 v65, v58, v31
	v_cndmask_b32_e64 v36, v36, 0, vcc
	;; [unrolled: 16-line block ×3, first 2 shown]
	v_add_u32_e32 v30, v36, v30
	ds_bpermute_b32 v36, v60, v30
	v_and_b32_e32 v66, 1, v37
	s_waitcnt lgkmcnt(1)
	v_and_b32_e32 v65, 1, v65
	v_cmp_eq_u32_e32 vcc, 1, v66
	v_cndmask_b32_e64 v65, v65, 1, vcc
	v_cmp_eq_u16_sdwa vcc, v37, v35 src0_sel:BYTE_0 src1_sel:DWORD
	v_and_b32_e32 v66, 0xffff, v65
	s_waitcnt lgkmcnt(0)
	v_cndmask_b32_e32 v36, 0, v36, vcc
	v_cmp_gt_u32_e32 vcc, v61, v33
	v_cndmask_b32_e64 v36, v36, 0, vcc
	v_cndmask_b32_e32 v31, v66, v31, vcc
	ds_bpermute_b32 v31, v63, v31
	v_add_u32_e32 v30, v36, v30
	ds_bpermute_b32 v36, v63, v30
	v_cndmask_b32_e32 v37, v65, v37, vcc
	v_and_b32_e32 v65, 1, v37
	v_cmp_eq_u32_e32 vcc, 1, v65
	s_waitcnt lgkmcnt(1)
	v_cndmask_b32_e64 v31, v31, 1, vcc
	v_cmp_eq_u16_sdwa vcc, v37, v35 src0_sel:BYTE_0 src1_sel:DWORD
	s_waitcnt lgkmcnt(0)
	v_cndmask_b32_e32 v36, 0, v36, vcc
	v_cmp_gt_u32_e32 vcc, v64, v33
	v_cndmask_b32_e64 v33, v36, 0, vcc
	v_cndmask_b32_e32 v31, v31, v37, vcc
	v_add_u32_e32 v30, v33, v30
	v_cmp_eq_u16_sdwa vcc, v48, v35 src0_sel:BYTE_0 src1_sel:DWORD
	v_and_b32_e32 v33, 1, v48
	v_cndmask_b32_e32 v30, 0, v30, vcc
	v_and_b32_e32 v31, 1, v31
	v_cmp_eq_u32_e32 vcc, 1, v33
	v_subrev_u32_e32 v34, 64, v34
	v_add_u32_e32 v30, v30, v62
	v_cndmask_b32_e64 v31, v31, 1, vcc
.LBB147_106:                            ; =>This Loop Header: Depth=1
                                        ;     Child Loop BB147_109 Depth 2
	v_cmp_ne_u16_sdwa s[30:31], v32, v27 src0_sel:BYTE_0 src1_sel:DWORD
	v_mov_b32_e32 v48, v31
	v_cndmask_b32_e64 v31, 0, 1, s[30:31]
	;;#ASMSTART
	;;#ASMEND
	v_cmp_ne_u32_e32 vcc, 0, v31
	s_cmp_lg_u64 vcc, exec
	v_mov_b32_e32 v62, v30
	s_cbranch_scc1 .LBB147_111
; %bb.107:                              ;   in Loop: Header=BB147_106 Depth=1
	v_lshlrev_b64 v[30:31], 4, v[34:35]
	v_mov_b32_e32 v32, s45
	v_add_co_u32_e32 v36, vcc, s44, v30
	v_addc_co_u32_e32 v37, vcc, v32, v31, vcc
	;;#ASMSTART
	global_load_dwordx4 v[30:33], v[36:37] off glc	
s_waitcnt vmcnt(0)
	;;#ASMEND
	v_and_b32_e32 v33, 0xff0000, v30
	v_or_b32_sdwa v33, v30, v33 dst_sel:DWORD dst_unused:UNUSED_PAD src0_sel:WORD_0 src1_sel:DWORD
	v_and_b32_e32 v30, 0xff000000, v30
	v_and_b32_e32 v31, 0xff, v31
	v_or3_b32 v31, 0, 0, v31
	v_or3_b32 v30, v33, v30, 0
	v_cmp_eq_u16_sdwa s[40:41], v32, v35 src0_sel:BYTE_0 src1_sel:DWORD
	s_and_saveexec_b64 s[30:31], s[40:41]
	s_cbranch_execz .LBB147_105
; %bb.108:                              ;   in Loop: Header=BB147_106 Depth=1
	s_mov_b64 s[40:41], 0
.LBB147_109:                            ;   Parent Loop BB147_106 Depth=1
                                        ; =>  This Inner Loop Header: Depth=2
	;;#ASMSTART
	global_load_dwordx4 v[30:33], v[36:37] off glc	
s_waitcnt vmcnt(0)
	;;#ASMEND
	v_cmp_ne_u16_sdwa s[56:57], v32, v35 src0_sel:BYTE_0 src1_sel:DWORD
	s_or_b64 s[40:41], s[56:57], s[40:41]
	s_andn2_b64 exec, exec, s[40:41]
	s_cbranch_execnz .LBB147_109
; %bb.110:                              ;   in Loop: Header=BB147_106 Depth=1
	s_or_b64 exec, exec, s[40:41]
	v_and_b32_e32 v31, 0xff, v31
	s_branch .LBB147_105
.LBB147_111:                            ;   in Loop: Header=BB147_106 Depth=1
                                        ; implicit-def: $vgpr31
                                        ; implicit-def: $vgpr30
                                        ; implicit-def: $vgpr32
	s_cbranch_execz .LBB147_106
; %bb.112:
	s_and_saveexec_b64 s[30:31], s[28:29]
	s_cbranch_execz .LBB147_114
; %bb.113:
	s_and_b32 s38, s48, 0xff
	s_cmp_eq_u32 s38, 0
	s_cselect_b64 vcc, -1, 0
	s_bitcmp1_b32 s48, 0
	s_mov_b32 s39, 0
	s_cselect_b64 s[40:41], -1, 0
	s_add_i32 s38, s47, 64
	s_lshl_b64 s[38:39], s[38:39], 4
	v_cndmask_b32_e32 v27, 0, v62, vcc
	s_add_u32 s38, s44, s38
	v_add_u32_e32 v26, v27, v26
	v_and_b32_e32 v27, 1, v48
	s_addc_u32 s39, s45, s39
	v_mov_b32_e32 v29, 0
	v_cndmask_b32_e64 v27, v27, 1, s[40:41]
	v_mov_b32_e32 v28, 2
	v_pk_mov_b32 v[30:31], s[38:39], s[38:39] op_sel:[0,1]
	;;#ASMSTART
	global_store_dwordx4 v[30:31], v[26:29] off	
s_waitcnt vmcnt(0)
	;;#ASMEND
.LBB147_114:
	s_or_b64 exec, exec, s[30:31]
	s_and_b64 exec, exec, s[0:1]
	s_cbranch_execz .LBB147_116
; %bb.115:
	v_mov_b32_e32 v26, 0
	ds_write_b32 v26, v62 offset:24
	ds_write_b8 v26, v48 offset:28
.LBB147_116:
	s_or_b64 exec, exec, s[36:37]
	v_mov_b32_e32 v28, 0
	s_waitcnt lgkmcnt(0)
	s_barrier
	ds_read_b32 v26, v28 offset:24
	v_cndmask_b32_e64 v27, v47, v45, s[28:29]
	v_cmp_eq_u16_sdwa vcc, v27, v28 src0_sel:BYTE_0 src1_sel:DWORD
	v_cndmask_b32_e64 v29, v46, v44, s[28:29]
	s_waitcnt lgkmcnt(0)
	v_cndmask_b32_e32 v27, 0, v26, vcc
	v_add_u32_e32 v27, v27, v29
	v_and_b32_e32 v29, 0xff, v41
	v_cndmask_b32_e64 v26, v27, v26, s[0:1]
	v_cmp_eq_u64_e32 vcc, 0, v[28:29]
	v_cndmask_b32_e32 v27, 0, v26, vcc
	v_add_u32_e32 v27, v27, v40
	v_cndmask_b32_e64 v28, 0, v27, s[4:5]
	v_add_u32_e32 v44, v28, v8
	v_cndmask_b32_e64 v28, 0, v44, s[6:7]
	;; [unrolled: 2-line block ×12, first 2 shown]
	v_add_u32_e32 v51, v28, v24
	s_branch .LBB147_143
.LBB147_117:
	s_or_b64 exec, exec, s[30:31]
                                        ; implicit-def: $vgpr14
	s_and_saveexec_b64 s[30:31], s[4:5]
	s_cbranch_execz .LBB147_37
.LBB147_118:
	v_add_co_u32_e32 v14, vcc, v1, v12
	v_addc_co_u32_e32 v15, vcc, 0, v46, vcc
	flat_load_dword v14, v[14:15] offset:1024
	s_or_b64 exec, exec, s[30:31]
                                        ; implicit-def: $vgpr15
	s_and_saveexec_b64 s[4:5], s[6:7]
	s_cbranch_execnz .LBB147_38
.LBB147_119:
	s_or_b64 exec, exec, s[4:5]
                                        ; implicit-def: $vgpr16
	s_and_saveexec_b64 s[4:5], s[8:9]
	s_cbranch_execz .LBB147_39
.LBB147_120:
	v_add_co_u32_e32 v16, vcc, v1, v12
	v_addc_co_u32_e32 v17, vcc, 0, v46, vcc
	flat_load_dword v16, v[16:17] offset:3072
	s_or_b64 exec, exec, s[4:5]
                                        ; implicit-def: $vgpr17
	s_and_saveexec_b64 s[4:5], s[10:11]
	s_cbranch_execnz .LBB147_40
.LBB147_121:
	s_or_b64 exec, exec, s[4:5]
                                        ; implicit-def: $vgpr2
	s_and_saveexec_b64 s[4:5], s[12:13]
	s_cbranch_execz .LBB147_41
.LBB147_122:
	v_add_co_u32_e32 v2, vcc, v1, v3
	v_addc_co_u32_e32 v3, vcc, 0, v46, vcc
	flat_load_dword v2, v[2:3]
	s_or_b64 exec, exec, s[4:5]
                                        ; implicit-def: $vgpr3
	s_and_saveexec_b64 s[4:5], s[14:15]
	s_cbranch_execnz .LBB147_42
.LBB147_123:
	s_or_b64 exec, exec, s[4:5]
                                        ; implicit-def: $vgpr4
	s_and_saveexec_b64 s[4:5], s[16:17]
	s_cbranch_execz .LBB147_43
.LBB147_124:
	v_add_co_u32_e32 v4, vcc, v1, v5
	v_addc_co_u32_e32 v5, vcc, 0, v46, vcc
	flat_load_dword v4, v[4:5]
	s_or_b64 exec, exec, s[4:5]
                                        ; implicit-def: $vgpr5
	s_and_saveexec_b64 s[4:5], s[18:19]
	s_cbranch_execnz .LBB147_44
.LBB147_125:
	s_or_b64 exec, exec, s[4:5]
                                        ; implicit-def: $vgpr6
	s_and_saveexec_b64 s[4:5], s[20:21]
	s_cbranch_execz .LBB147_45
.LBB147_126:
	v_add_co_u32_e32 v6, vcc, v1, v7
	v_addc_co_u32_e32 v7, vcc, 0, v46, vcc
	flat_load_dword v6, v[6:7]
	s_or_b64 exec, exec, s[4:5]
                                        ; implicit-def: $vgpr7
	s_and_saveexec_b64 s[4:5], s[22:23]
	s_cbranch_execnz .LBB147_46
.LBB147_127:
	s_or_b64 exec, exec, s[4:5]
                                        ; implicit-def: $vgpr8
	s_and_saveexec_b64 s[4:5], s[24:25]
	s_cbranch_execz .LBB147_47
.LBB147_128:
	v_add_co_u32_e32 v8, vcc, v1, v9
	v_addc_co_u32_e32 v9, vcc, 0, v46, vcc
	flat_load_dword v8, v[8:9]
	s_or_b64 exec, exec, s[4:5]
                                        ; implicit-def: $vgpr9
	s_and_saveexec_b64 s[4:5], s[26:27]
	s_cbranch_execz .LBB147_49
	s_branch .LBB147_48
.LBB147_129:
                                        ; implicit-def: $vgpr51
                                        ; implicit-def: $vgpr49
                                        ; implicit-def: $vgpr47
                                        ; implicit-def: $vgpr45
                                        ; implicit-def: $vgpr34_vgpr35_vgpr36_vgpr37
                                        ; implicit-def: $vgpr30_vgpr31_vgpr32_vgpr33
                                        ; implicit-def: $vgpr26_vgpr27_vgpr28_vgpr29
	s_cbranch_execz .LBB147_143
; %bb.130:
	s_cmp_lg_u64 s[52:53], 0
	s_cselect_b32 s5, s51, 0
	s_cselect_b32 s4, s50, 0
	s_mov_b32 s26, 0
	s_cmp_eq_u64 s[4:5], 0
	v_mov_b32_e32 v32, s54
	s_cbranch_scc1 .LBB147_132
; %bb.131:
	v_mov_b32_e32 v26, 0
	global_load_dword v32, v26, s[4:5]
.LBB147_132:
	s_mov_b32 s27, 1
	v_cmp_gt_u64_e32 vcc, s[26:27], v[8:9]
	v_cndmask_b32_e32 v27, 0, v40, vcc
	v_add_u32_e32 v27, v27, v8
	v_cmp_gt_u64_e64 s[4:5], s[26:27], v[6:7]
	v_cndmask_b32_e64 v27, 0, v27, s[4:5]
	v_add_u32_e32 v27, v27, v6
	v_cmp_gt_u64_e64 s[6:7], s[26:27], v[4:5]
	v_cndmask_b32_e64 v27, 0, v27, s[6:7]
	;; [unrolled: 3-line block ×11, first 2 shown]
	v_mov_b32_e32 v26, 0
	v_add_u32_e32 v27, v27, v24
	v_cmp_gt_u64_e64 s[26:27], s[26:27], v[42:43]
	v_or3_b32 v7, v23, v15, v7
	v_cndmask_b32_e64 v27, 0, v27, s[26:27]
	v_or3_b32 v9, v25, v17, v9
	v_and_b32_e32 v35, 1, v7
	v_mov_b32_e32 v34, v26
	v_add_u32_e32 v33, v27, v42
	v_and_b32_e32 v27, 1, v43
	v_or3_b32 v3, v19, v11, v3
	v_and_b32_e32 v31, 1, v9
	v_mov_b32_e32 v30, v26
	v_cmp_ne_u64_e64 s[28:29], 0, v[34:35]
	v_cmp_eq_u32_e64 s[26:27], 1, v27
	v_or3_b32 v5, v21, v13, v5
	v_and_b32_e32 v27, 1, v3
	v_cndmask_b32_e64 v3, 0, 1, s[28:29]
	v_cmp_ne_u64_e64 s[28:29], 0, v[30:31]
	v_and_b32_e32 v29, 1, v5
	v_mov_b32_e32 v28, v26
	v_cndmask_b32_e64 v5, 0, 1, s[28:29]
	v_lshlrev_b16_e32 v3, 2, v3
	v_lshlrev_b16_e32 v5, 3, v5
	v_cmp_ne_u64_e64 s[28:29], 0, v[28:29]
	v_or_b32_e32 v3, v5, v3
	v_cndmask_b32_e64 v5, 0, 1, s[28:29]
	v_cmp_ne_u64_e64 s[28:29], 0, v[26:27]
	v_lshlrev_b16_e32 v5, 1, v5
	v_cndmask_b32_e64 v7, 0, 1, s[28:29]
	v_or_b32_e32 v5, v7, v5
	v_and_b32_e32 v5, 3, v5
	v_or_b32_e32 v3, v5, v3
	v_and_b32_e32 v3, 15, v3
	v_cmp_ne_u16_e64 s[28:29], 0, v3
	s_or_b64 s[26:27], s[26:27], s[28:29]
	v_cndmask_b32_e64 v5, v41, 1, s[26:27]
	v_and_b32_e32 v7, 0xff, v5
	v_mov_b32_dpp v11, v33 row_shr:1 row_mask:0xf bank_mask:0xf
	v_cmp_eq_u16_e64 s[26:27], 0, v7
	v_mov_b32_dpp v13, v7 row_shr:1 row_mask:0xf bank_mask:0xf
	v_and_b32_e32 v15, 1, v5
	v_mbcnt_hi_u32_b32 v3, -1, v54
	v_cndmask_b32_e64 v11, 0, v11, s[26:27]
	v_and_b32_e32 v13, 1, v13
	v_cmp_eq_u32_e64 s[26:27], 1, v15
	v_and_b32_e32 v9, 15, v3
	v_cndmask_b32_e64 v13, v13, 1, s[26:27]
	v_and_b32_e32 v15, 0xffff, v13
	v_cmp_eq_u32_e64 s[26:27], 0, v9
	v_cndmask_b32_e64 v5, v13, v5, s[26:27]
	v_cndmask_b32_e64 v7, v15, v7, s[26:27]
	v_and_b32_e32 v17, 1, v5
	v_cndmask_b32_e64 v11, v11, 0, s[26:27]
	v_mov_b32_dpp v15, v7 row_shr:2 row_mask:0xf bank_mask:0xf
	v_and_b32_e32 v15, 1, v15
	v_cmp_eq_u32_e64 s[26:27], 1, v17
	v_cndmask_b32_e64 v15, v15, 1, s[26:27]
	v_and_b32_e32 v17, 0xffff, v15
	v_cmp_lt_u32_e64 s[26:27], 1, v9
	v_add_u32_e32 v11, v11, v33
	v_cmp_eq_u16_sdwa s[28:29], v5, v26 src0_sel:BYTE_0 src1_sel:DWORD
	v_cndmask_b32_e64 v5, v5, v15, s[26:27]
	v_cndmask_b32_e64 v7, v7, v17, s[26:27]
	v_mov_b32_dpp v13, v11 row_shr:2 row_mask:0xf bank_mask:0xf
	s_and_b64 s[26:27], s[26:27], s[28:29]
	v_mov_b32_dpp v15, v7 row_shr:4 row_mask:0xf bank_mask:0xf
	v_and_b32_e32 v17, 1, v5
	v_cndmask_b32_e64 v13, 0, v13, s[26:27]
	v_and_b32_e32 v15, 1, v15
	v_cmp_eq_u32_e64 s[26:27], 1, v17
	v_cndmask_b32_e64 v15, v15, 1, s[26:27]
	v_and_b32_e32 v17, 0xffff, v15
	v_cmp_lt_u32_e64 s[26:27], 3, v9
	v_add_u32_e32 v11, v13, v11
	v_cmp_eq_u16_sdwa s[28:29], v5, v26 src0_sel:BYTE_0 src1_sel:DWORD
	v_cndmask_b32_e64 v5, v5, v15, s[26:27]
	v_cndmask_b32_e64 v7, v7, v17, s[26:27]
	v_mov_b32_dpp v13, v11 row_shr:4 row_mask:0xf bank_mask:0xf
	s_and_b64 s[26:27], s[26:27], s[28:29]
	v_mov_b32_dpp v15, v7 row_shr:8 row_mask:0xf bank_mask:0xf
	v_and_b32_e32 v17, 1, v5
	v_cndmask_b32_e64 v13, 0, v13, s[26:27]
	v_and_b32_e32 v15, 1, v15
	v_cmp_eq_u32_e64 s[26:27], 1, v17
	v_cndmask_b32_e64 v15, v15, 1, s[26:27]
	v_add_u32_e32 v11, v13, v11
	v_cmp_eq_u16_sdwa s[28:29], v5, v26 src0_sel:BYTE_0 src1_sel:DWORD
	v_and_b32_e32 v17, 0xffff, v15
	v_cmp_lt_u32_e64 s[26:27], 7, v9
	v_mov_b32_dpp v13, v11 row_shr:8 row_mask:0xf bank_mask:0xf
	v_cndmask_b32_e64 v5, v5, v15, s[26:27]
	v_cndmask_b32_e64 v7, v7, v17, s[26:27]
	s_and_b64 s[26:27], s[26:27], s[28:29]
	v_cndmask_b32_e64 v9, 0, v13, s[26:27]
	v_add_u32_e32 v9, v9, v11
	v_mov_b32_dpp v13, v7 row_bcast:15 row_mask:0xf bank_mask:0xf
	v_cmp_eq_u16_sdwa s[26:27], v5, v26 src0_sel:BYTE_0 src1_sel:DWORD
	v_mov_b32_dpp v11, v9 row_bcast:15 row_mask:0xf bank_mask:0xf
	v_and_b32_e32 v19, 1, v5
	v_cndmask_b32_e64 v11, 0, v11, s[26:27]
	v_and_b32_e32 v13, 1, v13
	v_cmp_eq_u32_e64 s[26:27], 1, v19
	v_and_b32_e32 v17, 16, v3
	v_cndmask_b32_e64 v13, v13, 1, s[26:27]
	v_and_b32_e32 v19, 0xffff, v13
	v_cmp_eq_u32_e64 s[26:27], 0, v17
	v_cndmask_b32_e64 v5, v13, v5, s[26:27]
	v_cndmask_b32_e64 v7, v19, v7, s[26:27]
	v_bfe_i32 v15, v3, 4, 1
	v_and_b32_e32 v13, 1, v5
	v_mov_b32_dpp v7, v7 row_bcast:31 row_mask:0xf bank_mask:0xf
	v_and_b32_e32 v11, v15, v11
	v_and_b32_e32 v7, 1, v7
	v_cmp_eq_u32_e64 s[26:27], 1, v13
	v_add_u32_e32 v9, v11, v9
	v_cmp_eq_u16_sdwa s[28:29], v5, v26 src0_sel:BYTE_0 src1_sel:DWORD
	v_cndmask_b32_e64 v7, v7, 1, s[26:27]
	v_cmp_lt_u32_e64 s[26:27], 31, v3
	v_mov_b32_dpp v11, v9 row_bcast:31 row_mask:0xf bank_mask:0xf
	v_cndmask_b32_e64 v5, v5, v7, s[26:27]
	s_and_b64 s[26:27], s[26:27], s[28:29]
	v_cndmask_b32_e64 v7, 0, v11, s[26:27]
	v_add_u32_e32 v7, v7, v9
	v_cmp_eq_u32_e64 s[26:27], v53, v0
	s_and_saveexec_b64 s[28:29], s[26:27]
	s_cbranch_execz .LBB147_134
; %bb.133:
	v_lshlrev_b32_e32 v9, 3, v1
	ds_write_b32 v9, v7
	ds_write_b8 v9, v5 offset:4
.LBB147_134:
	s_or_b64 exec, exec, s[28:29]
	v_cmp_gt_u32_e64 s[26:27], 4, v0
	s_waitcnt lgkmcnt(0)
	s_barrier
	s_and_saveexec_b64 s[28:29], s[26:27]
	s_cbranch_execz .LBB147_138
; %bb.135:
	v_lshlrev_b32_e32 v9, 3, v0
	ds_read_b64 v[26:27], v9
	v_and_b32_e32 v11, 3, v3
	v_cmp_ne_u32_e64 s[26:27], 0, v11
	s_waitcnt lgkmcnt(0)
	v_mov_b32_dpp v13, v26 row_shr:1 row_mask:0xf bank_mask:0xf
	v_mov_b32_dpp v17, v27 row_shr:1 row_mask:0xf bank_mask:0xf
	v_mov_b32_e32 v15, v27
	s_and_saveexec_b64 s[30:31], s[26:27]
	s_cbranch_execz .LBB147_137
; %bb.136:
	v_and_b32_e32 v15, 1, v27
	v_and_b32_e32 v17, 1, v17
	v_cmp_eq_u32_e64 s[26:27], 1, v15
	v_mov_b32_e32 v15, 0
	v_cndmask_b32_e64 v17, v17, 1, s[26:27]
	v_cmp_eq_u16_sdwa s[26:27], v27, v15 src0_sel:BYTE_0 src1_sel:DWORD
	v_cndmask_b32_e64 v13, 0, v13, s[26:27]
	v_add_u32_e32 v26, v13, v26
	v_and_b32_e32 v13, 0xffff, v17
	s_movk_i32 s26, 0xff00
	v_and_or_b32 v15, v27, s26, v13
	v_mov_b32_e32 v27, v17
.LBB147_137:
	s_or_b64 exec, exec, s[30:31]
	v_mov_b32_dpp v15, v15 row_shr:2 row_mask:0xf bank_mask:0xf
	v_and_b32_e32 v17, 1, v27
	v_and_b32_e32 v15, 1, v15
	v_cmp_eq_u32_e64 s[26:27], 1, v17
	v_mov_b32_e32 v17, 0
	v_cndmask_b32_e64 v15, v15, 1, s[26:27]
	v_cmp_eq_u16_sdwa s[30:31], v27, v17 src0_sel:BYTE_0 src1_sel:DWORD
	v_cmp_lt_u32_e64 s[26:27], 1, v11
	v_mov_b32_dpp v13, v26 row_shr:2 row_mask:0xf bank_mask:0xf
	v_cndmask_b32_e64 v11, v27, v15, s[26:27]
	s_and_b64 s[26:27], s[26:27], s[30:31]
	v_cndmask_b32_e64 v13, 0, v13, s[26:27]
	v_add_u32_e32 v13, v13, v26
	ds_write_b32 v9, v13
	ds_write_b8 v9, v11 offset:4
.LBB147_138:
	s_or_b64 exec, exec, s[28:29]
	v_cmp_lt_u32_e64 s[26:27], 63, v0
	s_waitcnt vmcnt(0)
	v_mov_b32_e32 v9, v32
	s_waitcnt lgkmcnt(0)
	s_barrier
	s_and_saveexec_b64 s[28:29], s[26:27]
	s_cbranch_execz .LBB147_140
; %bb.139:
	v_lshl_add_u32 v1, v1, 3, -8
	ds_read_u8 v9, v1 offset:4
	ds_read_b32 v1, v1
	s_waitcnt lgkmcnt(1)
	v_cmp_eq_u16_e64 s[26:27], 0, v9
	v_cndmask_b32_e64 v9, 0, v32, s[26:27]
	s_waitcnt lgkmcnt(0)
	v_add_u32_e32 v9, v9, v1
.LBB147_140:
	s_or_b64 exec, exec, s[28:29]
	v_mov_b32_e32 v28, 0
	v_cmp_eq_u16_sdwa s[26:27], v5, v28 src0_sel:BYTE_0 src1_sel:DWORD
	v_cndmask_b32_e64 v1, 0, v9, s[26:27]
	v_add_u32_e32 v1, v1, v7
	v_add_u32_e32 v5, -1, v3
	v_and_b32_e32 v7, 64, v3
	v_cmp_lt_i32_e64 s[26:27], v5, v7
	v_cndmask_b32_e64 v5, v5, v3, s[26:27]
	v_lshlrev_b32_e32 v5, 2, v5
	ds_bpermute_b32 v1, v5, v1
	v_cmp_eq_u32_e64 s[26:27], 0, v3
	v_and_b32_e32 v29, 0xff, v41
	s_waitcnt lgkmcnt(0)
	v_cndmask_b32_e64 v26, v1, v9, s[26:27]
	v_cndmask_b32_e64 v1, v26, v32, s[0:1]
	v_cmp_eq_u64_e64 s[26:27], 0, v[28:29]
	v_cndmask_b32_e64 v1, 0, v1, s[26:27]
	v_add_u32_e32 v27, v1, v40
	v_cndmask_b32_e32 v1, 0, v27, vcc
	v_add_u32_e32 v44, v1, v8
	v_cndmask_b32_e64 v1, 0, v44, s[4:5]
	v_add_u32_e32 v45, v1, v6
	v_cndmask_b32_e64 v1, 0, v45, s[6:7]
	;; [unrolled: 2-line block ×11, first 2 shown]
	s_and_saveexec_b64 s[4:5], s[0:1]
	s_cbranch_execz .LBB147_142
; %bb.141:
	ds_read_u8 v3, v28 offset:28
	ds_read_b32 v2, v28 offset:24
	s_add_u32 s0, s44, 0x400
	s_addc_u32 s1, s45, 0
	v_mov_b32_e32 v5, v28
	s_waitcnt lgkmcnt(1)
	v_cmp_eq_u16_e32 vcc, 0, v3
	v_cndmask_b32_e32 v4, 0, v32, vcc
	s_waitcnt lgkmcnt(0)
	v_add_u32_e32 v2, v4, v2
	v_and_b32_e32 v3, 0xffff, v3
	v_mov_b32_e32 v4, 2
	v_pk_mov_b32 v[6:7], s[0:1], s[0:1] op_sel:[0,1]
	;;#ASMSTART
	global_store_dwordx4 v[6:7], v[2:5] off	
s_waitcnt vmcnt(0)
	;;#ASMEND
	v_mov_b32_e32 v26, v32
.LBB147_142:
	s_or_b64 exec, exec, s[4:5]
	v_add_u32_e32 v51, v1, v24
.LBB147_143:
	s_add_u32 s0, s42, s34
	s_addc_u32 s1, s43, s35
	v_mov_b32_e32 v1, s1
	v_add_co_u32_e32 v18, vcc, s0, v38
	v_addc_co_u32_e32 v19, vcc, v1, v39, vcc
	v_mul_u32_u24_e32 v1, 14, v0
	s_and_b64 vcc, exec, s[2:3]
	v_lshlrev_b32_e32 v2, 2, v1
	s_cbranch_vccz .LBB147_171
; %bb.144:
	s_movk_i32 s0, 0xffcc
	v_mad_i32_i24 v3, v0, s0, v2
	s_barrier
	ds_write2_b64 v2, v[26:27], v[44:45] offset1:1
	ds_write2_b64 v2, v[30:31], v[46:47] offset0:2 offset1:3
	ds_write2_b64 v2, v[34:35], v[48:49] offset0:4 offset1:5
	ds_write_b64 v2, v[50:51] offset:48
	s_waitcnt lgkmcnt(0)
	s_barrier
	ds_read2st64_b32 v[16:17], v3 offset0:4 offset1:8
	ds_read2st64_b32 v[14:15], v3 offset0:12 offset1:16
	;; [unrolled: 1-line block ×6, first 2 shown]
	ds_read_b32 v3, v3 offset:13312
	v_add_co_u32_e32 v6, vcc, v18, v52
	s_add_i32 s33, s33, s46
	v_addc_co_u32_e32 v7, vcc, 0, v19, vcc
	v_mov_b32_e32 v1, 0
	v_cmp_gt_u32_e32 vcc, s33, v0
	s_and_saveexec_b64 s[0:1], vcc
	s_cbranch_execz .LBB147_146
; %bb.145:
	v_mul_i32_i24_e32 v20, 0xffffffcc, v0
	v_add_u32_e32 v20, v2, v20
	ds_read_b32 v20, v20
	s_waitcnt lgkmcnt(0)
	flat_store_dword v[6:7], v20
.LBB147_146:
	s_or_b64 exec, exec, s[0:1]
	v_or_b32_e32 v20, 0x100, v0
	v_cmp_gt_u32_e32 vcc, s33, v20
	s_and_saveexec_b64 s[0:1], vcc
	s_cbranch_execz .LBB147_148
; %bb.147:
	s_waitcnt lgkmcnt(0)
	flat_store_dword v[6:7], v16 offset:1024
.LBB147_148:
	s_or_b64 exec, exec, s[0:1]
	s_waitcnt lgkmcnt(0)
	v_or_b32_e32 v16, 0x200, v0
	v_cmp_gt_u32_e32 vcc, s33, v16
	s_and_saveexec_b64 s[0:1], vcc
	s_cbranch_execz .LBB147_150
; %bb.149:
	flat_store_dword v[6:7], v17 offset:2048
.LBB147_150:
	s_or_b64 exec, exec, s[0:1]
	v_or_b32_e32 v16, 0x300, v0
	v_cmp_gt_u32_e32 vcc, s33, v16
	s_and_saveexec_b64 s[0:1], vcc
	s_cbranch_execz .LBB147_152
; %bb.151:
	flat_store_dword v[6:7], v14 offset:3072
.LBB147_152:
	s_or_b64 exec, exec, s[0:1]
	v_or_b32_e32 v14, 0x400, v0
	v_cmp_gt_u32_e32 vcc, s33, v14
	s_and_saveexec_b64 s[0:1], vcc
	s_cbranch_execz .LBB147_154
; %bb.153:
	v_add_co_u32_e32 v16, vcc, 0x1000, v6
	v_addc_co_u32_e32 v17, vcc, 0, v7, vcc
	flat_store_dword v[16:17], v15
.LBB147_154:
	s_or_b64 exec, exec, s[0:1]
	v_or_b32_e32 v14, 0x500, v0
	v_cmp_gt_u32_e32 vcc, s33, v14
	s_and_saveexec_b64 s[0:1], vcc
	s_cbranch_execz .LBB147_156
; %bb.155:
	v_add_co_u32_e32 v14, vcc, 0x1000, v6
	v_addc_co_u32_e32 v15, vcc, 0, v7, vcc
	flat_store_dword v[14:15], v12 offset:1024
.LBB147_156:
	s_or_b64 exec, exec, s[0:1]
	v_or_b32_e32 v12, 0x600, v0
	v_cmp_gt_u32_e32 vcc, s33, v12
	s_and_saveexec_b64 s[0:1], vcc
	s_cbranch_execz .LBB147_158
; %bb.157:
	v_add_co_u32_e32 v14, vcc, 0x1000, v6
	v_addc_co_u32_e32 v15, vcc, 0, v7, vcc
	flat_store_dword v[14:15], v13 offset:2048
.LBB147_158:
	;; [unrolled: 10-line block ×3, first 2 shown]
	s_or_b64 exec, exec, s[0:1]
	v_or_b32_e32 v10, 0x800, v0
	v_cmp_gt_u32_e32 vcc, s33, v10
	s_and_saveexec_b64 s[0:1], vcc
	s_cbranch_execz .LBB147_162
; %bb.161:
	v_add_co_u32_e32 v12, vcc, 0x2000, v6
	v_addc_co_u32_e32 v13, vcc, 0, v7, vcc
	flat_store_dword v[12:13], v11
.LBB147_162:
	s_or_b64 exec, exec, s[0:1]
	v_or_b32_e32 v10, 0x900, v0
	v_cmp_gt_u32_e32 vcc, s33, v10
	s_and_saveexec_b64 s[0:1], vcc
	s_cbranch_execz .LBB147_164
; %bb.163:
	v_add_co_u32_e32 v10, vcc, 0x2000, v6
	v_addc_co_u32_e32 v11, vcc, 0, v7, vcc
	flat_store_dword v[10:11], v8 offset:1024
.LBB147_164:
	s_or_b64 exec, exec, s[0:1]
	v_or_b32_e32 v8, 0xa00, v0
	v_cmp_gt_u32_e32 vcc, s33, v8
	s_and_saveexec_b64 s[0:1], vcc
	s_cbranch_execz .LBB147_166
; %bb.165:
	v_add_co_u32_e32 v10, vcc, 0x2000, v6
	v_addc_co_u32_e32 v11, vcc, 0, v7, vcc
	flat_store_dword v[10:11], v9 offset:2048
.LBB147_166:
	s_or_b64 exec, exec, s[0:1]
	v_or_b32_e32 v8, 0xb00, v0
	v_cmp_gt_u32_e32 vcc, s33, v8
	s_and_saveexec_b64 s[0:1], vcc
	s_cbranch_execz .LBB147_168
; %bb.167:
	v_add_co_u32_e32 v8, vcc, 0x2000, v6
	v_addc_co_u32_e32 v9, vcc, 0, v7, vcc
	flat_store_dword v[8:9], v4 offset:3072
.LBB147_168:
	s_or_b64 exec, exec, s[0:1]
	v_or_b32_e32 v4, 0xc00, v0
	v_cmp_gt_u32_e32 vcc, s33, v4
	s_and_saveexec_b64 s[0:1], vcc
	s_cbranch_execz .LBB147_170
; %bb.169:
	v_add_co_u32_e32 v6, vcc, 0x3000, v6
	v_addc_co_u32_e32 v7, vcc, 0, v7, vcc
	flat_store_dword v[6:7], v5
.LBB147_170:
	s_or_b64 exec, exec, s[0:1]
	v_or_b32_e32 v4, 0xd00, v0
	v_cmp_gt_u32_e64 s[0:1], s33, v4
	s_branch .LBB147_173
.LBB147_171:
	s_mov_b64 s[0:1], 0
                                        ; implicit-def: $vgpr3
	s_cbranch_execz .LBB147_173
; %bb.172:
	s_movk_i32 s2, 0xffcc
	s_waitcnt lgkmcnt(0)
	s_barrier
	ds_write2_b64 v2, v[26:27], v[44:45] offset1:1
	ds_write2_b64 v2, v[30:31], v[46:47] offset0:2 offset1:3
	ds_write2_b64 v2, v[34:35], v[48:49] offset0:4 offset1:5
	ds_write_b64 v2, v[50:51] offset:48
	v_mad_i32_i24 v2, v0, s2, v2
	v_add_co_u32_e32 v16, vcc, v18, v52
	s_waitcnt lgkmcnt(0)
	s_barrier
	ds_read2st64_b32 v[4:5], v2 offset1:4
	ds_read2st64_b32 v[6:7], v2 offset0:8 offset1:12
	ds_read2st64_b32 v[8:9], v2 offset0:16 offset1:20
	ds_read2st64_b32 v[10:11], v2 offset0:24 offset1:28
	ds_read2st64_b32 v[12:13], v2 offset0:32 offset1:36
	ds_read2st64_b32 v[14:15], v2 offset0:40 offset1:44
	ds_read2st64_b32 v[2:3], v2 offset0:48 offset1:52
	v_addc_co_u32_e32 v17, vcc, 0, v19, vcc
	s_movk_i32 s2, 0x1000
	s_waitcnt lgkmcnt(0)
	flat_store_dword v[16:17], v4
	flat_store_dword v[16:17], v5 offset:1024
	flat_store_dword v[16:17], v6 offset:2048
	;; [unrolled: 1-line block ×3, first 2 shown]
	v_add_co_u32_e32 v4, vcc, s2, v16
	v_addc_co_u32_e32 v5, vcc, 0, v17, vcc
	flat_store_dword v[4:5], v8
	flat_store_dword v[4:5], v9 offset:1024
	flat_store_dword v[4:5], v10 offset:2048
	;; [unrolled: 1-line block ×3, first 2 shown]
	v_add_co_u32_e32 v4, vcc, 0x2000, v16
	v_addc_co_u32_e32 v5, vcc, 0, v17, vcc
	flat_store_dword v[4:5], v12
	flat_store_dword v[4:5], v13 offset:1024
	flat_store_dword v[4:5], v14 offset:2048
	;; [unrolled: 1-line block ×3, first 2 shown]
	v_add_co_u32_e32 v4, vcc, 0x3000, v16
	v_mov_b32_e32 v1, 0
	v_addc_co_u32_e32 v5, vcc, 0, v17, vcc
	s_or_b64 s[0:1], s[0:1], exec
	flat_store_dword v[4:5], v2
.LBB147_173:
	s_and_saveexec_b64 s[2:3], s[0:1]
	s_cbranch_execz .LBB147_175
; %bb.174:
	v_lshlrev_b64 v[0:1], 2, v[0:1]
	v_add_co_u32_e32 v0, vcc, v18, v0
	v_addc_co_u32_e32 v1, vcc, v19, v1, vcc
	v_add_co_u32_e32 v0, vcc, 0x3000, v0
	v_addc_co_u32_e32 v1, vcc, 0, v1, vcc
	flat_store_dword v[0:1], v3 offset:1024
	s_endpgm
.LBB147_175:
	s_endpgm
	.section	.rodata,"a",@progbits
	.p2align	6, 0x0
	.amdhsa_kernel _ZN7rocprim17ROCPRIM_400000_NS6detail17trampoline_kernelINS0_14default_configENS1_27scan_by_key_config_selectorIiiEEZZNS1_16scan_by_key_implILNS1_25lookback_scan_determinismE0ELb1ES3_N6thrust23THRUST_200600_302600_NS6detail15normal_iteratorINS9_10device_ptrIiEEEESE_SE_iNS9_4plusIvEE19head_flag_predicateIiEiEE10hipError_tPvRmT2_T3_T4_T5_mT6_T7_P12ihipStream_tbENKUlT_T0_E_clISt17integral_constantIbLb0EESY_IbLb1EEEEDaSU_SV_EUlSU_E_NS1_11comp_targetILNS1_3genE4ELNS1_11target_archE910ELNS1_3gpuE8ELNS1_3repE0EEENS1_30default_config_static_selectorELNS0_4arch9wavefront6targetE1EEEvT1_
		.amdhsa_group_segment_fixed_size 16384
		.amdhsa_private_segment_fixed_size 0
		.amdhsa_kernarg_size 112
		.amdhsa_user_sgpr_count 6
		.amdhsa_user_sgpr_private_segment_buffer 1
		.amdhsa_user_sgpr_dispatch_ptr 0
		.amdhsa_user_sgpr_queue_ptr 0
		.amdhsa_user_sgpr_kernarg_segment_ptr 1
		.amdhsa_user_sgpr_dispatch_id 0
		.amdhsa_user_sgpr_flat_scratch_init 0
		.amdhsa_user_sgpr_kernarg_preload_length 0
		.amdhsa_user_sgpr_kernarg_preload_offset 0
		.amdhsa_user_sgpr_private_segment_size 0
		.amdhsa_uses_dynamic_stack 0
		.amdhsa_system_sgpr_private_segment_wavefront_offset 0
		.amdhsa_system_sgpr_workgroup_id_x 1
		.amdhsa_system_sgpr_workgroup_id_y 0
		.amdhsa_system_sgpr_workgroup_id_z 0
		.amdhsa_system_sgpr_workgroup_info 0
		.amdhsa_system_vgpr_workitem_id 0
		.amdhsa_next_free_vgpr 67
		.amdhsa_next_free_sgpr 60
		.amdhsa_accum_offset 68
		.amdhsa_reserve_vcc 1
		.amdhsa_reserve_flat_scratch 0
		.amdhsa_float_round_mode_32 0
		.amdhsa_float_round_mode_16_64 0
		.amdhsa_float_denorm_mode_32 3
		.amdhsa_float_denorm_mode_16_64 3
		.amdhsa_dx10_clamp 1
		.amdhsa_ieee_mode 1
		.amdhsa_fp16_overflow 0
		.amdhsa_tg_split 0
		.amdhsa_exception_fp_ieee_invalid_op 0
		.amdhsa_exception_fp_denorm_src 0
		.amdhsa_exception_fp_ieee_div_zero 0
		.amdhsa_exception_fp_ieee_overflow 0
		.amdhsa_exception_fp_ieee_underflow 0
		.amdhsa_exception_fp_ieee_inexact 0
		.amdhsa_exception_int_div_zero 0
	.end_amdhsa_kernel
	.section	.text._ZN7rocprim17ROCPRIM_400000_NS6detail17trampoline_kernelINS0_14default_configENS1_27scan_by_key_config_selectorIiiEEZZNS1_16scan_by_key_implILNS1_25lookback_scan_determinismE0ELb1ES3_N6thrust23THRUST_200600_302600_NS6detail15normal_iteratorINS9_10device_ptrIiEEEESE_SE_iNS9_4plusIvEE19head_flag_predicateIiEiEE10hipError_tPvRmT2_T3_T4_T5_mT6_T7_P12ihipStream_tbENKUlT_T0_E_clISt17integral_constantIbLb0EESY_IbLb1EEEEDaSU_SV_EUlSU_E_NS1_11comp_targetILNS1_3genE4ELNS1_11target_archE910ELNS1_3gpuE8ELNS1_3repE0EEENS1_30default_config_static_selectorELNS0_4arch9wavefront6targetE1EEEvT1_,"axG",@progbits,_ZN7rocprim17ROCPRIM_400000_NS6detail17trampoline_kernelINS0_14default_configENS1_27scan_by_key_config_selectorIiiEEZZNS1_16scan_by_key_implILNS1_25lookback_scan_determinismE0ELb1ES3_N6thrust23THRUST_200600_302600_NS6detail15normal_iteratorINS9_10device_ptrIiEEEESE_SE_iNS9_4plusIvEE19head_flag_predicateIiEiEE10hipError_tPvRmT2_T3_T4_T5_mT6_T7_P12ihipStream_tbENKUlT_T0_E_clISt17integral_constantIbLb0EESY_IbLb1EEEEDaSU_SV_EUlSU_E_NS1_11comp_targetILNS1_3genE4ELNS1_11target_archE910ELNS1_3gpuE8ELNS1_3repE0EEENS1_30default_config_static_selectorELNS0_4arch9wavefront6targetE1EEEvT1_,comdat
.Lfunc_end147:
	.size	_ZN7rocprim17ROCPRIM_400000_NS6detail17trampoline_kernelINS0_14default_configENS1_27scan_by_key_config_selectorIiiEEZZNS1_16scan_by_key_implILNS1_25lookback_scan_determinismE0ELb1ES3_N6thrust23THRUST_200600_302600_NS6detail15normal_iteratorINS9_10device_ptrIiEEEESE_SE_iNS9_4plusIvEE19head_flag_predicateIiEiEE10hipError_tPvRmT2_T3_T4_T5_mT6_T7_P12ihipStream_tbENKUlT_T0_E_clISt17integral_constantIbLb0EESY_IbLb1EEEEDaSU_SV_EUlSU_E_NS1_11comp_targetILNS1_3genE4ELNS1_11target_archE910ELNS1_3gpuE8ELNS1_3repE0EEENS1_30default_config_static_selectorELNS0_4arch9wavefront6targetE1EEEvT1_, .Lfunc_end147-_ZN7rocprim17ROCPRIM_400000_NS6detail17trampoline_kernelINS0_14default_configENS1_27scan_by_key_config_selectorIiiEEZZNS1_16scan_by_key_implILNS1_25lookback_scan_determinismE0ELb1ES3_N6thrust23THRUST_200600_302600_NS6detail15normal_iteratorINS9_10device_ptrIiEEEESE_SE_iNS9_4plusIvEE19head_flag_predicateIiEiEE10hipError_tPvRmT2_T3_T4_T5_mT6_T7_P12ihipStream_tbENKUlT_T0_E_clISt17integral_constantIbLb0EESY_IbLb1EEEEDaSU_SV_EUlSU_E_NS1_11comp_targetILNS1_3genE4ELNS1_11target_archE910ELNS1_3gpuE8ELNS1_3repE0EEENS1_30default_config_static_selectorELNS0_4arch9wavefront6targetE1EEEvT1_
                                        ; -- End function
	.section	.AMDGPU.csdata,"",@progbits
; Kernel info:
; codeLenInByte = 11144
; NumSgprs: 64
; NumVgprs: 67
; NumAgprs: 0
; TotalNumVgprs: 67
; ScratchSize: 0
; MemoryBound: 0
; FloatMode: 240
; IeeeMode: 1
; LDSByteSize: 16384 bytes/workgroup (compile time only)
; SGPRBlocks: 7
; VGPRBlocks: 8
; NumSGPRsForWavesPerEU: 64
; NumVGPRsForWavesPerEU: 67
; AccumOffset: 68
; Occupancy: 4
; WaveLimiterHint : 1
; COMPUTE_PGM_RSRC2:SCRATCH_EN: 0
; COMPUTE_PGM_RSRC2:USER_SGPR: 6
; COMPUTE_PGM_RSRC2:TRAP_HANDLER: 0
; COMPUTE_PGM_RSRC2:TGID_X_EN: 1
; COMPUTE_PGM_RSRC2:TGID_Y_EN: 0
; COMPUTE_PGM_RSRC2:TGID_Z_EN: 0
; COMPUTE_PGM_RSRC2:TIDIG_COMP_CNT: 0
; COMPUTE_PGM_RSRC3_GFX90A:ACCUM_OFFSET: 16
; COMPUTE_PGM_RSRC3_GFX90A:TG_SPLIT: 0
	.section	.text._ZN7rocprim17ROCPRIM_400000_NS6detail17trampoline_kernelINS0_14default_configENS1_27scan_by_key_config_selectorIiiEEZZNS1_16scan_by_key_implILNS1_25lookback_scan_determinismE0ELb1ES3_N6thrust23THRUST_200600_302600_NS6detail15normal_iteratorINS9_10device_ptrIiEEEESE_SE_iNS9_4plusIvEE19head_flag_predicateIiEiEE10hipError_tPvRmT2_T3_T4_T5_mT6_T7_P12ihipStream_tbENKUlT_T0_E_clISt17integral_constantIbLb0EESY_IbLb1EEEEDaSU_SV_EUlSU_E_NS1_11comp_targetILNS1_3genE3ELNS1_11target_archE908ELNS1_3gpuE7ELNS1_3repE0EEENS1_30default_config_static_selectorELNS0_4arch9wavefront6targetE1EEEvT1_,"axG",@progbits,_ZN7rocprim17ROCPRIM_400000_NS6detail17trampoline_kernelINS0_14default_configENS1_27scan_by_key_config_selectorIiiEEZZNS1_16scan_by_key_implILNS1_25lookback_scan_determinismE0ELb1ES3_N6thrust23THRUST_200600_302600_NS6detail15normal_iteratorINS9_10device_ptrIiEEEESE_SE_iNS9_4plusIvEE19head_flag_predicateIiEiEE10hipError_tPvRmT2_T3_T4_T5_mT6_T7_P12ihipStream_tbENKUlT_T0_E_clISt17integral_constantIbLb0EESY_IbLb1EEEEDaSU_SV_EUlSU_E_NS1_11comp_targetILNS1_3genE3ELNS1_11target_archE908ELNS1_3gpuE7ELNS1_3repE0EEENS1_30default_config_static_selectorELNS0_4arch9wavefront6targetE1EEEvT1_,comdat
	.protected	_ZN7rocprim17ROCPRIM_400000_NS6detail17trampoline_kernelINS0_14default_configENS1_27scan_by_key_config_selectorIiiEEZZNS1_16scan_by_key_implILNS1_25lookback_scan_determinismE0ELb1ES3_N6thrust23THRUST_200600_302600_NS6detail15normal_iteratorINS9_10device_ptrIiEEEESE_SE_iNS9_4plusIvEE19head_flag_predicateIiEiEE10hipError_tPvRmT2_T3_T4_T5_mT6_T7_P12ihipStream_tbENKUlT_T0_E_clISt17integral_constantIbLb0EESY_IbLb1EEEEDaSU_SV_EUlSU_E_NS1_11comp_targetILNS1_3genE3ELNS1_11target_archE908ELNS1_3gpuE7ELNS1_3repE0EEENS1_30default_config_static_selectorELNS0_4arch9wavefront6targetE1EEEvT1_ ; -- Begin function _ZN7rocprim17ROCPRIM_400000_NS6detail17trampoline_kernelINS0_14default_configENS1_27scan_by_key_config_selectorIiiEEZZNS1_16scan_by_key_implILNS1_25lookback_scan_determinismE0ELb1ES3_N6thrust23THRUST_200600_302600_NS6detail15normal_iteratorINS9_10device_ptrIiEEEESE_SE_iNS9_4plusIvEE19head_flag_predicateIiEiEE10hipError_tPvRmT2_T3_T4_T5_mT6_T7_P12ihipStream_tbENKUlT_T0_E_clISt17integral_constantIbLb0EESY_IbLb1EEEEDaSU_SV_EUlSU_E_NS1_11comp_targetILNS1_3genE3ELNS1_11target_archE908ELNS1_3gpuE7ELNS1_3repE0EEENS1_30default_config_static_selectorELNS0_4arch9wavefront6targetE1EEEvT1_
	.globl	_ZN7rocprim17ROCPRIM_400000_NS6detail17trampoline_kernelINS0_14default_configENS1_27scan_by_key_config_selectorIiiEEZZNS1_16scan_by_key_implILNS1_25lookback_scan_determinismE0ELb1ES3_N6thrust23THRUST_200600_302600_NS6detail15normal_iteratorINS9_10device_ptrIiEEEESE_SE_iNS9_4plusIvEE19head_flag_predicateIiEiEE10hipError_tPvRmT2_T3_T4_T5_mT6_T7_P12ihipStream_tbENKUlT_T0_E_clISt17integral_constantIbLb0EESY_IbLb1EEEEDaSU_SV_EUlSU_E_NS1_11comp_targetILNS1_3genE3ELNS1_11target_archE908ELNS1_3gpuE7ELNS1_3repE0EEENS1_30default_config_static_selectorELNS0_4arch9wavefront6targetE1EEEvT1_
	.p2align	8
	.type	_ZN7rocprim17ROCPRIM_400000_NS6detail17trampoline_kernelINS0_14default_configENS1_27scan_by_key_config_selectorIiiEEZZNS1_16scan_by_key_implILNS1_25lookback_scan_determinismE0ELb1ES3_N6thrust23THRUST_200600_302600_NS6detail15normal_iteratorINS9_10device_ptrIiEEEESE_SE_iNS9_4plusIvEE19head_flag_predicateIiEiEE10hipError_tPvRmT2_T3_T4_T5_mT6_T7_P12ihipStream_tbENKUlT_T0_E_clISt17integral_constantIbLb0EESY_IbLb1EEEEDaSU_SV_EUlSU_E_NS1_11comp_targetILNS1_3genE3ELNS1_11target_archE908ELNS1_3gpuE7ELNS1_3repE0EEENS1_30default_config_static_selectorELNS0_4arch9wavefront6targetE1EEEvT1_,@function
_ZN7rocprim17ROCPRIM_400000_NS6detail17trampoline_kernelINS0_14default_configENS1_27scan_by_key_config_selectorIiiEEZZNS1_16scan_by_key_implILNS1_25lookback_scan_determinismE0ELb1ES3_N6thrust23THRUST_200600_302600_NS6detail15normal_iteratorINS9_10device_ptrIiEEEESE_SE_iNS9_4plusIvEE19head_flag_predicateIiEiEE10hipError_tPvRmT2_T3_T4_T5_mT6_T7_P12ihipStream_tbENKUlT_T0_E_clISt17integral_constantIbLb0EESY_IbLb1EEEEDaSU_SV_EUlSU_E_NS1_11comp_targetILNS1_3genE3ELNS1_11target_archE908ELNS1_3gpuE7ELNS1_3repE0EEENS1_30default_config_static_selectorELNS0_4arch9wavefront6targetE1EEEvT1_: ; @_ZN7rocprim17ROCPRIM_400000_NS6detail17trampoline_kernelINS0_14default_configENS1_27scan_by_key_config_selectorIiiEEZZNS1_16scan_by_key_implILNS1_25lookback_scan_determinismE0ELb1ES3_N6thrust23THRUST_200600_302600_NS6detail15normal_iteratorINS9_10device_ptrIiEEEESE_SE_iNS9_4plusIvEE19head_flag_predicateIiEiEE10hipError_tPvRmT2_T3_T4_T5_mT6_T7_P12ihipStream_tbENKUlT_T0_E_clISt17integral_constantIbLb0EESY_IbLb1EEEEDaSU_SV_EUlSU_E_NS1_11comp_targetILNS1_3genE3ELNS1_11target_archE908ELNS1_3gpuE7ELNS1_3repE0EEENS1_30default_config_static_selectorELNS0_4arch9wavefront6targetE1EEEvT1_
; %bb.0:
	.section	.rodata,"a",@progbits
	.p2align	6, 0x0
	.amdhsa_kernel _ZN7rocprim17ROCPRIM_400000_NS6detail17trampoline_kernelINS0_14default_configENS1_27scan_by_key_config_selectorIiiEEZZNS1_16scan_by_key_implILNS1_25lookback_scan_determinismE0ELb1ES3_N6thrust23THRUST_200600_302600_NS6detail15normal_iteratorINS9_10device_ptrIiEEEESE_SE_iNS9_4plusIvEE19head_flag_predicateIiEiEE10hipError_tPvRmT2_T3_T4_T5_mT6_T7_P12ihipStream_tbENKUlT_T0_E_clISt17integral_constantIbLb0EESY_IbLb1EEEEDaSU_SV_EUlSU_E_NS1_11comp_targetILNS1_3genE3ELNS1_11target_archE908ELNS1_3gpuE7ELNS1_3repE0EEENS1_30default_config_static_selectorELNS0_4arch9wavefront6targetE1EEEvT1_
		.amdhsa_group_segment_fixed_size 0
		.amdhsa_private_segment_fixed_size 0
		.amdhsa_kernarg_size 112
		.amdhsa_user_sgpr_count 6
		.amdhsa_user_sgpr_private_segment_buffer 1
		.amdhsa_user_sgpr_dispatch_ptr 0
		.amdhsa_user_sgpr_queue_ptr 0
		.amdhsa_user_sgpr_kernarg_segment_ptr 1
		.amdhsa_user_sgpr_dispatch_id 0
		.amdhsa_user_sgpr_flat_scratch_init 0
		.amdhsa_user_sgpr_kernarg_preload_length 0
		.amdhsa_user_sgpr_kernarg_preload_offset 0
		.amdhsa_user_sgpr_private_segment_size 0
		.amdhsa_uses_dynamic_stack 0
		.amdhsa_system_sgpr_private_segment_wavefront_offset 0
		.amdhsa_system_sgpr_workgroup_id_x 1
		.amdhsa_system_sgpr_workgroup_id_y 0
		.amdhsa_system_sgpr_workgroup_id_z 0
		.amdhsa_system_sgpr_workgroup_info 0
		.amdhsa_system_vgpr_workitem_id 0
		.amdhsa_next_free_vgpr 1
		.amdhsa_next_free_sgpr 0
		.amdhsa_accum_offset 4
		.amdhsa_reserve_vcc 0
		.amdhsa_reserve_flat_scratch 0
		.amdhsa_float_round_mode_32 0
		.amdhsa_float_round_mode_16_64 0
		.amdhsa_float_denorm_mode_32 3
		.amdhsa_float_denorm_mode_16_64 3
		.amdhsa_dx10_clamp 1
		.amdhsa_ieee_mode 1
		.amdhsa_fp16_overflow 0
		.amdhsa_tg_split 0
		.amdhsa_exception_fp_ieee_invalid_op 0
		.amdhsa_exception_fp_denorm_src 0
		.amdhsa_exception_fp_ieee_div_zero 0
		.amdhsa_exception_fp_ieee_overflow 0
		.amdhsa_exception_fp_ieee_underflow 0
		.amdhsa_exception_fp_ieee_inexact 0
		.amdhsa_exception_int_div_zero 0
	.end_amdhsa_kernel
	.section	.text._ZN7rocprim17ROCPRIM_400000_NS6detail17trampoline_kernelINS0_14default_configENS1_27scan_by_key_config_selectorIiiEEZZNS1_16scan_by_key_implILNS1_25lookback_scan_determinismE0ELb1ES3_N6thrust23THRUST_200600_302600_NS6detail15normal_iteratorINS9_10device_ptrIiEEEESE_SE_iNS9_4plusIvEE19head_flag_predicateIiEiEE10hipError_tPvRmT2_T3_T4_T5_mT6_T7_P12ihipStream_tbENKUlT_T0_E_clISt17integral_constantIbLb0EESY_IbLb1EEEEDaSU_SV_EUlSU_E_NS1_11comp_targetILNS1_3genE3ELNS1_11target_archE908ELNS1_3gpuE7ELNS1_3repE0EEENS1_30default_config_static_selectorELNS0_4arch9wavefront6targetE1EEEvT1_,"axG",@progbits,_ZN7rocprim17ROCPRIM_400000_NS6detail17trampoline_kernelINS0_14default_configENS1_27scan_by_key_config_selectorIiiEEZZNS1_16scan_by_key_implILNS1_25lookback_scan_determinismE0ELb1ES3_N6thrust23THRUST_200600_302600_NS6detail15normal_iteratorINS9_10device_ptrIiEEEESE_SE_iNS9_4plusIvEE19head_flag_predicateIiEiEE10hipError_tPvRmT2_T3_T4_T5_mT6_T7_P12ihipStream_tbENKUlT_T0_E_clISt17integral_constantIbLb0EESY_IbLb1EEEEDaSU_SV_EUlSU_E_NS1_11comp_targetILNS1_3genE3ELNS1_11target_archE908ELNS1_3gpuE7ELNS1_3repE0EEENS1_30default_config_static_selectorELNS0_4arch9wavefront6targetE1EEEvT1_,comdat
.Lfunc_end148:
	.size	_ZN7rocprim17ROCPRIM_400000_NS6detail17trampoline_kernelINS0_14default_configENS1_27scan_by_key_config_selectorIiiEEZZNS1_16scan_by_key_implILNS1_25lookback_scan_determinismE0ELb1ES3_N6thrust23THRUST_200600_302600_NS6detail15normal_iteratorINS9_10device_ptrIiEEEESE_SE_iNS9_4plusIvEE19head_flag_predicateIiEiEE10hipError_tPvRmT2_T3_T4_T5_mT6_T7_P12ihipStream_tbENKUlT_T0_E_clISt17integral_constantIbLb0EESY_IbLb1EEEEDaSU_SV_EUlSU_E_NS1_11comp_targetILNS1_3genE3ELNS1_11target_archE908ELNS1_3gpuE7ELNS1_3repE0EEENS1_30default_config_static_selectorELNS0_4arch9wavefront6targetE1EEEvT1_, .Lfunc_end148-_ZN7rocprim17ROCPRIM_400000_NS6detail17trampoline_kernelINS0_14default_configENS1_27scan_by_key_config_selectorIiiEEZZNS1_16scan_by_key_implILNS1_25lookback_scan_determinismE0ELb1ES3_N6thrust23THRUST_200600_302600_NS6detail15normal_iteratorINS9_10device_ptrIiEEEESE_SE_iNS9_4plusIvEE19head_flag_predicateIiEiEE10hipError_tPvRmT2_T3_T4_T5_mT6_T7_P12ihipStream_tbENKUlT_T0_E_clISt17integral_constantIbLb0EESY_IbLb1EEEEDaSU_SV_EUlSU_E_NS1_11comp_targetILNS1_3genE3ELNS1_11target_archE908ELNS1_3gpuE7ELNS1_3repE0EEENS1_30default_config_static_selectorELNS0_4arch9wavefront6targetE1EEEvT1_
                                        ; -- End function
	.section	.AMDGPU.csdata,"",@progbits
; Kernel info:
; codeLenInByte = 0
; NumSgprs: 4
; NumVgprs: 0
; NumAgprs: 0
; TotalNumVgprs: 0
; ScratchSize: 0
; MemoryBound: 0
; FloatMode: 240
; IeeeMode: 1
; LDSByteSize: 0 bytes/workgroup (compile time only)
; SGPRBlocks: 0
; VGPRBlocks: 0
; NumSGPRsForWavesPerEU: 4
; NumVGPRsForWavesPerEU: 1
; AccumOffset: 4
; Occupancy: 8
; WaveLimiterHint : 0
; COMPUTE_PGM_RSRC2:SCRATCH_EN: 0
; COMPUTE_PGM_RSRC2:USER_SGPR: 6
; COMPUTE_PGM_RSRC2:TRAP_HANDLER: 0
; COMPUTE_PGM_RSRC2:TGID_X_EN: 1
; COMPUTE_PGM_RSRC2:TGID_Y_EN: 0
; COMPUTE_PGM_RSRC2:TGID_Z_EN: 0
; COMPUTE_PGM_RSRC2:TIDIG_COMP_CNT: 0
; COMPUTE_PGM_RSRC3_GFX90A:ACCUM_OFFSET: 0
; COMPUTE_PGM_RSRC3_GFX90A:TG_SPLIT: 0
	.section	.text._ZN7rocprim17ROCPRIM_400000_NS6detail17trampoline_kernelINS0_14default_configENS1_27scan_by_key_config_selectorIiiEEZZNS1_16scan_by_key_implILNS1_25lookback_scan_determinismE0ELb1ES3_N6thrust23THRUST_200600_302600_NS6detail15normal_iteratorINS9_10device_ptrIiEEEESE_SE_iNS9_4plusIvEE19head_flag_predicateIiEiEE10hipError_tPvRmT2_T3_T4_T5_mT6_T7_P12ihipStream_tbENKUlT_T0_E_clISt17integral_constantIbLb0EESY_IbLb1EEEEDaSU_SV_EUlSU_E_NS1_11comp_targetILNS1_3genE2ELNS1_11target_archE906ELNS1_3gpuE6ELNS1_3repE0EEENS1_30default_config_static_selectorELNS0_4arch9wavefront6targetE1EEEvT1_,"axG",@progbits,_ZN7rocprim17ROCPRIM_400000_NS6detail17trampoline_kernelINS0_14default_configENS1_27scan_by_key_config_selectorIiiEEZZNS1_16scan_by_key_implILNS1_25lookback_scan_determinismE0ELb1ES3_N6thrust23THRUST_200600_302600_NS6detail15normal_iteratorINS9_10device_ptrIiEEEESE_SE_iNS9_4plusIvEE19head_flag_predicateIiEiEE10hipError_tPvRmT2_T3_T4_T5_mT6_T7_P12ihipStream_tbENKUlT_T0_E_clISt17integral_constantIbLb0EESY_IbLb1EEEEDaSU_SV_EUlSU_E_NS1_11comp_targetILNS1_3genE2ELNS1_11target_archE906ELNS1_3gpuE6ELNS1_3repE0EEENS1_30default_config_static_selectorELNS0_4arch9wavefront6targetE1EEEvT1_,comdat
	.protected	_ZN7rocprim17ROCPRIM_400000_NS6detail17trampoline_kernelINS0_14default_configENS1_27scan_by_key_config_selectorIiiEEZZNS1_16scan_by_key_implILNS1_25lookback_scan_determinismE0ELb1ES3_N6thrust23THRUST_200600_302600_NS6detail15normal_iteratorINS9_10device_ptrIiEEEESE_SE_iNS9_4plusIvEE19head_flag_predicateIiEiEE10hipError_tPvRmT2_T3_T4_T5_mT6_T7_P12ihipStream_tbENKUlT_T0_E_clISt17integral_constantIbLb0EESY_IbLb1EEEEDaSU_SV_EUlSU_E_NS1_11comp_targetILNS1_3genE2ELNS1_11target_archE906ELNS1_3gpuE6ELNS1_3repE0EEENS1_30default_config_static_selectorELNS0_4arch9wavefront6targetE1EEEvT1_ ; -- Begin function _ZN7rocprim17ROCPRIM_400000_NS6detail17trampoline_kernelINS0_14default_configENS1_27scan_by_key_config_selectorIiiEEZZNS1_16scan_by_key_implILNS1_25lookback_scan_determinismE0ELb1ES3_N6thrust23THRUST_200600_302600_NS6detail15normal_iteratorINS9_10device_ptrIiEEEESE_SE_iNS9_4plusIvEE19head_flag_predicateIiEiEE10hipError_tPvRmT2_T3_T4_T5_mT6_T7_P12ihipStream_tbENKUlT_T0_E_clISt17integral_constantIbLb0EESY_IbLb1EEEEDaSU_SV_EUlSU_E_NS1_11comp_targetILNS1_3genE2ELNS1_11target_archE906ELNS1_3gpuE6ELNS1_3repE0EEENS1_30default_config_static_selectorELNS0_4arch9wavefront6targetE1EEEvT1_
	.globl	_ZN7rocprim17ROCPRIM_400000_NS6detail17trampoline_kernelINS0_14default_configENS1_27scan_by_key_config_selectorIiiEEZZNS1_16scan_by_key_implILNS1_25lookback_scan_determinismE0ELb1ES3_N6thrust23THRUST_200600_302600_NS6detail15normal_iteratorINS9_10device_ptrIiEEEESE_SE_iNS9_4plusIvEE19head_flag_predicateIiEiEE10hipError_tPvRmT2_T3_T4_T5_mT6_T7_P12ihipStream_tbENKUlT_T0_E_clISt17integral_constantIbLb0EESY_IbLb1EEEEDaSU_SV_EUlSU_E_NS1_11comp_targetILNS1_3genE2ELNS1_11target_archE906ELNS1_3gpuE6ELNS1_3repE0EEENS1_30default_config_static_selectorELNS0_4arch9wavefront6targetE1EEEvT1_
	.p2align	8
	.type	_ZN7rocprim17ROCPRIM_400000_NS6detail17trampoline_kernelINS0_14default_configENS1_27scan_by_key_config_selectorIiiEEZZNS1_16scan_by_key_implILNS1_25lookback_scan_determinismE0ELb1ES3_N6thrust23THRUST_200600_302600_NS6detail15normal_iteratorINS9_10device_ptrIiEEEESE_SE_iNS9_4plusIvEE19head_flag_predicateIiEiEE10hipError_tPvRmT2_T3_T4_T5_mT6_T7_P12ihipStream_tbENKUlT_T0_E_clISt17integral_constantIbLb0EESY_IbLb1EEEEDaSU_SV_EUlSU_E_NS1_11comp_targetILNS1_3genE2ELNS1_11target_archE906ELNS1_3gpuE6ELNS1_3repE0EEENS1_30default_config_static_selectorELNS0_4arch9wavefront6targetE1EEEvT1_,@function
_ZN7rocprim17ROCPRIM_400000_NS6detail17trampoline_kernelINS0_14default_configENS1_27scan_by_key_config_selectorIiiEEZZNS1_16scan_by_key_implILNS1_25lookback_scan_determinismE0ELb1ES3_N6thrust23THRUST_200600_302600_NS6detail15normal_iteratorINS9_10device_ptrIiEEEESE_SE_iNS9_4plusIvEE19head_flag_predicateIiEiEE10hipError_tPvRmT2_T3_T4_T5_mT6_T7_P12ihipStream_tbENKUlT_T0_E_clISt17integral_constantIbLb0EESY_IbLb1EEEEDaSU_SV_EUlSU_E_NS1_11comp_targetILNS1_3genE2ELNS1_11target_archE906ELNS1_3gpuE6ELNS1_3repE0EEENS1_30default_config_static_selectorELNS0_4arch9wavefront6targetE1EEEvT1_: ; @_ZN7rocprim17ROCPRIM_400000_NS6detail17trampoline_kernelINS0_14default_configENS1_27scan_by_key_config_selectorIiiEEZZNS1_16scan_by_key_implILNS1_25lookback_scan_determinismE0ELb1ES3_N6thrust23THRUST_200600_302600_NS6detail15normal_iteratorINS9_10device_ptrIiEEEESE_SE_iNS9_4plusIvEE19head_flag_predicateIiEiEE10hipError_tPvRmT2_T3_T4_T5_mT6_T7_P12ihipStream_tbENKUlT_T0_E_clISt17integral_constantIbLb0EESY_IbLb1EEEEDaSU_SV_EUlSU_E_NS1_11comp_targetILNS1_3genE2ELNS1_11target_archE906ELNS1_3gpuE6ELNS1_3repE0EEENS1_30default_config_static_selectorELNS0_4arch9wavefront6targetE1EEEvT1_
; %bb.0:
	.section	.rodata,"a",@progbits
	.p2align	6, 0x0
	.amdhsa_kernel _ZN7rocprim17ROCPRIM_400000_NS6detail17trampoline_kernelINS0_14default_configENS1_27scan_by_key_config_selectorIiiEEZZNS1_16scan_by_key_implILNS1_25lookback_scan_determinismE0ELb1ES3_N6thrust23THRUST_200600_302600_NS6detail15normal_iteratorINS9_10device_ptrIiEEEESE_SE_iNS9_4plusIvEE19head_flag_predicateIiEiEE10hipError_tPvRmT2_T3_T4_T5_mT6_T7_P12ihipStream_tbENKUlT_T0_E_clISt17integral_constantIbLb0EESY_IbLb1EEEEDaSU_SV_EUlSU_E_NS1_11comp_targetILNS1_3genE2ELNS1_11target_archE906ELNS1_3gpuE6ELNS1_3repE0EEENS1_30default_config_static_selectorELNS0_4arch9wavefront6targetE1EEEvT1_
		.amdhsa_group_segment_fixed_size 0
		.amdhsa_private_segment_fixed_size 0
		.amdhsa_kernarg_size 112
		.amdhsa_user_sgpr_count 6
		.amdhsa_user_sgpr_private_segment_buffer 1
		.amdhsa_user_sgpr_dispatch_ptr 0
		.amdhsa_user_sgpr_queue_ptr 0
		.amdhsa_user_sgpr_kernarg_segment_ptr 1
		.amdhsa_user_sgpr_dispatch_id 0
		.amdhsa_user_sgpr_flat_scratch_init 0
		.amdhsa_user_sgpr_kernarg_preload_length 0
		.amdhsa_user_sgpr_kernarg_preload_offset 0
		.amdhsa_user_sgpr_private_segment_size 0
		.amdhsa_uses_dynamic_stack 0
		.amdhsa_system_sgpr_private_segment_wavefront_offset 0
		.amdhsa_system_sgpr_workgroup_id_x 1
		.amdhsa_system_sgpr_workgroup_id_y 0
		.amdhsa_system_sgpr_workgroup_id_z 0
		.amdhsa_system_sgpr_workgroup_info 0
		.amdhsa_system_vgpr_workitem_id 0
		.amdhsa_next_free_vgpr 1
		.amdhsa_next_free_sgpr 0
		.amdhsa_accum_offset 4
		.amdhsa_reserve_vcc 0
		.amdhsa_reserve_flat_scratch 0
		.amdhsa_float_round_mode_32 0
		.amdhsa_float_round_mode_16_64 0
		.amdhsa_float_denorm_mode_32 3
		.amdhsa_float_denorm_mode_16_64 3
		.amdhsa_dx10_clamp 1
		.amdhsa_ieee_mode 1
		.amdhsa_fp16_overflow 0
		.amdhsa_tg_split 0
		.amdhsa_exception_fp_ieee_invalid_op 0
		.amdhsa_exception_fp_denorm_src 0
		.amdhsa_exception_fp_ieee_div_zero 0
		.amdhsa_exception_fp_ieee_overflow 0
		.amdhsa_exception_fp_ieee_underflow 0
		.amdhsa_exception_fp_ieee_inexact 0
		.amdhsa_exception_int_div_zero 0
	.end_amdhsa_kernel
	.section	.text._ZN7rocprim17ROCPRIM_400000_NS6detail17trampoline_kernelINS0_14default_configENS1_27scan_by_key_config_selectorIiiEEZZNS1_16scan_by_key_implILNS1_25lookback_scan_determinismE0ELb1ES3_N6thrust23THRUST_200600_302600_NS6detail15normal_iteratorINS9_10device_ptrIiEEEESE_SE_iNS9_4plusIvEE19head_flag_predicateIiEiEE10hipError_tPvRmT2_T3_T4_T5_mT6_T7_P12ihipStream_tbENKUlT_T0_E_clISt17integral_constantIbLb0EESY_IbLb1EEEEDaSU_SV_EUlSU_E_NS1_11comp_targetILNS1_3genE2ELNS1_11target_archE906ELNS1_3gpuE6ELNS1_3repE0EEENS1_30default_config_static_selectorELNS0_4arch9wavefront6targetE1EEEvT1_,"axG",@progbits,_ZN7rocprim17ROCPRIM_400000_NS6detail17trampoline_kernelINS0_14default_configENS1_27scan_by_key_config_selectorIiiEEZZNS1_16scan_by_key_implILNS1_25lookback_scan_determinismE0ELb1ES3_N6thrust23THRUST_200600_302600_NS6detail15normal_iteratorINS9_10device_ptrIiEEEESE_SE_iNS9_4plusIvEE19head_flag_predicateIiEiEE10hipError_tPvRmT2_T3_T4_T5_mT6_T7_P12ihipStream_tbENKUlT_T0_E_clISt17integral_constantIbLb0EESY_IbLb1EEEEDaSU_SV_EUlSU_E_NS1_11comp_targetILNS1_3genE2ELNS1_11target_archE906ELNS1_3gpuE6ELNS1_3repE0EEENS1_30default_config_static_selectorELNS0_4arch9wavefront6targetE1EEEvT1_,comdat
.Lfunc_end149:
	.size	_ZN7rocprim17ROCPRIM_400000_NS6detail17trampoline_kernelINS0_14default_configENS1_27scan_by_key_config_selectorIiiEEZZNS1_16scan_by_key_implILNS1_25lookback_scan_determinismE0ELb1ES3_N6thrust23THRUST_200600_302600_NS6detail15normal_iteratorINS9_10device_ptrIiEEEESE_SE_iNS9_4plusIvEE19head_flag_predicateIiEiEE10hipError_tPvRmT2_T3_T4_T5_mT6_T7_P12ihipStream_tbENKUlT_T0_E_clISt17integral_constantIbLb0EESY_IbLb1EEEEDaSU_SV_EUlSU_E_NS1_11comp_targetILNS1_3genE2ELNS1_11target_archE906ELNS1_3gpuE6ELNS1_3repE0EEENS1_30default_config_static_selectorELNS0_4arch9wavefront6targetE1EEEvT1_, .Lfunc_end149-_ZN7rocprim17ROCPRIM_400000_NS6detail17trampoline_kernelINS0_14default_configENS1_27scan_by_key_config_selectorIiiEEZZNS1_16scan_by_key_implILNS1_25lookback_scan_determinismE0ELb1ES3_N6thrust23THRUST_200600_302600_NS6detail15normal_iteratorINS9_10device_ptrIiEEEESE_SE_iNS9_4plusIvEE19head_flag_predicateIiEiEE10hipError_tPvRmT2_T3_T4_T5_mT6_T7_P12ihipStream_tbENKUlT_T0_E_clISt17integral_constantIbLb0EESY_IbLb1EEEEDaSU_SV_EUlSU_E_NS1_11comp_targetILNS1_3genE2ELNS1_11target_archE906ELNS1_3gpuE6ELNS1_3repE0EEENS1_30default_config_static_selectorELNS0_4arch9wavefront6targetE1EEEvT1_
                                        ; -- End function
	.section	.AMDGPU.csdata,"",@progbits
; Kernel info:
; codeLenInByte = 0
; NumSgprs: 4
; NumVgprs: 0
; NumAgprs: 0
; TotalNumVgprs: 0
; ScratchSize: 0
; MemoryBound: 0
; FloatMode: 240
; IeeeMode: 1
; LDSByteSize: 0 bytes/workgroup (compile time only)
; SGPRBlocks: 0
; VGPRBlocks: 0
; NumSGPRsForWavesPerEU: 4
; NumVGPRsForWavesPerEU: 1
; AccumOffset: 4
; Occupancy: 8
; WaveLimiterHint : 0
; COMPUTE_PGM_RSRC2:SCRATCH_EN: 0
; COMPUTE_PGM_RSRC2:USER_SGPR: 6
; COMPUTE_PGM_RSRC2:TRAP_HANDLER: 0
; COMPUTE_PGM_RSRC2:TGID_X_EN: 1
; COMPUTE_PGM_RSRC2:TGID_Y_EN: 0
; COMPUTE_PGM_RSRC2:TGID_Z_EN: 0
; COMPUTE_PGM_RSRC2:TIDIG_COMP_CNT: 0
; COMPUTE_PGM_RSRC3_GFX90A:ACCUM_OFFSET: 0
; COMPUTE_PGM_RSRC3_GFX90A:TG_SPLIT: 0
	.section	.text._ZN7rocprim17ROCPRIM_400000_NS6detail17trampoline_kernelINS0_14default_configENS1_27scan_by_key_config_selectorIiiEEZZNS1_16scan_by_key_implILNS1_25lookback_scan_determinismE0ELb1ES3_N6thrust23THRUST_200600_302600_NS6detail15normal_iteratorINS9_10device_ptrIiEEEESE_SE_iNS9_4plusIvEE19head_flag_predicateIiEiEE10hipError_tPvRmT2_T3_T4_T5_mT6_T7_P12ihipStream_tbENKUlT_T0_E_clISt17integral_constantIbLb0EESY_IbLb1EEEEDaSU_SV_EUlSU_E_NS1_11comp_targetILNS1_3genE10ELNS1_11target_archE1200ELNS1_3gpuE4ELNS1_3repE0EEENS1_30default_config_static_selectorELNS0_4arch9wavefront6targetE1EEEvT1_,"axG",@progbits,_ZN7rocprim17ROCPRIM_400000_NS6detail17trampoline_kernelINS0_14default_configENS1_27scan_by_key_config_selectorIiiEEZZNS1_16scan_by_key_implILNS1_25lookback_scan_determinismE0ELb1ES3_N6thrust23THRUST_200600_302600_NS6detail15normal_iteratorINS9_10device_ptrIiEEEESE_SE_iNS9_4plusIvEE19head_flag_predicateIiEiEE10hipError_tPvRmT2_T3_T4_T5_mT6_T7_P12ihipStream_tbENKUlT_T0_E_clISt17integral_constantIbLb0EESY_IbLb1EEEEDaSU_SV_EUlSU_E_NS1_11comp_targetILNS1_3genE10ELNS1_11target_archE1200ELNS1_3gpuE4ELNS1_3repE0EEENS1_30default_config_static_selectorELNS0_4arch9wavefront6targetE1EEEvT1_,comdat
	.protected	_ZN7rocprim17ROCPRIM_400000_NS6detail17trampoline_kernelINS0_14default_configENS1_27scan_by_key_config_selectorIiiEEZZNS1_16scan_by_key_implILNS1_25lookback_scan_determinismE0ELb1ES3_N6thrust23THRUST_200600_302600_NS6detail15normal_iteratorINS9_10device_ptrIiEEEESE_SE_iNS9_4plusIvEE19head_flag_predicateIiEiEE10hipError_tPvRmT2_T3_T4_T5_mT6_T7_P12ihipStream_tbENKUlT_T0_E_clISt17integral_constantIbLb0EESY_IbLb1EEEEDaSU_SV_EUlSU_E_NS1_11comp_targetILNS1_3genE10ELNS1_11target_archE1200ELNS1_3gpuE4ELNS1_3repE0EEENS1_30default_config_static_selectorELNS0_4arch9wavefront6targetE1EEEvT1_ ; -- Begin function _ZN7rocprim17ROCPRIM_400000_NS6detail17trampoline_kernelINS0_14default_configENS1_27scan_by_key_config_selectorIiiEEZZNS1_16scan_by_key_implILNS1_25lookback_scan_determinismE0ELb1ES3_N6thrust23THRUST_200600_302600_NS6detail15normal_iteratorINS9_10device_ptrIiEEEESE_SE_iNS9_4plusIvEE19head_flag_predicateIiEiEE10hipError_tPvRmT2_T3_T4_T5_mT6_T7_P12ihipStream_tbENKUlT_T0_E_clISt17integral_constantIbLb0EESY_IbLb1EEEEDaSU_SV_EUlSU_E_NS1_11comp_targetILNS1_3genE10ELNS1_11target_archE1200ELNS1_3gpuE4ELNS1_3repE0EEENS1_30default_config_static_selectorELNS0_4arch9wavefront6targetE1EEEvT1_
	.globl	_ZN7rocprim17ROCPRIM_400000_NS6detail17trampoline_kernelINS0_14default_configENS1_27scan_by_key_config_selectorIiiEEZZNS1_16scan_by_key_implILNS1_25lookback_scan_determinismE0ELb1ES3_N6thrust23THRUST_200600_302600_NS6detail15normal_iteratorINS9_10device_ptrIiEEEESE_SE_iNS9_4plusIvEE19head_flag_predicateIiEiEE10hipError_tPvRmT2_T3_T4_T5_mT6_T7_P12ihipStream_tbENKUlT_T0_E_clISt17integral_constantIbLb0EESY_IbLb1EEEEDaSU_SV_EUlSU_E_NS1_11comp_targetILNS1_3genE10ELNS1_11target_archE1200ELNS1_3gpuE4ELNS1_3repE0EEENS1_30default_config_static_selectorELNS0_4arch9wavefront6targetE1EEEvT1_
	.p2align	8
	.type	_ZN7rocprim17ROCPRIM_400000_NS6detail17trampoline_kernelINS0_14default_configENS1_27scan_by_key_config_selectorIiiEEZZNS1_16scan_by_key_implILNS1_25lookback_scan_determinismE0ELb1ES3_N6thrust23THRUST_200600_302600_NS6detail15normal_iteratorINS9_10device_ptrIiEEEESE_SE_iNS9_4plusIvEE19head_flag_predicateIiEiEE10hipError_tPvRmT2_T3_T4_T5_mT6_T7_P12ihipStream_tbENKUlT_T0_E_clISt17integral_constantIbLb0EESY_IbLb1EEEEDaSU_SV_EUlSU_E_NS1_11comp_targetILNS1_3genE10ELNS1_11target_archE1200ELNS1_3gpuE4ELNS1_3repE0EEENS1_30default_config_static_selectorELNS0_4arch9wavefront6targetE1EEEvT1_,@function
_ZN7rocprim17ROCPRIM_400000_NS6detail17trampoline_kernelINS0_14default_configENS1_27scan_by_key_config_selectorIiiEEZZNS1_16scan_by_key_implILNS1_25lookback_scan_determinismE0ELb1ES3_N6thrust23THRUST_200600_302600_NS6detail15normal_iteratorINS9_10device_ptrIiEEEESE_SE_iNS9_4plusIvEE19head_flag_predicateIiEiEE10hipError_tPvRmT2_T3_T4_T5_mT6_T7_P12ihipStream_tbENKUlT_T0_E_clISt17integral_constantIbLb0EESY_IbLb1EEEEDaSU_SV_EUlSU_E_NS1_11comp_targetILNS1_3genE10ELNS1_11target_archE1200ELNS1_3gpuE4ELNS1_3repE0EEENS1_30default_config_static_selectorELNS0_4arch9wavefront6targetE1EEEvT1_: ; @_ZN7rocprim17ROCPRIM_400000_NS6detail17trampoline_kernelINS0_14default_configENS1_27scan_by_key_config_selectorIiiEEZZNS1_16scan_by_key_implILNS1_25lookback_scan_determinismE0ELb1ES3_N6thrust23THRUST_200600_302600_NS6detail15normal_iteratorINS9_10device_ptrIiEEEESE_SE_iNS9_4plusIvEE19head_flag_predicateIiEiEE10hipError_tPvRmT2_T3_T4_T5_mT6_T7_P12ihipStream_tbENKUlT_T0_E_clISt17integral_constantIbLb0EESY_IbLb1EEEEDaSU_SV_EUlSU_E_NS1_11comp_targetILNS1_3genE10ELNS1_11target_archE1200ELNS1_3gpuE4ELNS1_3repE0EEENS1_30default_config_static_selectorELNS0_4arch9wavefront6targetE1EEEvT1_
; %bb.0:
	.section	.rodata,"a",@progbits
	.p2align	6, 0x0
	.amdhsa_kernel _ZN7rocprim17ROCPRIM_400000_NS6detail17trampoline_kernelINS0_14default_configENS1_27scan_by_key_config_selectorIiiEEZZNS1_16scan_by_key_implILNS1_25lookback_scan_determinismE0ELb1ES3_N6thrust23THRUST_200600_302600_NS6detail15normal_iteratorINS9_10device_ptrIiEEEESE_SE_iNS9_4plusIvEE19head_flag_predicateIiEiEE10hipError_tPvRmT2_T3_T4_T5_mT6_T7_P12ihipStream_tbENKUlT_T0_E_clISt17integral_constantIbLb0EESY_IbLb1EEEEDaSU_SV_EUlSU_E_NS1_11comp_targetILNS1_3genE10ELNS1_11target_archE1200ELNS1_3gpuE4ELNS1_3repE0EEENS1_30default_config_static_selectorELNS0_4arch9wavefront6targetE1EEEvT1_
		.amdhsa_group_segment_fixed_size 0
		.amdhsa_private_segment_fixed_size 0
		.amdhsa_kernarg_size 112
		.amdhsa_user_sgpr_count 6
		.amdhsa_user_sgpr_private_segment_buffer 1
		.amdhsa_user_sgpr_dispatch_ptr 0
		.amdhsa_user_sgpr_queue_ptr 0
		.amdhsa_user_sgpr_kernarg_segment_ptr 1
		.amdhsa_user_sgpr_dispatch_id 0
		.amdhsa_user_sgpr_flat_scratch_init 0
		.amdhsa_user_sgpr_kernarg_preload_length 0
		.amdhsa_user_sgpr_kernarg_preload_offset 0
		.amdhsa_user_sgpr_private_segment_size 0
		.amdhsa_uses_dynamic_stack 0
		.amdhsa_system_sgpr_private_segment_wavefront_offset 0
		.amdhsa_system_sgpr_workgroup_id_x 1
		.amdhsa_system_sgpr_workgroup_id_y 0
		.amdhsa_system_sgpr_workgroup_id_z 0
		.amdhsa_system_sgpr_workgroup_info 0
		.amdhsa_system_vgpr_workitem_id 0
		.amdhsa_next_free_vgpr 1
		.amdhsa_next_free_sgpr 0
		.amdhsa_accum_offset 4
		.amdhsa_reserve_vcc 0
		.amdhsa_reserve_flat_scratch 0
		.amdhsa_float_round_mode_32 0
		.amdhsa_float_round_mode_16_64 0
		.amdhsa_float_denorm_mode_32 3
		.amdhsa_float_denorm_mode_16_64 3
		.amdhsa_dx10_clamp 1
		.amdhsa_ieee_mode 1
		.amdhsa_fp16_overflow 0
		.amdhsa_tg_split 0
		.amdhsa_exception_fp_ieee_invalid_op 0
		.amdhsa_exception_fp_denorm_src 0
		.amdhsa_exception_fp_ieee_div_zero 0
		.amdhsa_exception_fp_ieee_overflow 0
		.amdhsa_exception_fp_ieee_underflow 0
		.amdhsa_exception_fp_ieee_inexact 0
		.amdhsa_exception_int_div_zero 0
	.end_amdhsa_kernel
	.section	.text._ZN7rocprim17ROCPRIM_400000_NS6detail17trampoline_kernelINS0_14default_configENS1_27scan_by_key_config_selectorIiiEEZZNS1_16scan_by_key_implILNS1_25lookback_scan_determinismE0ELb1ES3_N6thrust23THRUST_200600_302600_NS6detail15normal_iteratorINS9_10device_ptrIiEEEESE_SE_iNS9_4plusIvEE19head_flag_predicateIiEiEE10hipError_tPvRmT2_T3_T4_T5_mT6_T7_P12ihipStream_tbENKUlT_T0_E_clISt17integral_constantIbLb0EESY_IbLb1EEEEDaSU_SV_EUlSU_E_NS1_11comp_targetILNS1_3genE10ELNS1_11target_archE1200ELNS1_3gpuE4ELNS1_3repE0EEENS1_30default_config_static_selectorELNS0_4arch9wavefront6targetE1EEEvT1_,"axG",@progbits,_ZN7rocprim17ROCPRIM_400000_NS6detail17trampoline_kernelINS0_14default_configENS1_27scan_by_key_config_selectorIiiEEZZNS1_16scan_by_key_implILNS1_25lookback_scan_determinismE0ELb1ES3_N6thrust23THRUST_200600_302600_NS6detail15normal_iteratorINS9_10device_ptrIiEEEESE_SE_iNS9_4plusIvEE19head_flag_predicateIiEiEE10hipError_tPvRmT2_T3_T4_T5_mT6_T7_P12ihipStream_tbENKUlT_T0_E_clISt17integral_constantIbLb0EESY_IbLb1EEEEDaSU_SV_EUlSU_E_NS1_11comp_targetILNS1_3genE10ELNS1_11target_archE1200ELNS1_3gpuE4ELNS1_3repE0EEENS1_30default_config_static_selectorELNS0_4arch9wavefront6targetE1EEEvT1_,comdat
.Lfunc_end150:
	.size	_ZN7rocprim17ROCPRIM_400000_NS6detail17trampoline_kernelINS0_14default_configENS1_27scan_by_key_config_selectorIiiEEZZNS1_16scan_by_key_implILNS1_25lookback_scan_determinismE0ELb1ES3_N6thrust23THRUST_200600_302600_NS6detail15normal_iteratorINS9_10device_ptrIiEEEESE_SE_iNS9_4plusIvEE19head_flag_predicateIiEiEE10hipError_tPvRmT2_T3_T4_T5_mT6_T7_P12ihipStream_tbENKUlT_T0_E_clISt17integral_constantIbLb0EESY_IbLb1EEEEDaSU_SV_EUlSU_E_NS1_11comp_targetILNS1_3genE10ELNS1_11target_archE1200ELNS1_3gpuE4ELNS1_3repE0EEENS1_30default_config_static_selectorELNS0_4arch9wavefront6targetE1EEEvT1_, .Lfunc_end150-_ZN7rocprim17ROCPRIM_400000_NS6detail17trampoline_kernelINS0_14default_configENS1_27scan_by_key_config_selectorIiiEEZZNS1_16scan_by_key_implILNS1_25lookback_scan_determinismE0ELb1ES3_N6thrust23THRUST_200600_302600_NS6detail15normal_iteratorINS9_10device_ptrIiEEEESE_SE_iNS9_4plusIvEE19head_flag_predicateIiEiEE10hipError_tPvRmT2_T3_T4_T5_mT6_T7_P12ihipStream_tbENKUlT_T0_E_clISt17integral_constantIbLb0EESY_IbLb1EEEEDaSU_SV_EUlSU_E_NS1_11comp_targetILNS1_3genE10ELNS1_11target_archE1200ELNS1_3gpuE4ELNS1_3repE0EEENS1_30default_config_static_selectorELNS0_4arch9wavefront6targetE1EEEvT1_
                                        ; -- End function
	.section	.AMDGPU.csdata,"",@progbits
; Kernel info:
; codeLenInByte = 0
; NumSgprs: 4
; NumVgprs: 0
; NumAgprs: 0
; TotalNumVgprs: 0
; ScratchSize: 0
; MemoryBound: 0
; FloatMode: 240
; IeeeMode: 1
; LDSByteSize: 0 bytes/workgroup (compile time only)
; SGPRBlocks: 0
; VGPRBlocks: 0
; NumSGPRsForWavesPerEU: 4
; NumVGPRsForWavesPerEU: 1
; AccumOffset: 4
; Occupancy: 8
; WaveLimiterHint : 0
; COMPUTE_PGM_RSRC2:SCRATCH_EN: 0
; COMPUTE_PGM_RSRC2:USER_SGPR: 6
; COMPUTE_PGM_RSRC2:TRAP_HANDLER: 0
; COMPUTE_PGM_RSRC2:TGID_X_EN: 1
; COMPUTE_PGM_RSRC2:TGID_Y_EN: 0
; COMPUTE_PGM_RSRC2:TGID_Z_EN: 0
; COMPUTE_PGM_RSRC2:TIDIG_COMP_CNT: 0
; COMPUTE_PGM_RSRC3_GFX90A:ACCUM_OFFSET: 0
; COMPUTE_PGM_RSRC3_GFX90A:TG_SPLIT: 0
	.section	.text._ZN7rocprim17ROCPRIM_400000_NS6detail17trampoline_kernelINS0_14default_configENS1_27scan_by_key_config_selectorIiiEEZZNS1_16scan_by_key_implILNS1_25lookback_scan_determinismE0ELb1ES3_N6thrust23THRUST_200600_302600_NS6detail15normal_iteratorINS9_10device_ptrIiEEEESE_SE_iNS9_4plusIvEE19head_flag_predicateIiEiEE10hipError_tPvRmT2_T3_T4_T5_mT6_T7_P12ihipStream_tbENKUlT_T0_E_clISt17integral_constantIbLb0EESY_IbLb1EEEEDaSU_SV_EUlSU_E_NS1_11comp_targetILNS1_3genE9ELNS1_11target_archE1100ELNS1_3gpuE3ELNS1_3repE0EEENS1_30default_config_static_selectorELNS0_4arch9wavefront6targetE1EEEvT1_,"axG",@progbits,_ZN7rocprim17ROCPRIM_400000_NS6detail17trampoline_kernelINS0_14default_configENS1_27scan_by_key_config_selectorIiiEEZZNS1_16scan_by_key_implILNS1_25lookback_scan_determinismE0ELb1ES3_N6thrust23THRUST_200600_302600_NS6detail15normal_iteratorINS9_10device_ptrIiEEEESE_SE_iNS9_4plusIvEE19head_flag_predicateIiEiEE10hipError_tPvRmT2_T3_T4_T5_mT6_T7_P12ihipStream_tbENKUlT_T0_E_clISt17integral_constantIbLb0EESY_IbLb1EEEEDaSU_SV_EUlSU_E_NS1_11comp_targetILNS1_3genE9ELNS1_11target_archE1100ELNS1_3gpuE3ELNS1_3repE0EEENS1_30default_config_static_selectorELNS0_4arch9wavefront6targetE1EEEvT1_,comdat
	.protected	_ZN7rocprim17ROCPRIM_400000_NS6detail17trampoline_kernelINS0_14default_configENS1_27scan_by_key_config_selectorIiiEEZZNS1_16scan_by_key_implILNS1_25lookback_scan_determinismE0ELb1ES3_N6thrust23THRUST_200600_302600_NS6detail15normal_iteratorINS9_10device_ptrIiEEEESE_SE_iNS9_4plusIvEE19head_flag_predicateIiEiEE10hipError_tPvRmT2_T3_T4_T5_mT6_T7_P12ihipStream_tbENKUlT_T0_E_clISt17integral_constantIbLb0EESY_IbLb1EEEEDaSU_SV_EUlSU_E_NS1_11comp_targetILNS1_3genE9ELNS1_11target_archE1100ELNS1_3gpuE3ELNS1_3repE0EEENS1_30default_config_static_selectorELNS0_4arch9wavefront6targetE1EEEvT1_ ; -- Begin function _ZN7rocprim17ROCPRIM_400000_NS6detail17trampoline_kernelINS0_14default_configENS1_27scan_by_key_config_selectorIiiEEZZNS1_16scan_by_key_implILNS1_25lookback_scan_determinismE0ELb1ES3_N6thrust23THRUST_200600_302600_NS6detail15normal_iteratorINS9_10device_ptrIiEEEESE_SE_iNS9_4plusIvEE19head_flag_predicateIiEiEE10hipError_tPvRmT2_T3_T4_T5_mT6_T7_P12ihipStream_tbENKUlT_T0_E_clISt17integral_constantIbLb0EESY_IbLb1EEEEDaSU_SV_EUlSU_E_NS1_11comp_targetILNS1_3genE9ELNS1_11target_archE1100ELNS1_3gpuE3ELNS1_3repE0EEENS1_30default_config_static_selectorELNS0_4arch9wavefront6targetE1EEEvT1_
	.globl	_ZN7rocprim17ROCPRIM_400000_NS6detail17trampoline_kernelINS0_14default_configENS1_27scan_by_key_config_selectorIiiEEZZNS1_16scan_by_key_implILNS1_25lookback_scan_determinismE0ELb1ES3_N6thrust23THRUST_200600_302600_NS6detail15normal_iteratorINS9_10device_ptrIiEEEESE_SE_iNS9_4plusIvEE19head_flag_predicateIiEiEE10hipError_tPvRmT2_T3_T4_T5_mT6_T7_P12ihipStream_tbENKUlT_T0_E_clISt17integral_constantIbLb0EESY_IbLb1EEEEDaSU_SV_EUlSU_E_NS1_11comp_targetILNS1_3genE9ELNS1_11target_archE1100ELNS1_3gpuE3ELNS1_3repE0EEENS1_30default_config_static_selectorELNS0_4arch9wavefront6targetE1EEEvT1_
	.p2align	8
	.type	_ZN7rocprim17ROCPRIM_400000_NS6detail17trampoline_kernelINS0_14default_configENS1_27scan_by_key_config_selectorIiiEEZZNS1_16scan_by_key_implILNS1_25lookback_scan_determinismE0ELb1ES3_N6thrust23THRUST_200600_302600_NS6detail15normal_iteratorINS9_10device_ptrIiEEEESE_SE_iNS9_4plusIvEE19head_flag_predicateIiEiEE10hipError_tPvRmT2_T3_T4_T5_mT6_T7_P12ihipStream_tbENKUlT_T0_E_clISt17integral_constantIbLb0EESY_IbLb1EEEEDaSU_SV_EUlSU_E_NS1_11comp_targetILNS1_3genE9ELNS1_11target_archE1100ELNS1_3gpuE3ELNS1_3repE0EEENS1_30default_config_static_selectorELNS0_4arch9wavefront6targetE1EEEvT1_,@function
_ZN7rocprim17ROCPRIM_400000_NS6detail17trampoline_kernelINS0_14default_configENS1_27scan_by_key_config_selectorIiiEEZZNS1_16scan_by_key_implILNS1_25lookback_scan_determinismE0ELb1ES3_N6thrust23THRUST_200600_302600_NS6detail15normal_iteratorINS9_10device_ptrIiEEEESE_SE_iNS9_4plusIvEE19head_flag_predicateIiEiEE10hipError_tPvRmT2_T3_T4_T5_mT6_T7_P12ihipStream_tbENKUlT_T0_E_clISt17integral_constantIbLb0EESY_IbLb1EEEEDaSU_SV_EUlSU_E_NS1_11comp_targetILNS1_3genE9ELNS1_11target_archE1100ELNS1_3gpuE3ELNS1_3repE0EEENS1_30default_config_static_selectorELNS0_4arch9wavefront6targetE1EEEvT1_: ; @_ZN7rocprim17ROCPRIM_400000_NS6detail17trampoline_kernelINS0_14default_configENS1_27scan_by_key_config_selectorIiiEEZZNS1_16scan_by_key_implILNS1_25lookback_scan_determinismE0ELb1ES3_N6thrust23THRUST_200600_302600_NS6detail15normal_iteratorINS9_10device_ptrIiEEEESE_SE_iNS9_4plusIvEE19head_flag_predicateIiEiEE10hipError_tPvRmT2_T3_T4_T5_mT6_T7_P12ihipStream_tbENKUlT_T0_E_clISt17integral_constantIbLb0EESY_IbLb1EEEEDaSU_SV_EUlSU_E_NS1_11comp_targetILNS1_3genE9ELNS1_11target_archE1100ELNS1_3gpuE3ELNS1_3repE0EEENS1_30default_config_static_selectorELNS0_4arch9wavefront6targetE1EEEvT1_
; %bb.0:
	.section	.rodata,"a",@progbits
	.p2align	6, 0x0
	.amdhsa_kernel _ZN7rocprim17ROCPRIM_400000_NS6detail17trampoline_kernelINS0_14default_configENS1_27scan_by_key_config_selectorIiiEEZZNS1_16scan_by_key_implILNS1_25lookback_scan_determinismE0ELb1ES3_N6thrust23THRUST_200600_302600_NS6detail15normal_iteratorINS9_10device_ptrIiEEEESE_SE_iNS9_4plusIvEE19head_flag_predicateIiEiEE10hipError_tPvRmT2_T3_T4_T5_mT6_T7_P12ihipStream_tbENKUlT_T0_E_clISt17integral_constantIbLb0EESY_IbLb1EEEEDaSU_SV_EUlSU_E_NS1_11comp_targetILNS1_3genE9ELNS1_11target_archE1100ELNS1_3gpuE3ELNS1_3repE0EEENS1_30default_config_static_selectorELNS0_4arch9wavefront6targetE1EEEvT1_
		.amdhsa_group_segment_fixed_size 0
		.amdhsa_private_segment_fixed_size 0
		.amdhsa_kernarg_size 112
		.amdhsa_user_sgpr_count 6
		.amdhsa_user_sgpr_private_segment_buffer 1
		.amdhsa_user_sgpr_dispatch_ptr 0
		.amdhsa_user_sgpr_queue_ptr 0
		.amdhsa_user_sgpr_kernarg_segment_ptr 1
		.amdhsa_user_sgpr_dispatch_id 0
		.amdhsa_user_sgpr_flat_scratch_init 0
		.amdhsa_user_sgpr_kernarg_preload_length 0
		.amdhsa_user_sgpr_kernarg_preload_offset 0
		.amdhsa_user_sgpr_private_segment_size 0
		.amdhsa_uses_dynamic_stack 0
		.amdhsa_system_sgpr_private_segment_wavefront_offset 0
		.amdhsa_system_sgpr_workgroup_id_x 1
		.amdhsa_system_sgpr_workgroup_id_y 0
		.amdhsa_system_sgpr_workgroup_id_z 0
		.amdhsa_system_sgpr_workgroup_info 0
		.amdhsa_system_vgpr_workitem_id 0
		.amdhsa_next_free_vgpr 1
		.amdhsa_next_free_sgpr 0
		.amdhsa_accum_offset 4
		.amdhsa_reserve_vcc 0
		.amdhsa_reserve_flat_scratch 0
		.amdhsa_float_round_mode_32 0
		.amdhsa_float_round_mode_16_64 0
		.amdhsa_float_denorm_mode_32 3
		.amdhsa_float_denorm_mode_16_64 3
		.amdhsa_dx10_clamp 1
		.amdhsa_ieee_mode 1
		.amdhsa_fp16_overflow 0
		.amdhsa_tg_split 0
		.amdhsa_exception_fp_ieee_invalid_op 0
		.amdhsa_exception_fp_denorm_src 0
		.amdhsa_exception_fp_ieee_div_zero 0
		.amdhsa_exception_fp_ieee_overflow 0
		.amdhsa_exception_fp_ieee_underflow 0
		.amdhsa_exception_fp_ieee_inexact 0
		.amdhsa_exception_int_div_zero 0
	.end_amdhsa_kernel
	.section	.text._ZN7rocprim17ROCPRIM_400000_NS6detail17trampoline_kernelINS0_14default_configENS1_27scan_by_key_config_selectorIiiEEZZNS1_16scan_by_key_implILNS1_25lookback_scan_determinismE0ELb1ES3_N6thrust23THRUST_200600_302600_NS6detail15normal_iteratorINS9_10device_ptrIiEEEESE_SE_iNS9_4plusIvEE19head_flag_predicateIiEiEE10hipError_tPvRmT2_T3_T4_T5_mT6_T7_P12ihipStream_tbENKUlT_T0_E_clISt17integral_constantIbLb0EESY_IbLb1EEEEDaSU_SV_EUlSU_E_NS1_11comp_targetILNS1_3genE9ELNS1_11target_archE1100ELNS1_3gpuE3ELNS1_3repE0EEENS1_30default_config_static_selectorELNS0_4arch9wavefront6targetE1EEEvT1_,"axG",@progbits,_ZN7rocprim17ROCPRIM_400000_NS6detail17trampoline_kernelINS0_14default_configENS1_27scan_by_key_config_selectorIiiEEZZNS1_16scan_by_key_implILNS1_25lookback_scan_determinismE0ELb1ES3_N6thrust23THRUST_200600_302600_NS6detail15normal_iteratorINS9_10device_ptrIiEEEESE_SE_iNS9_4plusIvEE19head_flag_predicateIiEiEE10hipError_tPvRmT2_T3_T4_T5_mT6_T7_P12ihipStream_tbENKUlT_T0_E_clISt17integral_constantIbLb0EESY_IbLb1EEEEDaSU_SV_EUlSU_E_NS1_11comp_targetILNS1_3genE9ELNS1_11target_archE1100ELNS1_3gpuE3ELNS1_3repE0EEENS1_30default_config_static_selectorELNS0_4arch9wavefront6targetE1EEEvT1_,comdat
.Lfunc_end151:
	.size	_ZN7rocprim17ROCPRIM_400000_NS6detail17trampoline_kernelINS0_14default_configENS1_27scan_by_key_config_selectorIiiEEZZNS1_16scan_by_key_implILNS1_25lookback_scan_determinismE0ELb1ES3_N6thrust23THRUST_200600_302600_NS6detail15normal_iteratorINS9_10device_ptrIiEEEESE_SE_iNS9_4plusIvEE19head_flag_predicateIiEiEE10hipError_tPvRmT2_T3_T4_T5_mT6_T7_P12ihipStream_tbENKUlT_T0_E_clISt17integral_constantIbLb0EESY_IbLb1EEEEDaSU_SV_EUlSU_E_NS1_11comp_targetILNS1_3genE9ELNS1_11target_archE1100ELNS1_3gpuE3ELNS1_3repE0EEENS1_30default_config_static_selectorELNS0_4arch9wavefront6targetE1EEEvT1_, .Lfunc_end151-_ZN7rocprim17ROCPRIM_400000_NS6detail17trampoline_kernelINS0_14default_configENS1_27scan_by_key_config_selectorIiiEEZZNS1_16scan_by_key_implILNS1_25lookback_scan_determinismE0ELb1ES3_N6thrust23THRUST_200600_302600_NS6detail15normal_iteratorINS9_10device_ptrIiEEEESE_SE_iNS9_4plusIvEE19head_flag_predicateIiEiEE10hipError_tPvRmT2_T3_T4_T5_mT6_T7_P12ihipStream_tbENKUlT_T0_E_clISt17integral_constantIbLb0EESY_IbLb1EEEEDaSU_SV_EUlSU_E_NS1_11comp_targetILNS1_3genE9ELNS1_11target_archE1100ELNS1_3gpuE3ELNS1_3repE0EEENS1_30default_config_static_selectorELNS0_4arch9wavefront6targetE1EEEvT1_
                                        ; -- End function
	.section	.AMDGPU.csdata,"",@progbits
; Kernel info:
; codeLenInByte = 0
; NumSgprs: 4
; NumVgprs: 0
; NumAgprs: 0
; TotalNumVgprs: 0
; ScratchSize: 0
; MemoryBound: 0
; FloatMode: 240
; IeeeMode: 1
; LDSByteSize: 0 bytes/workgroup (compile time only)
; SGPRBlocks: 0
; VGPRBlocks: 0
; NumSGPRsForWavesPerEU: 4
; NumVGPRsForWavesPerEU: 1
; AccumOffset: 4
; Occupancy: 8
; WaveLimiterHint : 0
; COMPUTE_PGM_RSRC2:SCRATCH_EN: 0
; COMPUTE_PGM_RSRC2:USER_SGPR: 6
; COMPUTE_PGM_RSRC2:TRAP_HANDLER: 0
; COMPUTE_PGM_RSRC2:TGID_X_EN: 1
; COMPUTE_PGM_RSRC2:TGID_Y_EN: 0
; COMPUTE_PGM_RSRC2:TGID_Z_EN: 0
; COMPUTE_PGM_RSRC2:TIDIG_COMP_CNT: 0
; COMPUTE_PGM_RSRC3_GFX90A:ACCUM_OFFSET: 0
; COMPUTE_PGM_RSRC3_GFX90A:TG_SPLIT: 0
	.section	.text._ZN7rocprim17ROCPRIM_400000_NS6detail17trampoline_kernelINS0_14default_configENS1_27scan_by_key_config_selectorIiiEEZZNS1_16scan_by_key_implILNS1_25lookback_scan_determinismE0ELb1ES3_N6thrust23THRUST_200600_302600_NS6detail15normal_iteratorINS9_10device_ptrIiEEEESE_SE_iNS9_4plusIvEE19head_flag_predicateIiEiEE10hipError_tPvRmT2_T3_T4_T5_mT6_T7_P12ihipStream_tbENKUlT_T0_E_clISt17integral_constantIbLb0EESY_IbLb1EEEEDaSU_SV_EUlSU_E_NS1_11comp_targetILNS1_3genE8ELNS1_11target_archE1030ELNS1_3gpuE2ELNS1_3repE0EEENS1_30default_config_static_selectorELNS0_4arch9wavefront6targetE1EEEvT1_,"axG",@progbits,_ZN7rocprim17ROCPRIM_400000_NS6detail17trampoline_kernelINS0_14default_configENS1_27scan_by_key_config_selectorIiiEEZZNS1_16scan_by_key_implILNS1_25lookback_scan_determinismE0ELb1ES3_N6thrust23THRUST_200600_302600_NS6detail15normal_iteratorINS9_10device_ptrIiEEEESE_SE_iNS9_4plusIvEE19head_flag_predicateIiEiEE10hipError_tPvRmT2_T3_T4_T5_mT6_T7_P12ihipStream_tbENKUlT_T0_E_clISt17integral_constantIbLb0EESY_IbLb1EEEEDaSU_SV_EUlSU_E_NS1_11comp_targetILNS1_3genE8ELNS1_11target_archE1030ELNS1_3gpuE2ELNS1_3repE0EEENS1_30default_config_static_selectorELNS0_4arch9wavefront6targetE1EEEvT1_,comdat
	.protected	_ZN7rocprim17ROCPRIM_400000_NS6detail17trampoline_kernelINS0_14default_configENS1_27scan_by_key_config_selectorIiiEEZZNS1_16scan_by_key_implILNS1_25lookback_scan_determinismE0ELb1ES3_N6thrust23THRUST_200600_302600_NS6detail15normal_iteratorINS9_10device_ptrIiEEEESE_SE_iNS9_4plusIvEE19head_flag_predicateIiEiEE10hipError_tPvRmT2_T3_T4_T5_mT6_T7_P12ihipStream_tbENKUlT_T0_E_clISt17integral_constantIbLb0EESY_IbLb1EEEEDaSU_SV_EUlSU_E_NS1_11comp_targetILNS1_3genE8ELNS1_11target_archE1030ELNS1_3gpuE2ELNS1_3repE0EEENS1_30default_config_static_selectorELNS0_4arch9wavefront6targetE1EEEvT1_ ; -- Begin function _ZN7rocprim17ROCPRIM_400000_NS6detail17trampoline_kernelINS0_14default_configENS1_27scan_by_key_config_selectorIiiEEZZNS1_16scan_by_key_implILNS1_25lookback_scan_determinismE0ELb1ES3_N6thrust23THRUST_200600_302600_NS6detail15normal_iteratorINS9_10device_ptrIiEEEESE_SE_iNS9_4plusIvEE19head_flag_predicateIiEiEE10hipError_tPvRmT2_T3_T4_T5_mT6_T7_P12ihipStream_tbENKUlT_T0_E_clISt17integral_constantIbLb0EESY_IbLb1EEEEDaSU_SV_EUlSU_E_NS1_11comp_targetILNS1_3genE8ELNS1_11target_archE1030ELNS1_3gpuE2ELNS1_3repE0EEENS1_30default_config_static_selectorELNS0_4arch9wavefront6targetE1EEEvT1_
	.globl	_ZN7rocprim17ROCPRIM_400000_NS6detail17trampoline_kernelINS0_14default_configENS1_27scan_by_key_config_selectorIiiEEZZNS1_16scan_by_key_implILNS1_25lookback_scan_determinismE0ELb1ES3_N6thrust23THRUST_200600_302600_NS6detail15normal_iteratorINS9_10device_ptrIiEEEESE_SE_iNS9_4plusIvEE19head_flag_predicateIiEiEE10hipError_tPvRmT2_T3_T4_T5_mT6_T7_P12ihipStream_tbENKUlT_T0_E_clISt17integral_constantIbLb0EESY_IbLb1EEEEDaSU_SV_EUlSU_E_NS1_11comp_targetILNS1_3genE8ELNS1_11target_archE1030ELNS1_3gpuE2ELNS1_3repE0EEENS1_30default_config_static_selectorELNS0_4arch9wavefront6targetE1EEEvT1_
	.p2align	8
	.type	_ZN7rocprim17ROCPRIM_400000_NS6detail17trampoline_kernelINS0_14default_configENS1_27scan_by_key_config_selectorIiiEEZZNS1_16scan_by_key_implILNS1_25lookback_scan_determinismE0ELb1ES3_N6thrust23THRUST_200600_302600_NS6detail15normal_iteratorINS9_10device_ptrIiEEEESE_SE_iNS9_4plusIvEE19head_flag_predicateIiEiEE10hipError_tPvRmT2_T3_T4_T5_mT6_T7_P12ihipStream_tbENKUlT_T0_E_clISt17integral_constantIbLb0EESY_IbLb1EEEEDaSU_SV_EUlSU_E_NS1_11comp_targetILNS1_3genE8ELNS1_11target_archE1030ELNS1_3gpuE2ELNS1_3repE0EEENS1_30default_config_static_selectorELNS0_4arch9wavefront6targetE1EEEvT1_,@function
_ZN7rocprim17ROCPRIM_400000_NS6detail17trampoline_kernelINS0_14default_configENS1_27scan_by_key_config_selectorIiiEEZZNS1_16scan_by_key_implILNS1_25lookback_scan_determinismE0ELb1ES3_N6thrust23THRUST_200600_302600_NS6detail15normal_iteratorINS9_10device_ptrIiEEEESE_SE_iNS9_4plusIvEE19head_flag_predicateIiEiEE10hipError_tPvRmT2_T3_T4_T5_mT6_T7_P12ihipStream_tbENKUlT_T0_E_clISt17integral_constantIbLb0EESY_IbLb1EEEEDaSU_SV_EUlSU_E_NS1_11comp_targetILNS1_3genE8ELNS1_11target_archE1030ELNS1_3gpuE2ELNS1_3repE0EEENS1_30default_config_static_selectorELNS0_4arch9wavefront6targetE1EEEvT1_: ; @_ZN7rocprim17ROCPRIM_400000_NS6detail17trampoline_kernelINS0_14default_configENS1_27scan_by_key_config_selectorIiiEEZZNS1_16scan_by_key_implILNS1_25lookback_scan_determinismE0ELb1ES3_N6thrust23THRUST_200600_302600_NS6detail15normal_iteratorINS9_10device_ptrIiEEEESE_SE_iNS9_4plusIvEE19head_flag_predicateIiEiEE10hipError_tPvRmT2_T3_T4_T5_mT6_T7_P12ihipStream_tbENKUlT_T0_E_clISt17integral_constantIbLb0EESY_IbLb1EEEEDaSU_SV_EUlSU_E_NS1_11comp_targetILNS1_3genE8ELNS1_11target_archE1030ELNS1_3gpuE2ELNS1_3repE0EEENS1_30default_config_static_selectorELNS0_4arch9wavefront6targetE1EEEvT1_
; %bb.0:
	.section	.rodata,"a",@progbits
	.p2align	6, 0x0
	.amdhsa_kernel _ZN7rocprim17ROCPRIM_400000_NS6detail17trampoline_kernelINS0_14default_configENS1_27scan_by_key_config_selectorIiiEEZZNS1_16scan_by_key_implILNS1_25lookback_scan_determinismE0ELb1ES3_N6thrust23THRUST_200600_302600_NS6detail15normal_iteratorINS9_10device_ptrIiEEEESE_SE_iNS9_4plusIvEE19head_flag_predicateIiEiEE10hipError_tPvRmT2_T3_T4_T5_mT6_T7_P12ihipStream_tbENKUlT_T0_E_clISt17integral_constantIbLb0EESY_IbLb1EEEEDaSU_SV_EUlSU_E_NS1_11comp_targetILNS1_3genE8ELNS1_11target_archE1030ELNS1_3gpuE2ELNS1_3repE0EEENS1_30default_config_static_selectorELNS0_4arch9wavefront6targetE1EEEvT1_
		.amdhsa_group_segment_fixed_size 0
		.amdhsa_private_segment_fixed_size 0
		.amdhsa_kernarg_size 112
		.amdhsa_user_sgpr_count 6
		.amdhsa_user_sgpr_private_segment_buffer 1
		.amdhsa_user_sgpr_dispatch_ptr 0
		.amdhsa_user_sgpr_queue_ptr 0
		.amdhsa_user_sgpr_kernarg_segment_ptr 1
		.amdhsa_user_sgpr_dispatch_id 0
		.amdhsa_user_sgpr_flat_scratch_init 0
		.amdhsa_user_sgpr_kernarg_preload_length 0
		.amdhsa_user_sgpr_kernarg_preload_offset 0
		.amdhsa_user_sgpr_private_segment_size 0
		.amdhsa_uses_dynamic_stack 0
		.amdhsa_system_sgpr_private_segment_wavefront_offset 0
		.amdhsa_system_sgpr_workgroup_id_x 1
		.amdhsa_system_sgpr_workgroup_id_y 0
		.amdhsa_system_sgpr_workgroup_id_z 0
		.amdhsa_system_sgpr_workgroup_info 0
		.amdhsa_system_vgpr_workitem_id 0
		.amdhsa_next_free_vgpr 1
		.amdhsa_next_free_sgpr 0
		.amdhsa_accum_offset 4
		.amdhsa_reserve_vcc 0
		.amdhsa_reserve_flat_scratch 0
		.amdhsa_float_round_mode_32 0
		.amdhsa_float_round_mode_16_64 0
		.amdhsa_float_denorm_mode_32 3
		.amdhsa_float_denorm_mode_16_64 3
		.amdhsa_dx10_clamp 1
		.amdhsa_ieee_mode 1
		.amdhsa_fp16_overflow 0
		.amdhsa_tg_split 0
		.amdhsa_exception_fp_ieee_invalid_op 0
		.amdhsa_exception_fp_denorm_src 0
		.amdhsa_exception_fp_ieee_div_zero 0
		.amdhsa_exception_fp_ieee_overflow 0
		.amdhsa_exception_fp_ieee_underflow 0
		.amdhsa_exception_fp_ieee_inexact 0
		.amdhsa_exception_int_div_zero 0
	.end_amdhsa_kernel
	.section	.text._ZN7rocprim17ROCPRIM_400000_NS6detail17trampoline_kernelINS0_14default_configENS1_27scan_by_key_config_selectorIiiEEZZNS1_16scan_by_key_implILNS1_25lookback_scan_determinismE0ELb1ES3_N6thrust23THRUST_200600_302600_NS6detail15normal_iteratorINS9_10device_ptrIiEEEESE_SE_iNS9_4plusIvEE19head_flag_predicateIiEiEE10hipError_tPvRmT2_T3_T4_T5_mT6_T7_P12ihipStream_tbENKUlT_T0_E_clISt17integral_constantIbLb0EESY_IbLb1EEEEDaSU_SV_EUlSU_E_NS1_11comp_targetILNS1_3genE8ELNS1_11target_archE1030ELNS1_3gpuE2ELNS1_3repE0EEENS1_30default_config_static_selectorELNS0_4arch9wavefront6targetE1EEEvT1_,"axG",@progbits,_ZN7rocprim17ROCPRIM_400000_NS6detail17trampoline_kernelINS0_14default_configENS1_27scan_by_key_config_selectorIiiEEZZNS1_16scan_by_key_implILNS1_25lookback_scan_determinismE0ELb1ES3_N6thrust23THRUST_200600_302600_NS6detail15normal_iteratorINS9_10device_ptrIiEEEESE_SE_iNS9_4plusIvEE19head_flag_predicateIiEiEE10hipError_tPvRmT2_T3_T4_T5_mT6_T7_P12ihipStream_tbENKUlT_T0_E_clISt17integral_constantIbLb0EESY_IbLb1EEEEDaSU_SV_EUlSU_E_NS1_11comp_targetILNS1_3genE8ELNS1_11target_archE1030ELNS1_3gpuE2ELNS1_3repE0EEENS1_30default_config_static_selectorELNS0_4arch9wavefront6targetE1EEEvT1_,comdat
.Lfunc_end152:
	.size	_ZN7rocprim17ROCPRIM_400000_NS6detail17trampoline_kernelINS0_14default_configENS1_27scan_by_key_config_selectorIiiEEZZNS1_16scan_by_key_implILNS1_25lookback_scan_determinismE0ELb1ES3_N6thrust23THRUST_200600_302600_NS6detail15normal_iteratorINS9_10device_ptrIiEEEESE_SE_iNS9_4plusIvEE19head_flag_predicateIiEiEE10hipError_tPvRmT2_T3_T4_T5_mT6_T7_P12ihipStream_tbENKUlT_T0_E_clISt17integral_constantIbLb0EESY_IbLb1EEEEDaSU_SV_EUlSU_E_NS1_11comp_targetILNS1_3genE8ELNS1_11target_archE1030ELNS1_3gpuE2ELNS1_3repE0EEENS1_30default_config_static_selectorELNS0_4arch9wavefront6targetE1EEEvT1_, .Lfunc_end152-_ZN7rocprim17ROCPRIM_400000_NS6detail17trampoline_kernelINS0_14default_configENS1_27scan_by_key_config_selectorIiiEEZZNS1_16scan_by_key_implILNS1_25lookback_scan_determinismE0ELb1ES3_N6thrust23THRUST_200600_302600_NS6detail15normal_iteratorINS9_10device_ptrIiEEEESE_SE_iNS9_4plusIvEE19head_flag_predicateIiEiEE10hipError_tPvRmT2_T3_T4_T5_mT6_T7_P12ihipStream_tbENKUlT_T0_E_clISt17integral_constantIbLb0EESY_IbLb1EEEEDaSU_SV_EUlSU_E_NS1_11comp_targetILNS1_3genE8ELNS1_11target_archE1030ELNS1_3gpuE2ELNS1_3repE0EEENS1_30default_config_static_selectorELNS0_4arch9wavefront6targetE1EEEvT1_
                                        ; -- End function
	.section	.AMDGPU.csdata,"",@progbits
; Kernel info:
; codeLenInByte = 0
; NumSgprs: 4
; NumVgprs: 0
; NumAgprs: 0
; TotalNumVgprs: 0
; ScratchSize: 0
; MemoryBound: 0
; FloatMode: 240
; IeeeMode: 1
; LDSByteSize: 0 bytes/workgroup (compile time only)
; SGPRBlocks: 0
; VGPRBlocks: 0
; NumSGPRsForWavesPerEU: 4
; NumVGPRsForWavesPerEU: 1
; AccumOffset: 4
; Occupancy: 8
; WaveLimiterHint : 0
; COMPUTE_PGM_RSRC2:SCRATCH_EN: 0
; COMPUTE_PGM_RSRC2:USER_SGPR: 6
; COMPUTE_PGM_RSRC2:TRAP_HANDLER: 0
; COMPUTE_PGM_RSRC2:TGID_X_EN: 1
; COMPUTE_PGM_RSRC2:TGID_Y_EN: 0
; COMPUTE_PGM_RSRC2:TGID_Z_EN: 0
; COMPUTE_PGM_RSRC2:TIDIG_COMP_CNT: 0
; COMPUTE_PGM_RSRC3_GFX90A:ACCUM_OFFSET: 0
; COMPUTE_PGM_RSRC3_GFX90A:TG_SPLIT: 0
	.text
	.p2alignl 6, 3212836864
	.fill 256, 4, 3212836864
	.type	__hip_cuid_18478a738618e57d,@object ; @__hip_cuid_18478a738618e57d
	.section	.bss,"aw",@nobits
	.globl	__hip_cuid_18478a738618e57d
__hip_cuid_18478a738618e57d:
	.byte	0                               ; 0x0
	.size	__hip_cuid_18478a738618e57d, 1

	.ident	"AMD clang version 19.0.0git (https://github.com/RadeonOpenCompute/llvm-project roc-6.4.0 25133 c7fe45cf4b819c5991fe208aaa96edf142730f1d)"
	.section	".note.GNU-stack","",@progbits
	.addrsig
	.addrsig_sym __hip_cuid_18478a738618e57d
	.amdgpu_metadata
---
amdhsa.kernels:
  - .agpr_count:     0
    .args:
      - .offset:         0
        .size:           16
        .value_kind:     by_value
      - .offset:         16
        .size:           8
        .value_kind:     by_value
      - .offset:         24
        .size:           8
        .value_kind:     by_value
    .group_segment_fixed_size: 0
    .kernarg_segment_align: 8
    .kernarg_segment_size: 32
    .language:       OpenCL C
    .language_version:
      - 2
      - 0
    .max_flat_workgroup_size: 256
    .name:           _ZN6thrust23THRUST_200600_302600_NS11hip_rocprim14__parallel_for6kernelILj256ENS1_20__uninitialized_fill7functorINS0_10device_ptrIiEEiEEmLj1EEEvT0_T1_SA_
    .private_segment_fixed_size: 0
    .sgpr_count:     16
    .sgpr_spill_count: 0
    .symbol:         _ZN6thrust23THRUST_200600_302600_NS11hip_rocprim14__parallel_for6kernelILj256ENS1_20__uninitialized_fill7functorINS0_10device_ptrIiEEiEEmLj1EEEvT0_T1_SA_.kd
    .uniform_work_group_size: 1
    .uses_dynamic_stack: false
    .vgpr_count:     4
    .vgpr_spill_count: 0
    .wavefront_size: 64
  - .agpr_count:     0
    .args:
      - .address_space:  global
        .offset:         0
        .size:           8
        .value_kind:     global_buffer
      - .offset:         8
        .size:           4
        .value_kind:     by_value
      - .offset:         12
        .size:           4
        .value_kind:     by_value
      - .address_space:  global
        .offset:         16
        .size:           8
        .value_kind:     global_buffer
      - .address_space:  global
        .offset:         24
        .size:           8
        .value_kind:     global_buffer
      - .actual_access:  write_only
        .address_space:  global
        .offset:         32
        .size:           8
        .value_kind:     global_buffer
      - .offset:         40
        .size:           8
        .value_kind:     by_value
      - .offset:         48
        .size:           4
        .value_kind:     by_value
      - .offset:         52
        .size:           1
        .value_kind:     by_value
      - .offset:         56
        .size:           4
        .value_kind:     hidden_block_count_x
      - .offset:         60
        .size:           4
        .value_kind:     hidden_block_count_y
      - .offset:         64
        .size:           4
        .value_kind:     hidden_block_count_z
      - .offset:         68
        .size:           2
        .value_kind:     hidden_group_size_x
      - .offset:         70
        .size:           2
        .value_kind:     hidden_group_size_y
      - .offset:         72
        .size:           2
        .value_kind:     hidden_group_size_z
      - .offset:         74
        .size:           2
        .value_kind:     hidden_remainder_x
      - .offset:         76
        .size:           2
        .value_kind:     hidden_remainder_y
      - .offset:         78
        .size:           2
        .value_kind:     hidden_remainder_z
      - .offset:         96
        .size:           8
        .value_kind:     hidden_global_offset_x
      - .offset:         104
        .size:           8
        .value_kind:     hidden_global_offset_y
      - .offset:         112
        .size:           8
        .value_kind:     hidden_global_offset_z
      - .offset:         120
        .size:           2
        .value_kind:     hidden_grid_dims
    .group_segment_fixed_size: 0
    .kernarg_segment_align: 8
    .kernarg_segment_size: 312
    .language:       OpenCL C
    .language_version:
      - 2
      - 0
    .max_flat_workgroup_size: 256
    .name:           _ZN7rocprim17ROCPRIM_400000_NS6detail30init_device_scan_by_key_kernelINS1_19lookback_scan_stateINS0_5tupleIJibEEELb0ELb1EEEN6thrust23THRUST_200600_302600_NS6detail15normal_iteratorINS8_10device_ptrIiEEEEjNS1_16block_id_wrapperIjLb0EEEEEvT_jjPNSG_10value_typeET0_PNSt15iterator_traitsISJ_E10value_typeEmT1_T2_
    .private_segment_fixed_size: 0
    .sgpr_count:     24
    .sgpr_spill_count: 0
    .symbol:         _ZN7rocprim17ROCPRIM_400000_NS6detail30init_device_scan_by_key_kernelINS1_19lookback_scan_stateINS0_5tupleIJibEEELb0ELb1EEEN6thrust23THRUST_200600_302600_NS6detail15normal_iteratorINS8_10device_ptrIiEEEEjNS1_16block_id_wrapperIjLb0EEEEEvT_jjPNSG_10value_typeET0_PNSt15iterator_traitsISJ_E10value_typeEmT1_T2_.kd
    .uniform_work_group_size: 1
    .uses_dynamic_stack: false
    .vgpr_count:     10
    .vgpr_spill_count: 0
    .wavefront_size: 64
  - .agpr_count:     0
    .args:
      - .address_space:  global
        .offset:         0
        .size:           8
        .value_kind:     global_buffer
      - .offset:         8
        .size:           4
        .value_kind:     by_value
      - .offset:         12
        .size:           4
        .value_kind:     by_value
      - .address_space:  global
        .offset:         16
        .size:           8
        .value_kind:     global_buffer
      - .offset:         24
        .size:           1
        .value_kind:     by_value
      - .offset:         32
        .size:           4
        .value_kind:     hidden_block_count_x
      - .offset:         36
        .size:           4
        .value_kind:     hidden_block_count_y
      - .offset:         40
        .size:           4
        .value_kind:     hidden_block_count_z
      - .offset:         44
        .size:           2
        .value_kind:     hidden_group_size_x
      - .offset:         46
        .size:           2
        .value_kind:     hidden_group_size_y
      - .offset:         48
        .size:           2
        .value_kind:     hidden_group_size_z
      - .offset:         50
        .size:           2
        .value_kind:     hidden_remainder_x
      - .offset:         52
        .size:           2
        .value_kind:     hidden_remainder_y
      - .offset:         54
        .size:           2
        .value_kind:     hidden_remainder_z
      - .offset:         72
        .size:           8
        .value_kind:     hidden_global_offset_x
      - .offset:         80
        .size:           8
        .value_kind:     hidden_global_offset_y
      - .offset:         88
        .size:           8
        .value_kind:     hidden_global_offset_z
      - .offset:         96
        .size:           2
        .value_kind:     hidden_grid_dims
    .group_segment_fixed_size: 0
    .kernarg_segment_align: 8
    .kernarg_segment_size: 288
    .language:       OpenCL C
    .language_version:
      - 2
      - 0
    .max_flat_workgroup_size: 256
    .name:           _ZN7rocprim17ROCPRIM_400000_NS6detail30init_device_scan_by_key_kernelINS1_19lookback_scan_stateINS0_5tupleIJibEEELb0ELb1EEENS1_16block_id_wrapperIjLb0EEEEEvT_jjPNS9_10value_typeET0_
    .private_segment_fixed_size: 0
    .sgpr_count:     18
    .sgpr_spill_count: 0
    .symbol:         _ZN7rocprim17ROCPRIM_400000_NS6detail30init_device_scan_by_key_kernelINS1_19lookback_scan_stateINS0_5tupleIJibEEELb0ELb1EEENS1_16block_id_wrapperIjLb0EEEEEvT_jjPNS9_10value_typeET0_.kd
    .uniform_work_group_size: 1
    .uses_dynamic_stack: false
    .vgpr_count:     10
    .vgpr_spill_count: 0
    .wavefront_size: 64
  - .agpr_count:     0
    .args:
      - .offset:         0
        .size:           112
        .value_kind:     by_value
    .group_segment_fixed_size: 0
    .kernarg_segment_align: 8
    .kernarg_segment_size: 112
    .language:       OpenCL C
    .language_version:
      - 2
      - 0
    .max_flat_workgroup_size: 256
    .name:           _ZN7rocprim17ROCPRIM_400000_NS6detail17trampoline_kernelINS0_14default_configENS1_27scan_by_key_config_selectorIiiEEZZNS1_16scan_by_key_implILNS1_25lookback_scan_determinismE0ELb0ES3_N6thrust23THRUST_200600_302600_NS6detail15normal_iteratorINS9_10device_ptrIiEEEESE_SE_iNS9_4plusIvEENS9_8equal_toIvEEiEE10hipError_tPvRmT2_T3_T4_T5_mT6_T7_P12ihipStream_tbENKUlT_T0_E_clISt17integral_constantIbLb0EESZ_EEDaSU_SV_EUlSU_E_NS1_11comp_targetILNS1_3genE0ELNS1_11target_archE4294967295ELNS1_3gpuE0ELNS1_3repE0EEENS1_30default_config_static_selectorELNS0_4arch9wavefront6targetE1EEEvT1_
    .private_segment_fixed_size: 0
    .sgpr_count:     4
    .sgpr_spill_count: 0
    .symbol:         _ZN7rocprim17ROCPRIM_400000_NS6detail17trampoline_kernelINS0_14default_configENS1_27scan_by_key_config_selectorIiiEEZZNS1_16scan_by_key_implILNS1_25lookback_scan_determinismE0ELb0ES3_N6thrust23THRUST_200600_302600_NS6detail15normal_iteratorINS9_10device_ptrIiEEEESE_SE_iNS9_4plusIvEENS9_8equal_toIvEEiEE10hipError_tPvRmT2_T3_T4_T5_mT6_T7_P12ihipStream_tbENKUlT_T0_E_clISt17integral_constantIbLb0EESZ_EEDaSU_SV_EUlSU_E_NS1_11comp_targetILNS1_3genE0ELNS1_11target_archE4294967295ELNS1_3gpuE0ELNS1_3repE0EEENS1_30default_config_static_selectorELNS0_4arch9wavefront6targetE1EEEvT1_.kd
    .uniform_work_group_size: 1
    .uses_dynamic_stack: false
    .vgpr_count:     0
    .vgpr_spill_count: 0
    .wavefront_size: 64
  - .agpr_count:     0
    .args:
      - .offset:         0
        .size:           112
        .value_kind:     by_value
    .group_segment_fixed_size: 0
    .kernarg_segment_align: 8
    .kernarg_segment_size: 112
    .language:       OpenCL C
    .language_version:
      - 2
      - 0
    .max_flat_workgroup_size: 256
    .name:           _ZN7rocprim17ROCPRIM_400000_NS6detail17trampoline_kernelINS0_14default_configENS1_27scan_by_key_config_selectorIiiEEZZNS1_16scan_by_key_implILNS1_25lookback_scan_determinismE0ELb0ES3_N6thrust23THRUST_200600_302600_NS6detail15normal_iteratorINS9_10device_ptrIiEEEESE_SE_iNS9_4plusIvEENS9_8equal_toIvEEiEE10hipError_tPvRmT2_T3_T4_T5_mT6_T7_P12ihipStream_tbENKUlT_T0_E_clISt17integral_constantIbLb0EESZ_EEDaSU_SV_EUlSU_E_NS1_11comp_targetILNS1_3genE10ELNS1_11target_archE1201ELNS1_3gpuE5ELNS1_3repE0EEENS1_30default_config_static_selectorELNS0_4arch9wavefront6targetE1EEEvT1_
    .private_segment_fixed_size: 0
    .sgpr_count:     4
    .sgpr_spill_count: 0
    .symbol:         _ZN7rocprim17ROCPRIM_400000_NS6detail17trampoline_kernelINS0_14default_configENS1_27scan_by_key_config_selectorIiiEEZZNS1_16scan_by_key_implILNS1_25lookback_scan_determinismE0ELb0ES3_N6thrust23THRUST_200600_302600_NS6detail15normal_iteratorINS9_10device_ptrIiEEEESE_SE_iNS9_4plusIvEENS9_8equal_toIvEEiEE10hipError_tPvRmT2_T3_T4_T5_mT6_T7_P12ihipStream_tbENKUlT_T0_E_clISt17integral_constantIbLb0EESZ_EEDaSU_SV_EUlSU_E_NS1_11comp_targetILNS1_3genE10ELNS1_11target_archE1201ELNS1_3gpuE5ELNS1_3repE0EEENS1_30default_config_static_selectorELNS0_4arch9wavefront6targetE1EEEvT1_.kd
    .uniform_work_group_size: 1
    .uses_dynamic_stack: false
    .vgpr_count:     0
    .vgpr_spill_count: 0
    .wavefront_size: 64
  - .agpr_count:     0
    .args:
      - .offset:         0
        .size:           112
        .value_kind:     by_value
    .group_segment_fixed_size: 0
    .kernarg_segment_align: 8
    .kernarg_segment_size: 112
    .language:       OpenCL C
    .language_version:
      - 2
      - 0
    .max_flat_workgroup_size: 256
    .name:           _ZN7rocprim17ROCPRIM_400000_NS6detail17trampoline_kernelINS0_14default_configENS1_27scan_by_key_config_selectorIiiEEZZNS1_16scan_by_key_implILNS1_25lookback_scan_determinismE0ELb0ES3_N6thrust23THRUST_200600_302600_NS6detail15normal_iteratorINS9_10device_ptrIiEEEESE_SE_iNS9_4plusIvEENS9_8equal_toIvEEiEE10hipError_tPvRmT2_T3_T4_T5_mT6_T7_P12ihipStream_tbENKUlT_T0_E_clISt17integral_constantIbLb0EESZ_EEDaSU_SV_EUlSU_E_NS1_11comp_targetILNS1_3genE5ELNS1_11target_archE942ELNS1_3gpuE9ELNS1_3repE0EEENS1_30default_config_static_selectorELNS0_4arch9wavefront6targetE1EEEvT1_
    .private_segment_fixed_size: 0
    .sgpr_count:     4
    .sgpr_spill_count: 0
    .symbol:         _ZN7rocprim17ROCPRIM_400000_NS6detail17trampoline_kernelINS0_14default_configENS1_27scan_by_key_config_selectorIiiEEZZNS1_16scan_by_key_implILNS1_25lookback_scan_determinismE0ELb0ES3_N6thrust23THRUST_200600_302600_NS6detail15normal_iteratorINS9_10device_ptrIiEEEESE_SE_iNS9_4plusIvEENS9_8equal_toIvEEiEE10hipError_tPvRmT2_T3_T4_T5_mT6_T7_P12ihipStream_tbENKUlT_T0_E_clISt17integral_constantIbLb0EESZ_EEDaSU_SV_EUlSU_E_NS1_11comp_targetILNS1_3genE5ELNS1_11target_archE942ELNS1_3gpuE9ELNS1_3repE0EEENS1_30default_config_static_selectorELNS0_4arch9wavefront6targetE1EEEvT1_.kd
    .uniform_work_group_size: 1
    .uses_dynamic_stack: false
    .vgpr_count:     0
    .vgpr_spill_count: 0
    .wavefront_size: 64
  - .agpr_count:     0
    .args:
      - .offset:         0
        .size:           112
        .value_kind:     by_value
    .group_segment_fixed_size: 16384
    .kernarg_segment_align: 8
    .kernarg_segment_size: 112
    .language:       OpenCL C
    .language_version:
      - 2
      - 0
    .max_flat_workgroup_size: 256
    .name:           _ZN7rocprim17ROCPRIM_400000_NS6detail17trampoline_kernelINS0_14default_configENS1_27scan_by_key_config_selectorIiiEEZZNS1_16scan_by_key_implILNS1_25lookback_scan_determinismE0ELb0ES3_N6thrust23THRUST_200600_302600_NS6detail15normal_iteratorINS9_10device_ptrIiEEEESE_SE_iNS9_4plusIvEENS9_8equal_toIvEEiEE10hipError_tPvRmT2_T3_T4_T5_mT6_T7_P12ihipStream_tbENKUlT_T0_E_clISt17integral_constantIbLb0EESZ_EEDaSU_SV_EUlSU_E_NS1_11comp_targetILNS1_3genE4ELNS1_11target_archE910ELNS1_3gpuE8ELNS1_3repE0EEENS1_30default_config_static_selectorELNS0_4arch9wavefront6targetE1EEEvT1_
    .private_segment_fixed_size: 0
    .sgpr_count:     65
    .sgpr_spill_count: 0
    .symbol:         _ZN7rocprim17ROCPRIM_400000_NS6detail17trampoline_kernelINS0_14default_configENS1_27scan_by_key_config_selectorIiiEEZZNS1_16scan_by_key_implILNS1_25lookback_scan_determinismE0ELb0ES3_N6thrust23THRUST_200600_302600_NS6detail15normal_iteratorINS9_10device_ptrIiEEEESE_SE_iNS9_4plusIvEENS9_8equal_toIvEEiEE10hipError_tPvRmT2_T3_T4_T5_mT6_T7_P12ihipStream_tbENKUlT_T0_E_clISt17integral_constantIbLb0EESZ_EEDaSU_SV_EUlSU_E_NS1_11comp_targetILNS1_3genE4ELNS1_11target_archE910ELNS1_3gpuE8ELNS1_3repE0EEENS1_30default_config_static_selectorELNS0_4arch9wavefront6targetE1EEEvT1_.kd
    .uniform_work_group_size: 1
    .uses_dynamic_stack: false
    .vgpr_count:     65
    .vgpr_spill_count: 0
    .wavefront_size: 64
  - .agpr_count:     0
    .args:
      - .offset:         0
        .size:           112
        .value_kind:     by_value
    .group_segment_fixed_size: 0
    .kernarg_segment_align: 8
    .kernarg_segment_size: 112
    .language:       OpenCL C
    .language_version:
      - 2
      - 0
    .max_flat_workgroup_size: 256
    .name:           _ZN7rocprim17ROCPRIM_400000_NS6detail17trampoline_kernelINS0_14default_configENS1_27scan_by_key_config_selectorIiiEEZZNS1_16scan_by_key_implILNS1_25lookback_scan_determinismE0ELb0ES3_N6thrust23THRUST_200600_302600_NS6detail15normal_iteratorINS9_10device_ptrIiEEEESE_SE_iNS9_4plusIvEENS9_8equal_toIvEEiEE10hipError_tPvRmT2_T3_T4_T5_mT6_T7_P12ihipStream_tbENKUlT_T0_E_clISt17integral_constantIbLb0EESZ_EEDaSU_SV_EUlSU_E_NS1_11comp_targetILNS1_3genE3ELNS1_11target_archE908ELNS1_3gpuE7ELNS1_3repE0EEENS1_30default_config_static_selectorELNS0_4arch9wavefront6targetE1EEEvT1_
    .private_segment_fixed_size: 0
    .sgpr_count:     4
    .sgpr_spill_count: 0
    .symbol:         _ZN7rocprim17ROCPRIM_400000_NS6detail17trampoline_kernelINS0_14default_configENS1_27scan_by_key_config_selectorIiiEEZZNS1_16scan_by_key_implILNS1_25lookback_scan_determinismE0ELb0ES3_N6thrust23THRUST_200600_302600_NS6detail15normal_iteratorINS9_10device_ptrIiEEEESE_SE_iNS9_4plusIvEENS9_8equal_toIvEEiEE10hipError_tPvRmT2_T3_T4_T5_mT6_T7_P12ihipStream_tbENKUlT_T0_E_clISt17integral_constantIbLb0EESZ_EEDaSU_SV_EUlSU_E_NS1_11comp_targetILNS1_3genE3ELNS1_11target_archE908ELNS1_3gpuE7ELNS1_3repE0EEENS1_30default_config_static_selectorELNS0_4arch9wavefront6targetE1EEEvT1_.kd
    .uniform_work_group_size: 1
    .uses_dynamic_stack: false
    .vgpr_count:     0
    .vgpr_spill_count: 0
    .wavefront_size: 64
  - .agpr_count:     0
    .args:
      - .offset:         0
        .size:           112
        .value_kind:     by_value
    .group_segment_fixed_size: 0
    .kernarg_segment_align: 8
    .kernarg_segment_size: 112
    .language:       OpenCL C
    .language_version:
      - 2
      - 0
    .max_flat_workgroup_size: 256
    .name:           _ZN7rocprim17ROCPRIM_400000_NS6detail17trampoline_kernelINS0_14default_configENS1_27scan_by_key_config_selectorIiiEEZZNS1_16scan_by_key_implILNS1_25lookback_scan_determinismE0ELb0ES3_N6thrust23THRUST_200600_302600_NS6detail15normal_iteratorINS9_10device_ptrIiEEEESE_SE_iNS9_4plusIvEENS9_8equal_toIvEEiEE10hipError_tPvRmT2_T3_T4_T5_mT6_T7_P12ihipStream_tbENKUlT_T0_E_clISt17integral_constantIbLb0EESZ_EEDaSU_SV_EUlSU_E_NS1_11comp_targetILNS1_3genE2ELNS1_11target_archE906ELNS1_3gpuE6ELNS1_3repE0EEENS1_30default_config_static_selectorELNS0_4arch9wavefront6targetE1EEEvT1_
    .private_segment_fixed_size: 0
    .sgpr_count:     4
    .sgpr_spill_count: 0
    .symbol:         _ZN7rocprim17ROCPRIM_400000_NS6detail17trampoline_kernelINS0_14default_configENS1_27scan_by_key_config_selectorIiiEEZZNS1_16scan_by_key_implILNS1_25lookback_scan_determinismE0ELb0ES3_N6thrust23THRUST_200600_302600_NS6detail15normal_iteratorINS9_10device_ptrIiEEEESE_SE_iNS9_4plusIvEENS9_8equal_toIvEEiEE10hipError_tPvRmT2_T3_T4_T5_mT6_T7_P12ihipStream_tbENKUlT_T0_E_clISt17integral_constantIbLb0EESZ_EEDaSU_SV_EUlSU_E_NS1_11comp_targetILNS1_3genE2ELNS1_11target_archE906ELNS1_3gpuE6ELNS1_3repE0EEENS1_30default_config_static_selectorELNS0_4arch9wavefront6targetE1EEEvT1_.kd
    .uniform_work_group_size: 1
    .uses_dynamic_stack: false
    .vgpr_count:     0
    .vgpr_spill_count: 0
    .wavefront_size: 64
  - .agpr_count:     0
    .args:
      - .offset:         0
        .size:           112
        .value_kind:     by_value
    .group_segment_fixed_size: 0
    .kernarg_segment_align: 8
    .kernarg_segment_size: 112
    .language:       OpenCL C
    .language_version:
      - 2
      - 0
    .max_flat_workgroup_size: 256
    .name:           _ZN7rocprim17ROCPRIM_400000_NS6detail17trampoline_kernelINS0_14default_configENS1_27scan_by_key_config_selectorIiiEEZZNS1_16scan_by_key_implILNS1_25lookback_scan_determinismE0ELb0ES3_N6thrust23THRUST_200600_302600_NS6detail15normal_iteratorINS9_10device_ptrIiEEEESE_SE_iNS9_4plusIvEENS9_8equal_toIvEEiEE10hipError_tPvRmT2_T3_T4_T5_mT6_T7_P12ihipStream_tbENKUlT_T0_E_clISt17integral_constantIbLb0EESZ_EEDaSU_SV_EUlSU_E_NS1_11comp_targetILNS1_3genE10ELNS1_11target_archE1200ELNS1_3gpuE4ELNS1_3repE0EEENS1_30default_config_static_selectorELNS0_4arch9wavefront6targetE1EEEvT1_
    .private_segment_fixed_size: 0
    .sgpr_count:     4
    .sgpr_spill_count: 0
    .symbol:         _ZN7rocprim17ROCPRIM_400000_NS6detail17trampoline_kernelINS0_14default_configENS1_27scan_by_key_config_selectorIiiEEZZNS1_16scan_by_key_implILNS1_25lookback_scan_determinismE0ELb0ES3_N6thrust23THRUST_200600_302600_NS6detail15normal_iteratorINS9_10device_ptrIiEEEESE_SE_iNS9_4plusIvEENS9_8equal_toIvEEiEE10hipError_tPvRmT2_T3_T4_T5_mT6_T7_P12ihipStream_tbENKUlT_T0_E_clISt17integral_constantIbLb0EESZ_EEDaSU_SV_EUlSU_E_NS1_11comp_targetILNS1_3genE10ELNS1_11target_archE1200ELNS1_3gpuE4ELNS1_3repE0EEENS1_30default_config_static_selectorELNS0_4arch9wavefront6targetE1EEEvT1_.kd
    .uniform_work_group_size: 1
    .uses_dynamic_stack: false
    .vgpr_count:     0
    .vgpr_spill_count: 0
    .wavefront_size: 64
  - .agpr_count:     0
    .args:
      - .offset:         0
        .size:           112
        .value_kind:     by_value
    .group_segment_fixed_size: 0
    .kernarg_segment_align: 8
    .kernarg_segment_size: 112
    .language:       OpenCL C
    .language_version:
      - 2
      - 0
    .max_flat_workgroup_size: 256
    .name:           _ZN7rocprim17ROCPRIM_400000_NS6detail17trampoline_kernelINS0_14default_configENS1_27scan_by_key_config_selectorIiiEEZZNS1_16scan_by_key_implILNS1_25lookback_scan_determinismE0ELb0ES3_N6thrust23THRUST_200600_302600_NS6detail15normal_iteratorINS9_10device_ptrIiEEEESE_SE_iNS9_4plusIvEENS9_8equal_toIvEEiEE10hipError_tPvRmT2_T3_T4_T5_mT6_T7_P12ihipStream_tbENKUlT_T0_E_clISt17integral_constantIbLb0EESZ_EEDaSU_SV_EUlSU_E_NS1_11comp_targetILNS1_3genE9ELNS1_11target_archE1100ELNS1_3gpuE3ELNS1_3repE0EEENS1_30default_config_static_selectorELNS0_4arch9wavefront6targetE1EEEvT1_
    .private_segment_fixed_size: 0
    .sgpr_count:     4
    .sgpr_spill_count: 0
    .symbol:         _ZN7rocprim17ROCPRIM_400000_NS6detail17trampoline_kernelINS0_14default_configENS1_27scan_by_key_config_selectorIiiEEZZNS1_16scan_by_key_implILNS1_25lookback_scan_determinismE0ELb0ES3_N6thrust23THRUST_200600_302600_NS6detail15normal_iteratorINS9_10device_ptrIiEEEESE_SE_iNS9_4plusIvEENS9_8equal_toIvEEiEE10hipError_tPvRmT2_T3_T4_T5_mT6_T7_P12ihipStream_tbENKUlT_T0_E_clISt17integral_constantIbLb0EESZ_EEDaSU_SV_EUlSU_E_NS1_11comp_targetILNS1_3genE9ELNS1_11target_archE1100ELNS1_3gpuE3ELNS1_3repE0EEENS1_30default_config_static_selectorELNS0_4arch9wavefront6targetE1EEEvT1_.kd
    .uniform_work_group_size: 1
    .uses_dynamic_stack: false
    .vgpr_count:     0
    .vgpr_spill_count: 0
    .wavefront_size: 64
  - .agpr_count:     0
    .args:
      - .offset:         0
        .size:           112
        .value_kind:     by_value
    .group_segment_fixed_size: 0
    .kernarg_segment_align: 8
    .kernarg_segment_size: 112
    .language:       OpenCL C
    .language_version:
      - 2
      - 0
    .max_flat_workgroup_size: 256
    .name:           _ZN7rocprim17ROCPRIM_400000_NS6detail17trampoline_kernelINS0_14default_configENS1_27scan_by_key_config_selectorIiiEEZZNS1_16scan_by_key_implILNS1_25lookback_scan_determinismE0ELb0ES3_N6thrust23THRUST_200600_302600_NS6detail15normal_iteratorINS9_10device_ptrIiEEEESE_SE_iNS9_4plusIvEENS9_8equal_toIvEEiEE10hipError_tPvRmT2_T3_T4_T5_mT6_T7_P12ihipStream_tbENKUlT_T0_E_clISt17integral_constantIbLb0EESZ_EEDaSU_SV_EUlSU_E_NS1_11comp_targetILNS1_3genE8ELNS1_11target_archE1030ELNS1_3gpuE2ELNS1_3repE0EEENS1_30default_config_static_selectorELNS0_4arch9wavefront6targetE1EEEvT1_
    .private_segment_fixed_size: 0
    .sgpr_count:     4
    .sgpr_spill_count: 0
    .symbol:         _ZN7rocprim17ROCPRIM_400000_NS6detail17trampoline_kernelINS0_14default_configENS1_27scan_by_key_config_selectorIiiEEZZNS1_16scan_by_key_implILNS1_25lookback_scan_determinismE0ELb0ES3_N6thrust23THRUST_200600_302600_NS6detail15normal_iteratorINS9_10device_ptrIiEEEESE_SE_iNS9_4plusIvEENS9_8equal_toIvEEiEE10hipError_tPvRmT2_T3_T4_T5_mT6_T7_P12ihipStream_tbENKUlT_T0_E_clISt17integral_constantIbLb0EESZ_EEDaSU_SV_EUlSU_E_NS1_11comp_targetILNS1_3genE8ELNS1_11target_archE1030ELNS1_3gpuE2ELNS1_3repE0EEENS1_30default_config_static_selectorELNS0_4arch9wavefront6targetE1EEEvT1_.kd
    .uniform_work_group_size: 1
    .uses_dynamic_stack: false
    .vgpr_count:     0
    .vgpr_spill_count: 0
    .wavefront_size: 64
  - .agpr_count:     0
    .args:
      - .address_space:  global
        .offset:         0
        .size:           8
        .value_kind:     global_buffer
      - .offset:         8
        .size:           4
        .value_kind:     by_value
      - .offset:         12
        .size:           4
        .value_kind:     by_value
      - .address_space:  global
        .offset:         16
        .size:           8
        .value_kind:     global_buffer
      - .address_space:  global
        .offset:         24
        .size:           8
        .value_kind:     global_buffer
      - .actual_access:  write_only
        .address_space:  global
        .offset:         32
        .size:           8
        .value_kind:     global_buffer
      - .offset:         40
        .size:           8
        .value_kind:     by_value
      - .offset:         48
        .size:           4
        .value_kind:     by_value
      - .address_space:  global
        .offset:         56
        .size:           8
        .value_kind:     global_buffer
      - .offset:         64
        .size:           4
        .value_kind:     hidden_block_count_x
      - .offset:         68
        .size:           4
        .value_kind:     hidden_block_count_y
      - .offset:         72
        .size:           4
        .value_kind:     hidden_block_count_z
      - .offset:         76
        .size:           2
        .value_kind:     hidden_group_size_x
      - .offset:         78
        .size:           2
        .value_kind:     hidden_group_size_y
      - .offset:         80
        .size:           2
        .value_kind:     hidden_group_size_z
      - .offset:         82
        .size:           2
        .value_kind:     hidden_remainder_x
      - .offset:         84
        .size:           2
        .value_kind:     hidden_remainder_y
      - .offset:         86
        .size:           2
        .value_kind:     hidden_remainder_z
      - .offset:         104
        .size:           8
        .value_kind:     hidden_global_offset_x
      - .offset:         112
        .size:           8
        .value_kind:     hidden_global_offset_y
      - .offset:         120
        .size:           8
        .value_kind:     hidden_global_offset_z
      - .offset:         128
        .size:           2
        .value_kind:     hidden_grid_dims
    .group_segment_fixed_size: 0
    .kernarg_segment_align: 8
    .kernarg_segment_size: 320
    .language:       OpenCL C
    .language_version:
      - 2
      - 0
    .max_flat_workgroup_size: 256
    .name:           _ZN7rocprim17ROCPRIM_400000_NS6detail30init_device_scan_by_key_kernelINS1_19lookback_scan_stateINS0_5tupleIJibEEELb1ELb1EEEN6thrust23THRUST_200600_302600_NS6detail15normal_iteratorINS8_10device_ptrIiEEEEjNS1_16block_id_wrapperIjLb1EEEEEvT_jjPNSG_10value_typeET0_PNSt15iterator_traitsISJ_E10value_typeEmT1_T2_
    .private_segment_fixed_size: 0
    .sgpr_count:     24
    .sgpr_spill_count: 0
    .symbol:         _ZN7rocprim17ROCPRIM_400000_NS6detail30init_device_scan_by_key_kernelINS1_19lookback_scan_stateINS0_5tupleIJibEEELb1ELb1EEEN6thrust23THRUST_200600_302600_NS6detail15normal_iteratorINS8_10device_ptrIiEEEEjNS1_16block_id_wrapperIjLb1EEEEEvT_jjPNSG_10value_typeET0_PNSt15iterator_traitsISJ_E10value_typeEmT1_T2_.kd
    .uniform_work_group_size: 1
    .uses_dynamic_stack: false
    .vgpr_count:     10
    .vgpr_spill_count: 0
    .wavefront_size: 64
  - .agpr_count:     0
    .args:
      - .address_space:  global
        .offset:         0
        .size:           8
        .value_kind:     global_buffer
      - .offset:         8
        .size:           4
        .value_kind:     by_value
      - .offset:         12
        .size:           4
        .value_kind:     by_value
      - .address_space:  global
        .offset:         16
        .size:           8
        .value_kind:     global_buffer
      - .address_space:  global
        .offset:         24
        .size:           8
        .value_kind:     global_buffer
      - .offset:         32
        .size:           4
        .value_kind:     hidden_block_count_x
      - .offset:         36
        .size:           4
        .value_kind:     hidden_block_count_y
      - .offset:         40
        .size:           4
        .value_kind:     hidden_block_count_z
      - .offset:         44
        .size:           2
        .value_kind:     hidden_group_size_x
      - .offset:         46
        .size:           2
        .value_kind:     hidden_group_size_y
      - .offset:         48
        .size:           2
        .value_kind:     hidden_group_size_z
      - .offset:         50
        .size:           2
        .value_kind:     hidden_remainder_x
      - .offset:         52
        .size:           2
        .value_kind:     hidden_remainder_y
      - .offset:         54
        .size:           2
        .value_kind:     hidden_remainder_z
      - .offset:         72
        .size:           8
        .value_kind:     hidden_global_offset_x
      - .offset:         80
        .size:           8
        .value_kind:     hidden_global_offset_y
      - .offset:         88
        .size:           8
        .value_kind:     hidden_global_offset_z
      - .offset:         96
        .size:           2
        .value_kind:     hidden_grid_dims
    .group_segment_fixed_size: 0
    .kernarg_segment_align: 8
    .kernarg_segment_size: 288
    .language:       OpenCL C
    .language_version:
      - 2
      - 0
    .max_flat_workgroup_size: 256
    .name:           _ZN7rocprim17ROCPRIM_400000_NS6detail30init_device_scan_by_key_kernelINS1_19lookback_scan_stateINS0_5tupleIJibEEELb1ELb1EEENS1_16block_id_wrapperIjLb1EEEEEvT_jjPNS9_10value_typeET0_
    .private_segment_fixed_size: 0
    .sgpr_count:     20
    .sgpr_spill_count: 0
    .symbol:         _ZN7rocprim17ROCPRIM_400000_NS6detail30init_device_scan_by_key_kernelINS1_19lookback_scan_stateINS0_5tupleIJibEEELb1ELb1EEENS1_16block_id_wrapperIjLb1EEEEEvT_jjPNS9_10value_typeET0_.kd
    .uniform_work_group_size: 1
    .uses_dynamic_stack: false
    .vgpr_count:     10
    .vgpr_spill_count: 0
    .wavefront_size: 64
  - .agpr_count:     0
    .args:
      - .offset:         0
        .size:           112
        .value_kind:     by_value
    .group_segment_fixed_size: 0
    .kernarg_segment_align: 8
    .kernarg_segment_size: 112
    .language:       OpenCL C
    .language_version:
      - 2
      - 0
    .max_flat_workgroup_size: 256
    .name:           _ZN7rocprim17ROCPRIM_400000_NS6detail17trampoline_kernelINS0_14default_configENS1_27scan_by_key_config_selectorIiiEEZZNS1_16scan_by_key_implILNS1_25lookback_scan_determinismE0ELb0ES3_N6thrust23THRUST_200600_302600_NS6detail15normal_iteratorINS9_10device_ptrIiEEEESE_SE_iNS9_4plusIvEENS9_8equal_toIvEEiEE10hipError_tPvRmT2_T3_T4_T5_mT6_T7_P12ihipStream_tbENKUlT_T0_E_clISt17integral_constantIbLb1EESZ_EEDaSU_SV_EUlSU_E_NS1_11comp_targetILNS1_3genE0ELNS1_11target_archE4294967295ELNS1_3gpuE0ELNS1_3repE0EEENS1_30default_config_static_selectorELNS0_4arch9wavefront6targetE1EEEvT1_
    .private_segment_fixed_size: 0
    .sgpr_count:     4
    .sgpr_spill_count: 0
    .symbol:         _ZN7rocprim17ROCPRIM_400000_NS6detail17trampoline_kernelINS0_14default_configENS1_27scan_by_key_config_selectorIiiEEZZNS1_16scan_by_key_implILNS1_25lookback_scan_determinismE0ELb0ES3_N6thrust23THRUST_200600_302600_NS6detail15normal_iteratorINS9_10device_ptrIiEEEESE_SE_iNS9_4plusIvEENS9_8equal_toIvEEiEE10hipError_tPvRmT2_T3_T4_T5_mT6_T7_P12ihipStream_tbENKUlT_T0_E_clISt17integral_constantIbLb1EESZ_EEDaSU_SV_EUlSU_E_NS1_11comp_targetILNS1_3genE0ELNS1_11target_archE4294967295ELNS1_3gpuE0ELNS1_3repE0EEENS1_30default_config_static_selectorELNS0_4arch9wavefront6targetE1EEEvT1_.kd
    .uniform_work_group_size: 1
    .uses_dynamic_stack: false
    .vgpr_count:     0
    .vgpr_spill_count: 0
    .wavefront_size: 64
  - .agpr_count:     0
    .args:
      - .offset:         0
        .size:           112
        .value_kind:     by_value
    .group_segment_fixed_size: 0
    .kernarg_segment_align: 8
    .kernarg_segment_size: 112
    .language:       OpenCL C
    .language_version:
      - 2
      - 0
    .max_flat_workgroup_size: 256
    .name:           _ZN7rocprim17ROCPRIM_400000_NS6detail17trampoline_kernelINS0_14default_configENS1_27scan_by_key_config_selectorIiiEEZZNS1_16scan_by_key_implILNS1_25lookback_scan_determinismE0ELb0ES3_N6thrust23THRUST_200600_302600_NS6detail15normal_iteratorINS9_10device_ptrIiEEEESE_SE_iNS9_4plusIvEENS9_8equal_toIvEEiEE10hipError_tPvRmT2_T3_T4_T5_mT6_T7_P12ihipStream_tbENKUlT_T0_E_clISt17integral_constantIbLb1EESZ_EEDaSU_SV_EUlSU_E_NS1_11comp_targetILNS1_3genE10ELNS1_11target_archE1201ELNS1_3gpuE5ELNS1_3repE0EEENS1_30default_config_static_selectorELNS0_4arch9wavefront6targetE1EEEvT1_
    .private_segment_fixed_size: 0
    .sgpr_count:     4
    .sgpr_spill_count: 0
    .symbol:         _ZN7rocprim17ROCPRIM_400000_NS6detail17trampoline_kernelINS0_14default_configENS1_27scan_by_key_config_selectorIiiEEZZNS1_16scan_by_key_implILNS1_25lookback_scan_determinismE0ELb0ES3_N6thrust23THRUST_200600_302600_NS6detail15normal_iteratorINS9_10device_ptrIiEEEESE_SE_iNS9_4plusIvEENS9_8equal_toIvEEiEE10hipError_tPvRmT2_T3_T4_T5_mT6_T7_P12ihipStream_tbENKUlT_T0_E_clISt17integral_constantIbLb1EESZ_EEDaSU_SV_EUlSU_E_NS1_11comp_targetILNS1_3genE10ELNS1_11target_archE1201ELNS1_3gpuE5ELNS1_3repE0EEENS1_30default_config_static_selectorELNS0_4arch9wavefront6targetE1EEEvT1_.kd
    .uniform_work_group_size: 1
    .uses_dynamic_stack: false
    .vgpr_count:     0
    .vgpr_spill_count: 0
    .wavefront_size: 64
  - .agpr_count:     0
    .args:
      - .offset:         0
        .size:           112
        .value_kind:     by_value
    .group_segment_fixed_size: 0
    .kernarg_segment_align: 8
    .kernarg_segment_size: 112
    .language:       OpenCL C
    .language_version:
      - 2
      - 0
    .max_flat_workgroup_size: 256
    .name:           _ZN7rocprim17ROCPRIM_400000_NS6detail17trampoline_kernelINS0_14default_configENS1_27scan_by_key_config_selectorIiiEEZZNS1_16scan_by_key_implILNS1_25lookback_scan_determinismE0ELb0ES3_N6thrust23THRUST_200600_302600_NS6detail15normal_iteratorINS9_10device_ptrIiEEEESE_SE_iNS9_4plusIvEENS9_8equal_toIvEEiEE10hipError_tPvRmT2_T3_T4_T5_mT6_T7_P12ihipStream_tbENKUlT_T0_E_clISt17integral_constantIbLb1EESZ_EEDaSU_SV_EUlSU_E_NS1_11comp_targetILNS1_3genE5ELNS1_11target_archE942ELNS1_3gpuE9ELNS1_3repE0EEENS1_30default_config_static_selectorELNS0_4arch9wavefront6targetE1EEEvT1_
    .private_segment_fixed_size: 0
    .sgpr_count:     4
    .sgpr_spill_count: 0
    .symbol:         _ZN7rocprim17ROCPRIM_400000_NS6detail17trampoline_kernelINS0_14default_configENS1_27scan_by_key_config_selectorIiiEEZZNS1_16scan_by_key_implILNS1_25lookback_scan_determinismE0ELb0ES3_N6thrust23THRUST_200600_302600_NS6detail15normal_iteratorINS9_10device_ptrIiEEEESE_SE_iNS9_4plusIvEENS9_8equal_toIvEEiEE10hipError_tPvRmT2_T3_T4_T5_mT6_T7_P12ihipStream_tbENKUlT_T0_E_clISt17integral_constantIbLb1EESZ_EEDaSU_SV_EUlSU_E_NS1_11comp_targetILNS1_3genE5ELNS1_11target_archE942ELNS1_3gpuE9ELNS1_3repE0EEENS1_30default_config_static_selectorELNS0_4arch9wavefront6targetE1EEEvT1_.kd
    .uniform_work_group_size: 1
    .uses_dynamic_stack: false
    .vgpr_count:     0
    .vgpr_spill_count: 0
    .wavefront_size: 64
  - .agpr_count:     0
    .args:
      - .offset:         0
        .size:           112
        .value_kind:     by_value
    .group_segment_fixed_size: 16384
    .kernarg_segment_align: 8
    .kernarg_segment_size: 112
    .language:       OpenCL C
    .language_version:
      - 2
      - 0
    .max_flat_workgroup_size: 256
    .name:           _ZN7rocprim17ROCPRIM_400000_NS6detail17trampoline_kernelINS0_14default_configENS1_27scan_by_key_config_selectorIiiEEZZNS1_16scan_by_key_implILNS1_25lookback_scan_determinismE0ELb0ES3_N6thrust23THRUST_200600_302600_NS6detail15normal_iteratorINS9_10device_ptrIiEEEESE_SE_iNS9_4plusIvEENS9_8equal_toIvEEiEE10hipError_tPvRmT2_T3_T4_T5_mT6_T7_P12ihipStream_tbENKUlT_T0_E_clISt17integral_constantIbLb1EESZ_EEDaSU_SV_EUlSU_E_NS1_11comp_targetILNS1_3genE4ELNS1_11target_archE910ELNS1_3gpuE8ELNS1_3repE0EEENS1_30default_config_static_selectorELNS0_4arch9wavefront6targetE1EEEvT1_
    .private_segment_fixed_size: 0
    .sgpr_count:     69
    .sgpr_spill_count: 0
    .symbol:         _ZN7rocprim17ROCPRIM_400000_NS6detail17trampoline_kernelINS0_14default_configENS1_27scan_by_key_config_selectorIiiEEZZNS1_16scan_by_key_implILNS1_25lookback_scan_determinismE0ELb0ES3_N6thrust23THRUST_200600_302600_NS6detail15normal_iteratorINS9_10device_ptrIiEEEESE_SE_iNS9_4plusIvEENS9_8equal_toIvEEiEE10hipError_tPvRmT2_T3_T4_T5_mT6_T7_P12ihipStream_tbENKUlT_T0_E_clISt17integral_constantIbLb1EESZ_EEDaSU_SV_EUlSU_E_NS1_11comp_targetILNS1_3genE4ELNS1_11target_archE910ELNS1_3gpuE8ELNS1_3repE0EEENS1_30default_config_static_selectorELNS0_4arch9wavefront6targetE1EEEvT1_.kd
    .uniform_work_group_size: 1
    .uses_dynamic_stack: false
    .vgpr_count:     65
    .vgpr_spill_count: 0
    .wavefront_size: 64
  - .agpr_count:     0
    .args:
      - .offset:         0
        .size:           112
        .value_kind:     by_value
    .group_segment_fixed_size: 0
    .kernarg_segment_align: 8
    .kernarg_segment_size: 112
    .language:       OpenCL C
    .language_version:
      - 2
      - 0
    .max_flat_workgroup_size: 256
    .name:           _ZN7rocprim17ROCPRIM_400000_NS6detail17trampoline_kernelINS0_14default_configENS1_27scan_by_key_config_selectorIiiEEZZNS1_16scan_by_key_implILNS1_25lookback_scan_determinismE0ELb0ES3_N6thrust23THRUST_200600_302600_NS6detail15normal_iteratorINS9_10device_ptrIiEEEESE_SE_iNS9_4plusIvEENS9_8equal_toIvEEiEE10hipError_tPvRmT2_T3_T4_T5_mT6_T7_P12ihipStream_tbENKUlT_T0_E_clISt17integral_constantIbLb1EESZ_EEDaSU_SV_EUlSU_E_NS1_11comp_targetILNS1_3genE3ELNS1_11target_archE908ELNS1_3gpuE7ELNS1_3repE0EEENS1_30default_config_static_selectorELNS0_4arch9wavefront6targetE1EEEvT1_
    .private_segment_fixed_size: 0
    .sgpr_count:     4
    .sgpr_spill_count: 0
    .symbol:         _ZN7rocprim17ROCPRIM_400000_NS6detail17trampoline_kernelINS0_14default_configENS1_27scan_by_key_config_selectorIiiEEZZNS1_16scan_by_key_implILNS1_25lookback_scan_determinismE0ELb0ES3_N6thrust23THRUST_200600_302600_NS6detail15normal_iteratorINS9_10device_ptrIiEEEESE_SE_iNS9_4plusIvEENS9_8equal_toIvEEiEE10hipError_tPvRmT2_T3_T4_T5_mT6_T7_P12ihipStream_tbENKUlT_T0_E_clISt17integral_constantIbLb1EESZ_EEDaSU_SV_EUlSU_E_NS1_11comp_targetILNS1_3genE3ELNS1_11target_archE908ELNS1_3gpuE7ELNS1_3repE0EEENS1_30default_config_static_selectorELNS0_4arch9wavefront6targetE1EEEvT1_.kd
    .uniform_work_group_size: 1
    .uses_dynamic_stack: false
    .vgpr_count:     0
    .vgpr_spill_count: 0
    .wavefront_size: 64
  - .agpr_count:     0
    .args:
      - .offset:         0
        .size:           112
        .value_kind:     by_value
    .group_segment_fixed_size: 0
    .kernarg_segment_align: 8
    .kernarg_segment_size: 112
    .language:       OpenCL C
    .language_version:
      - 2
      - 0
    .max_flat_workgroup_size: 256
    .name:           _ZN7rocprim17ROCPRIM_400000_NS6detail17trampoline_kernelINS0_14default_configENS1_27scan_by_key_config_selectorIiiEEZZNS1_16scan_by_key_implILNS1_25lookback_scan_determinismE0ELb0ES3_N6thrust23THRUST_200600_302600_NS6detail15normal_iteratorINS9_10device_ptrIiEEEESE_SE_iNS9_4plusIvEENS9_8equal_toIvEEiEE10hipError_tPvRmT2_T3_T4_T5_mT6_T7_P12ihipStream_tbENKUlT_T0_E_clISt17integral_constantIbLb1EESZ_EEDaSU_SV_EUlSU_E_NS1_11comp_targetILNS1_3genE2ELNS1_11target_archE906ELNS1_3gpuE6ELNS1_3repE0EEENS1_30default_config_static_selectorELNS0_4arch9wavefront6targetE1EEEvT1_
    .private_segment_fixed_size: 0
    .sgpr_count:     4
    .sgpr_spill_count: 0
    .symbol:         _ZN7rocprim17ROCPRIM_400000_NS6detail17trampoline_kernelINS0_14default_configENS1_27scan_by_key_config_selectorIiiEEZZNS1_16scan_by_key_implILNS1_25lookback_scan_determinismE0ELb0ES3_N6thrust23THRUST_200600_302600_NS6detail15normal_iteratorINS9_10device_ptrIiEEEESE_SE_iNS9_4plusIvEENS9_8equal_toIvEEiEE10hipError_tPvRmT2_T3_T4_T5_mT6_T7_P12ihipStream_tbENKUlT_T0_E_clISt17integral_constantIbLb1EESZ_EEDaSU_SV_EUlSU_E_NS1_11comp_targetILNS1_3genE2ELNS1_11target_archE906ELNS1_3gpuE6ELNS1_3repE0EEENS1_30default_config_static_selectorELNS0_4arch9wavefront6targetE1EEEvT1_.kd
    .uniform_work_group_size: 1
    .uses_dynamic_stack: false
    .vgpr_count:     0
    .vgpr_spill_count: 0
    .wavefront_size: 64
  - .agpr_count:     0
    .args:
      - .offset:         0
        .size:           112
        .value_kind:     by_value
    .group_segment_fixed_size: 0
    .kernarg_segment_align: 8
    .kernarg_segment_size: 112
    .language:       OpenCL C
    .language_version:
      - 2
      - 0
    .max_flat_workgroup_size: 256
    .name:           _ZN7rocprim17ROCPRIM_400000_NS6detail17trampoline_kernelINS0_14default_configENS1_27scan_by_key_config_selectorIiiEEZZNS1_16scan_by_key_implILNS1_25lookback_scan_determinismE0ELb0ES3_N6thrust23THRUST_200600_302600_NS6detail15normal_iteratorINS9_10device_ptrIiEEEESE_SE_iNS9_4plusIvEENS9_8equal_toIvEEiEE10hipError_tPvRmT2_T3_T4_T5_mT6_T7_P12ihipStream_tbENKUlT_T0_E_clISt17integral_constantIbLb1EESZ_EEDaSU_SV_EUlSU_E_NS1_11comp_targetILNS1_3genE10ELNS1_11target_archE1200ELNS1_3gpuE4ELNS1_3repE0EEENS1_30default_config_static_selectorELNS0_4arch9wavefront6targetE1EEEvT1_
    .private_segment_fixed_size: 0
    .sgpr_count:     4
    .sgpr_spill_count: 0
    .symbol:         _ZN7rocprim17ROCPRIM_400000_NS6detail17trampoline_kernelINS0_14default_configENS1_27scan_by_key_config_selectorIiiEEZZNS1_16scan_by_key_implILNS1_25lookback_scan_determinismE0ELb0ES3_N6thrust23THRUST_200600_302600_NS6detail15normal_iteratorINS9_10device_ptrIiEEEESE_SE_iNS9_4plusIvEENS9_8equal_toIvEEiEE10hipError_tPvRmT2_T3_T4_T5_mT6_T7_P12ihipStream_tbENKUlT_T0_E_clISt17integral_constantIbLb1EESZ_EEDaSU_SV_EUlSU_E_NS1_11comp_targetILNS1_3genE10ELNS1_11target_archE1200ELNS1_3gpuE4ELNS1_3repE0EEENS1_30default_config_static_selectorELNS0_4arch9wavefront6targetE1EEEvT1_.kd
    .uniform_work_group_size: 1
    .uses_dynamic_stack: false
    .vgpr_count:     0
    .vgpr_spill_count: 0
    .wavefront_size: 64
  - .agpr_count:     0
    .args:
      - .offset:         0
        .size:           112
        .value_kind:     by_value
    .group_segment_fixed_size: 0
    .kernarg_segment_align: 8
    .kernarg_segment_size: 112
    .language:       OpenCL C
    .language_version:
      - 2
      - 0
    .max_flat_workgroup_size: 256
    .name:           _ZN7rocprim17ROCPRIM_400000_NS6detail17trampoline_kernelINS0_14default_configENS1_27scan_by_key_config_selectorIiiEEZZNS1_16scan_by_key_implILNS1_25lookback_scan_determinismE0ELb0ES3_N6thrust23THRUST_200600_302600_NS6detail15normal_iteratorINS9_10device_ptrIiEEEESE_SE_iNS9_4plusIvEENS9_8equal_toIvEEiEE10hipError_tPvRmT2_T3_T4_T5_mT6_T7_P12ihipStream_tbENKUlT_T0_E_clISt17integral_constantIbLb1EESZ_EEDaSU_SV_EUlSU_E_NS1_11comp_targetILNS1_3genE9ELNS1_11target_archE1100ELNS1_3gpuE3ELNS1_3repE0EEENS1_30default_config_static_selectorELNS0_4arch9wavefront6targetE1EEEvT1_
    .private_segment_fixed_size: 0
    .sgpr_count:     4
    .sgpr_spill_count: 0
    .symbol:         _ZN7rocprim17ROCPRIM_400000_NS6detail17trampoline_kernelINS0_14default_configENS1_27scan_by_key_config_selectorIiiEEZZNS1_16scan_by_key_implILNS1_25lookback_scan_determinismE0ELb0ES3_N6thrust23THRUST_200600_302600_NS6detail15normal_iteratorINS9_10device_ptrIiEEEESE_SE_iNS9_4plusIvEENS9_8equal_toIvEEiEE10hipError_tPvRmT2_T3_T4_T5_mT6_T7_P12ihipStream_tbENKUlT_T0_E_clISt17integral_constantIbLb1EESZ_EEDaSU_SV_EUlSU_E_NS1_11comp_targetILNS1_3genE9ELNS1_11target_archE1100ELNS1_3gpuE3ELNS1_3repE0EEENS1_30default_config_static_selectorELNS0_4arch9wavefront6targetE1EEEvT1_.kd
    .uniform_work_group_size: 1
    .uses_dynamic_stack: false
    .vgpr_count:     0
    .vgpr_spill_count: 0
    .wavefront_size: 64
  - .agpr_count:     0
    .args:
      - .offset:         0
        .size:           112
        .value_kind:     by_value
    .group_segment_fixed_size: 0
    .kernarg_segment_align: 8
    .kernarg_segment_size: 112
    .language:       OpenCL C
    .language_version:
      - 2
      - 0
    .max_flat_workgroup_size: 256
    .name:           _ZN7rocprim17ROCPRIM_400000_NS6detail17trampoline_kernelINS0_14default_configENS1_27scan_by_key_config_selectorIiiEEZZNS1_16scan_by_key_implILNS1_25lookback_scan_determinismE0ELb0ES3_N6thrust23THRUST_200600_302600_NS6detail15normal_iteratorINS9_10device_ptrIiEEEESE_SE_iNS9_4plusIvEENS9_8equal_toIvEEiEE10hipError_tPvRmT2_T3_T4_T5_mT6_T7_P12ihipStream_tbENKUlT_T0_E_clISt17integral_constantIbLb1EESZ_EEDaSU_SV_EUlSU_E_NS1_11comp_targetILNS1_3genE8ELNS1_11target_archE1030ELNS1_3gpuE2ELNS1_3repE0EEENS1_30default_config_static_selectorELNS0_4arch9wavefront6targetE1EEEvT1_
    .private_segment_fixed_size: 0
    .sgpr_count:     4
    .sgpr_spill_count: 0
    .symbol:         _ZN7rocprim17ROCPRIM_400000_NS6detail17trampoline_kernelINS0_14default_configENS1_27scan_by_key_config_selectorIiiEEZZNS1_16scan_by_key_implILNS1_25lookback_scan_determinismE0ELb0ES3_N6thrust23THRUST_200600_302600_NS6detail15normal_iteratorINS9_10device_ptrIiEEEESE_SE_iNS9_4plusIvEENS9_8equal_toIvEEiEE10hipError_tPvRmT2_T3_T4_T5_mT6_T7_P12ihipStream_tbENKUlT_T0_E_clISt17integral_constantIbLb1EESZ_EEDaSU_SV_EUlSU_E_NS1_11comp_targetILNS1_3genE8ELNS1_11target_archE1030ELNS1_3gpuE2ELNS1_3repE0EEENS1_30default_config_static_selectorELNS0_4arch9wavefront6targetE1EEEvT1_.kd
    .uniform_work_group_size: 1
    .uses_dynamic_stack: false
    .vgpr_count:     0
    .vgpr_spill_count: 0
    .wavefront_size: 64
  - .agpr_count:     0
    .args:
      - .address_space:  global
        .offset:         0
        .size:           8
        .value_kind:     global_buffer
      - .offset:         8
        .size:           4
        .value_kind:     by_value
      - .offset:         12
        .size:           4
        .value_kind:     by_value
      - .address_space:  global
        .offset:         16
        .size:           8
        .value_kind:     global_buffer
      - .address_space:  global
        .offset:         24
        .size:           8
        .value_kind:     global_buffer
      - .actual_access:  write_only
        .address_space:  global
        .offset:         32
        .size:           8
        .value_kind:     global_buffer
      - .offset:         40
        .size:           8
        .value_kind:     by_value
      - .offset:         48
        .size:           4
        .value_kind:     by_value
      - .offset:         52
        .size:           1
        .value_kind:     by_value
      - .offset:         56
        .size:           4
        .value_kind:     hidden_block_count_x
      - .offset:         60
        .size:           4
        .value_kind:     hidden_block_count_y
      - .offset:         64
        .size:           4
        .value_kind:     hidden_block_count_z
      - .offset:         68
        .size:           2
        .value_kind:     hidden_group_size_x
      - .offset:         70
        .size:           2
        .value_kind:     hidden_group_size_y
      - .offset:         72
        .size:           2
        .value_kind:     hidden_group_size_z
      - .offset:         74
        .size:           2
        .value_kind:     hidden_remainder_x
      - .offset:         76
        .size:           2
        .value_kind:     hidden_remainder_y
      - .offset:         78
        .size:           2
        .value_kind:     hidden_remainder_z
      - .offset:         96
        .size:           8
        .value_kind:     hidden_global_offset_x
      - .offset:         104
        .size:           8
        .value_kind:     hidden_global_offset_y
      - .offset:         112
        .size:           8
        .value_kind:     hidden_global_offset_z
      - .offset:         120
        .size:           2
        .value_kind:     hidden_grid_dims
    .group_segment_fixed_size: 0
    .kernarg_segment_align: 8
    .kernarg_segment_size: 312
    .language:       OpenCL C
    .language_version:
      - 2
      - 0
    .max_flat_workgroup_size: 256
    .name:           _ZN7rocprim17ROCPRIM_400000_NS6detail30init_device_scan_by_key_kernelINS1_19lookback_scan_stateINS0_5tupleIJibEEELb1ELb1EEEN6thrust23THRUST_200600_302600_NS6detail15normal_iteratorINS8_10device_ptrIiEEEEjNS1_16block_id_wrapperIjLb0EEEEEvT_jjPNSG_10value_typeET0_PNSt15iterator_traitsISJ_E10value_typeEmT1_T2_
    .private_segment_fixed_size: 0
    .sgpr_count:     24
    .sgpr_spill_count: 0
    .symbol:         _ZN7rocprim17ROCPRIM_400000_NS6detail30init_device_scan_by_key_kernelINS1_19lookback_scan_stateINS0_5tupleIJibEEELb1ELb1EEEN6thrust23THRUST_200600_302600_NS6detail15normal_iteratorINS8_10device_ptrIiEEEEjNS1_16block_id_wrapperIjLb0EEEEEvT_jjPNSG_10value_typeET0_PNSt15iterator_traitsISJ_E10value_typeEmT1_T2_.kd
    .uniform_work_group_size: 1
    .uses_dynamic_stack: false
    .vgpr_count:     10
    .vgpr_spill_count: 0
    .wavefront_size: 64
  - .agpr_count:     0
    .args:
      - .address_space:  global
        .offset:         0
        .size:           8
        .value_kind:     global_buffer
      - .offset:         8
        .size:           4
        .value_kind:     by_value
      - .offset:         12
        .size:           4
        .value_kind:     by_value
      - .address_space:  global
        .offset:         16
        .size:           8
        .value_kind:     global_buffer
      - .offset:         24
        .size:           1
        .value_kind:     by_value
      - .offset:         32
        .size:           4
        .value_kind:     hidden_block_count_x
      - .offset:         36
        .size:           4
        .value_kind:     hidden_block_count_y
      - .offset:         40
        .size:           4
        .value_kind:     hidden_block_count_z
      - .offset:         44
        .size:           2
        .value_kind:     hidden_group_size_x
      - .offset:         46
        .size:           2
        .value_kind:     hidden_group_size_y
      - .offset:         48
        .size:           2
        .value_kind:     hidden_group_size_z
      - .offset:         50
        .size:           2
        .value_kind:     hidden_remainder_x
      - .offset:         52
        .size:           2
        .value_kind:     hidden_remainder_y
      - .offset:         54
        .size:           2
        .value_kind:     hidden_remainder_z
      - .offset:         72
        .size:           8
        .value_kind:     hidden_global_offset_x
      - .offset:         80
        .size:           8
        .value_kind:     hidden_global_offset_y
      - .offset:         88
        .size:           8
        .value_kind:     hidden_global_offset_z
      - .offset:         96
        .size:           2
        .value_kind:     hidden_grid_dims
    .group_segment_fixed_size: 0
    .kernarg_segment_align: 8
    .kernarg_segment_size: 288
    .language:       OpenCL C
    .language_version:
      - 2
      - 0
    .max_flat_workgroup_size: 256
    .name:           _ZN7rocprim17ROCPRIM_400000_NS6detail30init_device_scan_by_key_kernelINS1_19lookback_scan_stateINS0_5tupleIJibEEELb1ELb1EEENS1_16block_id_wrapperIjLb0EEEEEvT_jjPNS9_10value_typeET0_
    .private_segment_fixed_size: 0
    .sgpr_count:     18
    .sgpr_spill_count: 0
    .symbol:         _ZN7rocprim17ROCPRIM_400000_NS6detail30init_device_scan_by_key_kernelINS1_19lookback_scan_stateINS0_5tupleIJibEEELb1ELb1EEENS1_16block_id_wrapperIjLb0EEEEEvT_jjPNS9_10value_typeET0_.kd
    .uniform_work_group_size: 1
    .uses_dynamic_stack: false
    .vgpr_count:     10
    .vgpr_spill_count: 0
    .wavefront_size: 64
  - .agpr_count:     0
    .args:
      - .offset:         0
        .size:           112
        .value_kind:     by_value
    .group_segment_fixed_size: 0
    .kernarg_segment_align: 8
    .kernarg_segment_size: 112
    .language:       OpenCL C
    .language_version:
      - 2
      - 0
    .max_flat_workgroup_size: 256
    .name:           _ZN7rocprim17ROCPRIM_400000_NS6detail17trampoline_kernelINS0_14default_configENS1_27scan_by_key_config_selectorIiiEEZZNS1_16scan_by_key_implILNS1_25lookback_scan_determinismE0ELb0ES3_N6thrust23THRUST_200600_302600_NS6detail15normal_iteratorINS9_10device_ptrIiEEEESE_SE_iNS9_4plusIvEENS9_8equal_toIvEEiEE10hipError_tPvRmT2_T3_T4_T5_mT6_T7_P12ihipStream_tbENKUlT_T0_E_clISt17integral_constantIbLb1EESY_IbLb0EEEEDaSU_SV_EUlSU_E_NS1_11comp_targetILNS1_3genE0ELNS1_11target_archE4294967295ELNS1_3gpuE0ELNS1_3repE0EEENS1_30default_config_static_selectorELNS0_4arch9wavefront6targetE1EEEvT1_
    .private_segment_fixed_size: 0
    .sgpr_count:     4
    .sgpr_spill_count: 0
    .symbol:         _ZN7rocprim17ROCPRIM_400000_NS6detail17trampoline_kernelINS0_14default_configENS1_27scan_by_key_config_selectorIiiEEZZNS1_16scan_by_key_implILNS1_25lookback_scan_determinismE0ELb0ES3_N6thrust23THRUST_200600_302600_NS6detail15normal_iteratorINS9_10device_ptrIiEEEESE_SE_iNS9_4plusIvEENS9_8equal_toIvEEiEE10hipError_tPvRmT2_T3_T4_T5_mT6_T7_P12ihipStream_tbENKUlT_T0_E_clISt17integral_constantIbLb1EESY_IbLb0EEEEDaSU_SV_EUlSU_E_NS1_11comp_targetILNS1_3genE0ELNS1_11target_archE4294967295ELNS1_3gpuE0ELNS1_3repE0EEENS1_30default_config_static_selectorELNS0_4arch9wavefront6targetE1EEEvT1_.kd
    .uniform_work_group_size: 1
    .uses_dynamic_stack: false
    .vgpr_count:     0
    .vgpr_spill_count: 0
    .wavefront_size: 64
  - .agpr_count:     0
    .args:
      - .offset:         0
        .size:           112
        .value_kind:     by_value
    .group_segment_fixed_size: 0
    .kernarg_segment_align: 8
    .kernarg_segment_size: 112
    .language:       OpenCL C
    .language_version:
      - 2
      - 0
    .max_flat_workgroup_size: 256
    .name:           _ZN7rocprim17ROCPRIM_400000_NS6detail17trampoline_kernelINS0_14default_configENS1_27scan_by_key_config_selectorIiiEEZZNS1_16scan_by_key_implILNS1_25lookback_scan_determinismE0ELb0ES3_N6thrust23THRUST_200600_302600_NS6detail15normal_iteratorINS9_10device_ptrIiEEEESE_SE_iNS9_4plusIvEENS9_8equal_toIvEEiEE10hipError_tPvRmT2_T3_T4_T5_mT6_T7_P12ihipStream_tbENKUlT_T0_E_clISt17integral_constantIbLb1EESY_IbLb0EEEEDaSU_SV_EUlSU_E_NS1_11comp_targetILNS1_3genE10ELNS1_11target_archE1201ELNS1_3gpuE5ELNS1_3repE0EEENS1_30default_config_static_selectorELNS0_4arch9wavefront6targetE1EEEvT1_
    .private_segment_fixed_size: 0
    .sgpr_count:     4
    .sgpr_spill_count: 0
    .symbol:         _ZN7rocprim17ROCPRIM_400000_NS6detail17trampoline_kernelINS0_14default_configENS1_27scan_by_key_config_selectorIiiEEZZNS1_16scan_by_key_implILNS1_25lookback_scan_determinismE0ELb0ES3_N6thrust23THRUST_200600_302600_NS6detail15normal_iteratorINS9_10device_ptrIiEEEESE_SE_iNS9_4plusIvEENS9_8equal_toIvEEiEE10hipError_tPvRmT2_T3_T4_T5_mT6_T7_P12ihipStream_tbENKUlT_T0_E_clISt17integral_constantIbLb1EESY_IbLb0EEEEDaSU_SV_EUlSU_E_NS1_11comp_targetILNS1_3genE10ELNS1_11target_archE1201ELNS1_3gpuE5ELNS1_3repE0EEENS1_30default_config_static_selectorELNS0_4arch9wavefront6targetE1EEEvT1_.kd
    .uniform_work_group_size: 1
    .uses_dynamic_stack: false
    .vgpr_count:     0
    .vgpr_spill_count: 0
    .wavefront_size: 64
  - .agpr_count:     0
    .args:
      - .offset:         0
        .size:           112
        .value_kind:     by_value
    .group_segment_fixed_size: 0
    .kernarg_segment_align: 8
    .kernarg_segment_size: 112
    .language:       OpenCL C
    .language_version:
      - 2
      - 0
    .max_flat_workgroup_size: 256
    .name:           _ZN7rocprim17ROCPRIM_400000_NS6detail17trampoline_kernelINS0_14default_configENS1_27scan_by_key_config_selectorIiiEEZZNS1_16scan_by_key_implILNS1_25lookback_scan_determinismE0ELb0ES3_N6thrust23THRUST_200600_302600_NS6detail15normal_iteratorINS9_10device_ptrIiEEEESE_SE_iNS9_4plusIvEENS9_8equal_toIvEEiEE10hipError_tPvRmT2_T3_T4_T5_mT6_T7_P12ihipStream_tbENKUlT_T0_E_clISt17integral_constantIbLb1EESY_IbLb0EEEEDaSU_SV_EUlSU_E_NS1_11comp_targetILNS1_3genE5ELNS1_11target_archE942ELNS1_3gpuE9ELNS1_3repE0EEENS1_30default_config_static_selectorELNS0_4arch9wavefront6targetE1EEEvT1_
    .private_segment_fixed_size: 0
    .sgpr_count:     4
    .sgpr_spill_count: 0
    .symbol:         _ZN7rocprim17ROCPRIM_400000_NS6detail17trampoline_kernelINS0_14default_configENS1_27scan_by_key_config_selectorIiiEEZZNS1_16scan_by_key_implILNS1_25lookback_scan_determinismE0ELb0ES3_N6thrust23THRUST_200600_302600_NS6detail15normal_iteratorINS9_10device_ptrIiEEEESE_SE_iNS9_4plusIvEENS9_8equal_toIvEEiEE10hipError_tPvRmT2_T3_T4_T5_mT6_T7_P12ihipStream_tbENKUlT_T0_E_clISt17integral_constantIbLb1EESY_IbLb0EEEEDaSU_SV_EUlSU_E_NS1_11comp_targetILNS1_3genE5ELNS1_11target_archE942ELNS1_3gpuE9ELNS1_3repE0EEENS1_30default_config_static_selectorELNS0_4arch9wavefront6targetE1EEEvT1_.kd
    .uniform_work_group_size: 1
    .uses_dynamic_stack: false
    .vgpr_count:     0
    .vgpr_spill_count: 0
    .wavefront_size: 64
  - .agpr_count:     0
    .args:
      - .offset:         0
        .size:           112
        .value_kind:     by_value
    .group_segment_fixed_size: 16384
    .kernarg_segment_align: 8
    .kernarg_segment_size: 112
    .language:       OpenCL C
    .language_version:
      - 2
      - 0
    .max_flat_workgroup_size: 256
    .name:           _ZN7rocprim17ROCPRIM_400000_NS6detail17trampoline_kernelINS0_14default_configENS1_27scan_by_key_config_selectorIiiEEZZNS1_16scan_by_key_implILNS1_25lookback_scan_determinismE0ELb0ES3_N6thrust23THRUST_200600_302600_NS6detail15normal_iteratorINS9_10device_ptrIiEEEESE_SE_iNS9_4plusIvEENS9_8equal_toIvEEiEE10hipError_tPvRmT2_T3_T4_T5_mT6_T7_P12ihipStream_tbENKUlT_T0_E_clISt17integral_constantIbLb1EESY_IbLb0EEEEDaSU_SV_EUlSU_E_NS1_11comp_targetILNS1_3genE4ELNS1_11target_archE910ELNS1_3gpuE8ELNS1_3repE0EEENS1_30default_config_static_selectorELNS0_4arch9wavefront6targetE1EEEvT1_
    .private_segment_fixed_size: 0
    .sgpr_count:     65
    .sgpr_spill_count: 0
    .symbol:         _ZN7rocprim17ROCPRIM_400000_NS6detail17trampoline_kernelINS0_14default_configENS1_27scan_by_key_config_selectorIiiEEZZNS1_16scan_by_key_implILNS1_25lookback_scan_determinismE0ELb0ES3_N6thrust23THRUST_200600_302600_NS6detail15normal_iteratorINS9_10device_ptrIiEEEESE_SE_iNS9_4plusIvEENS9_8equal_toIvEEiEE10hipError_tPvRmT2_T3_T4_T5_mT6_T7_P12ihipStream_tbENKUlT_T0_E_clISt17integral_constantIbLb1EESY_IbLb0EEEEDaSU_SV_EUlSU_E_NS1_11comp_targetILNS1_3genE4ELNS1_11target_archE910ELNS1_3gpuE8ELNS1_3repE0EEENS1_30default_config_static_selectorELNS0_4arch9wavefront6targetE1EEEvT1_.kd
    .uniform_work_group_size: 1
    .uses_dynamic_stack: false
    .vgpr_count:     65
    .vgpr_spill_count: 0
    .wavefront_size: 64
  - .agpr_count:     0
    .args:
      - .offset:         0
        .size:           112
        .value_kind:     by_value
    .group_segment_fixed_size: 0
    .kernarg_segment_align: 8
    .kernarg_segment_size: 112
    .language:       OpenCL C
    .language_version:
      - 2
      - 0
    .max_flat_workgroup_size: 256
    .name:           _ZN7rocprim17ROCPRIM_400000_NS6detail17trampoline_kernelINS0_14default_configENS1_27scan_by_key_config_selectorIiiEEZZNS1_16scan_by_key_implILNS1_25lookback_scan_determinismE0ELb0ES3_N6thrust23THRUST_200600_302600_NS6detail15normal_iteratorINS9_10device_ptrIiEEEESE_SE_iNS9_4plusIvEENS9_8equal_toIvEEiEE10hipError_tPvRmT2_T3_T4_T5_mT6_T7_P12ihipStream_tbENKUlT_T0_E_clISt17integral_constantIbLb1EESY_IbLb0EEEEDaSU_SV_EUlSU_E_NS1_11comp_targetILNS1_3genE3ELNS1_11target_archE908ELNS1_3gpuE7ELNS1_3repE0EEENS1_30default_config_static_selectorELNS0_4arch9wavefront6targetE1EEEvT1_
    .private_segment_fixed_size: 0
    .sgpr_count:     4
    .sgpr_spill_count: 0
    .symbol:         _ZN7rocprim17ROCPRIM_400000_NS6detail17trampoline_kernelINS0_14default_configENS1_27scan_by_key_config_selectorIiiEEZZNS1_16scan_by_key_implILNS1_25lookback_scan_determinismE0ELb0ES3_N6thrust23THRUST_200600_302600_NS6detail15normal_iteratorINS9_10device_ptrIiEEEESE_SE_iNS9_4plusIvEENS9_8equal_toIvEEiEE10hipError_tPvRmT2_T3_T4_T5_mT6_T7_P12ihipStream_tbENKUlT_T0_E_clISt17integral_constantIbLb1EESY_IbLb0EEEEDaSU_SV_EUlSU_E_NS1_11comp_targetILNS1_3genE3ELNS1_11target_archE908ELNS1_3gpuE7ELNS1_3repE0EEENS1_30default_config_static_selectorELNS0_4arch9wavefront6targetE1EEEvT1_.kd
    .uniform_work_group_size: 1
    .uses_dynamic_stack: false
    .vgpr_count:     0
    .vgpr_spill_count: 0
    .wavefront_size: 64
  - .agpr_count:     0
    .args:
      - .offset:         0
        .size:           112
        .value_kind:     by_value
    .group_segment_fixed_size: 0
    .kernarg_segment_align: 8
    .kernarg_segment_size: 112
    .language:       OpenCL C
    .language_version:
      - 2
      - 0
    .max_flat_workgroup_size: 256
    .name:           _ZN7rocprim17ROCPRIM_400000_NS6detail17trampoline_kernelINS0_14default_configENS1_27scan_by_key_config_selectorIiiEEZZNS1_16scan_by_key_implILNS1_25lookback_scan_determinismE0ELb0ES3_N6thrust23THRUST_200600_302600_NS6detail15normal_iteratorINS9_10device_ptrIiEEEESE_SE_iNS9_4plusIvEENS9_8equal_toIvEEiEE10hipError_tPvRmT2_T3_T4_T5_mT6_T7_P12ihipStream_tbENKUlT_T0_E_clISt17integral_constantIbLb1EESY_IbLb0EEEEDaSU_SV_EUlSU_E_NS1_11comp_targetILNS1_3genE2ELNS1_11target_archE906ELNS1_3gpuE6ELNS1_3repE0EEENS1_30default_config_static_selectorELNS0_4arch9wavefront6targetE1EEEvT1_
    .private_segment_fixed_size: 0
    .sgpr_count:     4
    .sgpr_spill_count: 0
    .symbol:         _ZN7rocprim17ROCPRIM_400000_NS6detail17trampoline_kernelINS0_14default_configENS1_27scan_by_key_config_selectorIiiEEZZNS1_16scan_by_key_implILNS1_25lookback_scan_determinismE0ELb0ES3_N6thrust23THRUST_200600_302600_NS6detail15normal_iteratorINS9_10device_ptrIiEEEESE_SE_iNS9_4plusIvEENS9_8equal_toIvEEiEE10hipError_tPvRmT2_T3_T4_T5_mT6_T7_P12ihipStream_tbENKUlT_T0_E_clISt17integral_constantIbLb1EESY_IbLb0EEEEDaSU_SV_EUlSU_E_NS1_11comp_targetILNS1_3genE2ELNS1_11target_archE906ELNS1_3gpuE6ELNS1_3repE0EEENS1_30default_config_static_selectorELNS0_4arch9wavefront6targetE1EEEvT1_.kd
    .uniform_work_group_size: 1
    .uses_dynamic_stack: false
    .vgpr_count:     0
    .vgpr_spill_count: 0
    .wavefront_size: 64
  - .agpr_count:     0
    .args:
      - .offset:         0
        .size:           112
        .value_kind:     by_value
    .group_segment_fixed_size: 0
    .kernarg_segment_align: 8
    .kernarg_segment_size: 112
    .language:       OpenCL C
    .language_version:
      - 2
      - 0
    .max_flat_workgroup_size: 256
    .name:           _ZN7rocprim17ROCPRIM_400000_NS6detail17trampoline_kernelINS0_14default_configENS1_27scan_by_key_config_selectorIiiEEZZNS1_16scan_by_key_implILNS1_25lookback_scan_determinismE0ELb0ES3_N6thrust23THRUST_200600_302600_NS6detail15normal_iteratorINS9_10device_ptrIiEEEESE_SE_iNS9_4plusIvEENS9_8equal_toIvEEiEE10hipError_tPvRmT2_T3_T4_T5_mT6_T7_P12ihipStream_tbENKUlT_T0_E_clISt17integral_constantIbLb1EESY_IbLb0EEEEDaSU_SV_EUlSU_E_NS1_11comp_targetILNS1_3genE10ELNS1_11target_archE1200ELNS1_3gpuE4ELNS1_3repE0EEENS1_30default_config_static_selectorELNS0_4arch9wavefront6targetE1EEEvT1_
    .private_segment_fixed_size: 0
    .sgpr_count:     4
    .sgpr_spill_count: 0
    .symbol:         _ZN7rocprim17ROCPRIM_400000_NS6detail17trampoline_kernelINS0_14default_configENS1_27scan_by_key_config_selectorIiiEEZZNS1_16scan_by_key_implILNS1_25lookback_scan_determinismE0ELb0ES3_N6thrust23THRUST_200600_302600_NS6detail15normal_iteratorINS9_10device_ptrIiEEEESE_SE_iNS9_4plusIvEENS9_8equal_toIvEEiEE10hipError_tPvRmT2_T3_T4_T5_mT6_T7_P12ihipStream_tbENKUlT_T0_E_clISt17integral_constantIbLb1EESY_IbLb0EEEEDaSU_SV_EUlSU_E_NS1_11comp_targetILNS1_3genE10ELNS1_11target_archE1200ELNS1_3gpuE4ELNS1_3repE0EEENS1_30default_config_static_selectorELNS0_4arch9wavefront6targetE1EEEvT1_.kd
    .uniform_work_group_size: 1
    .uses_dynamic_stack: false
    .vgpr_count:     0
    .vgpr_spill_count: 0
    .wavefront_size: 64
  - .agpr_count:     0
    .args:
      - .offset:         0
        .size:           112
        .value_kind:     by_value
    .group_segment_fixed_size: 0
    .kernarg_segment_align: 8
    .kernarg_segment_size: 112
    .language:       OpenCL C
    .language_version:
      - 2
      - 0
    .max_flat_workgroup_size: 256
    .name:           _ZN7rocprim17ROCPRIM_400000_NS6detail17trampoline_kernelINS0_14default_configENS1_27scan_by_key_config_selectorIiiEEZZNS1_16scan_by_key_implILNS1_25lookback_scan_determinismE0ELb0ES3_N6thrust23THRUST_200600_302600_NS6detail15normal_iteratorINS9_10device_ptrIiEEEESE_SE_iNS9_4plusIvEENS9_8equal_toIvEEiEE10hipError_tPvRmT2_T3_T4_T5_mT6_T7_P12ihipStream_tbENKUlT_T0_E_clISt17integral_constantIbLb1EESY_IbLb0EEEEDaSU_SV_EUlSU_E_NS1_11comp_targetILNS1_3genE9ELNS1_11target_archE1100ELNS1_3gpuE3ELNS1_3repE0EEENS1_30default_config_static_selectorELNS0_4arch9wavefront6targetE1EEEvT1_
    .private_segment_fixed_size: 0
    .sgpr_count:     4
    .sgpr_spill_count: 0
    .symbol:         _ZN7rocprim17ROCPRIM_400000_NS6detail17trampoline_kernelINS0_14default_configENS1_27scan_by_key_config_selectorIiiEEZZNS1_16scan_by_key_implILNS1_25lookback_scan_determinismE0ELb0ES3_N6thrust23THRUST_200600_302600_NS6detail15normal_iteratorINS9_10device_ptrIiEEEESE_SE_iNS9_4plusIvEENS9_8equal_toIvEEiEE10hipError_tPvRmT2_T3_T4_T5_mT6_T7_P12ihipStream_tbENKUlT_T0_E_clISt17integral_constantIbLb1EESY_IbLb0EEEEDaSU_SV_EUlSU_E_NS1_11comp_targetILNS1_3genE9ELNS1_11target_archE1100ELNS1_3gpuE3ELNS1_3repE0EEENS1_30default_config_static_selectorELNS0_4arch9wavefront6targetE1EEEvT1_.kd
    .uniform_work_group_size: 1
    .uses_dynamic_stack: false
    .vgpr_count:     0
    .vgpr_spill_count: 0
    .wavefront_size: 64
  - .agpr_count:     0
    .args:
      - .offset:         0
        .size:           112
        .value_kind:     by_value
    .group_segment_fixed_size: 0
    .kernarg_segment_align: 8
    .kernarg_segment_size: 112
    .language:       OpenCL C
    .language_version:
      - 2
      - 0
    .max_flat_workgroup_size: 256
    .name:           _ZN7rocprim17ROCPRIM_400000_NS6detail17trampoline_kernelINS0_14default_configENS1_27scan_by_key_config_selectorIiiEEZZNS1_16scan_by_key_implILNS1_25lookback_scan_determinismE0ELb0ES3_N6thrust23THRUST_200600_302600_NS6detail15normal_iteratorINS9_10device_ptrIiEEEESE_SE_iNS9_4plusIvEENS9_8equal_toIvEEiEE10hipError_tPvRmT2_T3_T4_T5_mT6_T7_P12ihipStream_tbENKUlT_T0_E_clISt17integral_constantIbLb1EESY_IbLb0EEEEDaSU_SV_EUlSU_E_NS1_11comp_targetILNS1_3genE8ELNS1_11target_archE1030ELNS1_3gpuE2ELNS1_3repE0EEENS1_30default_config_static_selectorELNS0_4arch9wavefront6targetE1EEEvT1_
    .private_segment_fixed_size: 0
    .sgpr_count:     4
    .sgpr_spill_count: 0
    .symbol:         _ZN7rocprim17ROCPRIM_400000_NS6detail17trampoline_kernelINS0_14default_configENS1_27scan_by_key_config_selectorIiiEEZZNS1_16scan_by_key_implILNS1_25lookback_scan_determinismE0ELb0ES3_N6thrust23THRUST_200600_302600_NS6detail15normal_iteratorINS9_10device_ptrIiEEEESE_SE_iNS9_4plusIvEENS9_8equal_toIvEEiEE10hipError_tPvRmT2_T3_T4_T5_mT6_T7_P12ihipStream_tbENKUlT_T0_E_clISt17integral_constantIbLb1EESY_IbLb0EEEEDaSU_SV_EUlSU_E_NS1_11comp_targetILNS1_3genE8ELNS1_11target_archE1030ELNS1_3gpuE2ELNS1_3repE0EEENS1_30default_config_static_selectorELNS0_4arch9wavefront6targetE1EEEvT1_.kd
    .uniform_work_group_size: 1
    .uses_dynamic_stack: false
    .vgpr_count:     0
    .vgpr_spill_count: 0
    .wavefront_size: 64
  - .agpr_count:     0
    .args:
      - .address_space:  global
        .offset:         0
        .size:           8
        .value_kind:     global_buffer
      - .offset:         8
        .size:           4
        .value_kind:     by_value
      - .offset:         12
        .size:           4
        .value_kind:     by_value
      - .address_space:  global
        .offset:         16
        .size:           8
        .value_kind:     global_buffer
      - .address_space:  global
        .offset:         24
        .size:           8
        .value_kind:     global_buffer
      - .actual_access:  write_only
        .address_space:  global
        .offset:         32
        .size:           8
        .value_kind:     global_buffer
      - .offset:         40
        .size:           8
        .value_kind:     by_value
      - .offset:         48
        .size:           4
        .value_kind:     by_value
      - .address_space:  global
        .offset:         56
        .size:           8
        .value_kind:     global_buffer
      - .offset:         64
        .size:           4
        .value_kind:     hidden_block_count_x
      - .offset:         68
        .size:           4
        .value_kind:     hidden_block_count_y
      - .offset:         72
        .size:           4
        .value_kind:     hidden_block_count_z
      - .offset:         76
        .size:           2
        .value_kind:     hidden_group_size_x
      - .offset:         78
        .size:           2
        .value_kind:     hidden_group_size_y
      - .offset:         80
        .size:           2
        .value_kind:     hidden_group_size_z
      - .offset:         82
        .size:           2
        .value_kind:     hidden_remainder_x
      - .offset:         84
        .size:           2
        .value_kind:     hidden_remainder_y
      - .offset:         86
        .size:           2
        .value_kind:     hidden_remainder_z
      - .offset:         104
        .size:           8
        .value_kind:     hidden_global_offset_x
      - .offset:         112
        .size:           8
        .value_kind:     hidden_global_offset_y
      - .offset:         120
        .size:           8
        .value_kind:     hidden_global_offset_z
      - .offset:         128
        .size:           2
        .value_kind:     hidden_grid_dims
    .group_segment_fixed_size: 0
    .kernarg_segment_align: 8
    .kernarg_segment_size: 320
    .language:       OpenCL C
    .language_version:
      - 2
      - 0
    .max_flat_workgroup_size: 256
    .name:           _ZN7rocprim17ROCPRIM_400000_NS6detail30init_device_scan_by_key_kernelINS1_19lookback_scan_stateINS0_5tupleIJibEEELb0ELb1EEEN6thrust23THRUST_200600_302600_NS6detail15normal_iteratorINS8_10device_ptrIiEEEEjNS1_16block_id_wrapperIjLb1EEEEEvT_jjPNSG_10value_typeET0_PNSt15iterator_traitsISJ_E10value_typeEmT1_T2_
    .private_segment_fixed_size: 0
    .sgpr_count:     24
    .sgpr_spill_count: 0
    .symbol:         _ZN7rocprim17ROCPRIM_400000_NS6detail30init_device_scan_by_key_kernelINS1_19lookback_scan_stateINS0_5tupleIJibEEELb0ELb1EEEN6thrust23THRUST_200600_302600_NS6detail15normal_iteratorINS8_10device_ptrIiEEEEjNS1_16block_id_wrapperIjLb1EEEEEvT_jjPNSG_10value_typeET0_PNSt15iterator_traitsISJ_E10value_typeEmT1_T2_.kd
    .uniform_work_group_size: 1
    .uses_dynamic_stack: false
    .vgpr_count:     10
    .vgpr_spill_count: 0
    .wavefront_size: 64
  - .agpr_count:     0
    .args:
      - .address_space:  global
        .offset:         0
        .size:           8
        .value_kind:     global_buffer
      - .offset:         8
        .size:           4
        .value_kind:     by_value
      - .offset:         12
        .size:           4
        .value_kind:     by_value
      - .address_space:  global
        .offset:         16
        .size:           8
        .value_kind:     global_buffer
      - .address_space:  global
        .offset:         24
        .size:           8
        .value_kind:     global_buffer
      - .offset:         32
        .size:           4
        .value_kind:     hidden_block_count_x
      - .offset:         36
        .size:           4
        .value_kind:     hidden_block_count_y
      - .offset:         40
        .size:           4
        .value_kind:     hidden_block_count_z
      - .offset:         44
        .size:           2
        .value_kind:     hidden_group_size_x
      - .offset:         46
        .size:           2
        .value_kind:     hidden_group_size_y
      - .offset:         48
        .size:           2
        .value_kind:     hidden_group_size_z
      - .offset:         50
        .size:           2
        .value_kind:     hidden_remainder_x
      - .offset:         52
        .size:           2
        .value_kind:     hidden_remainder_y
      - .offset:         54
        .size:           2
        .value_kind:     hidden_remainder_z
      - .offset:         72
        .size:           8
        .value_kind:     hidden_global_offset_x
      - .offset:         80
        .size:           8
        .value_kind:     hidden_global_offset_y
      - .offset:         88
        .size:           8
        .value_kind:     hidden_global_offset_z
      - .offset:         96
        .size:           2
        .value_kind:     hidden_grid_dims
    .group_segment_fixed_size: 0
    .kernarg_segment_align: 8
    .kernarg_segment_size: 288
    .language:       OpenCL C
    .language_version:
      - 2
      - 0
    .max_flat_workgroup_size: 256
    .name:           _ZN7rocprim17ROCPRIM_400000_NS6detail30init_device_scan_by_key_kernelINS1_19lookback_scan_stateINS0_5tupleIJibEEELb0ELb1EEENS1_16block_id_wrapperIjLb1EEEEEvT_jjPNS9_10value_typeET0_
    .private_segment_fixed_size: 0
    .sgpr_count:     20
    .sgpr_spill_count: 0
    .symbol:         _ZN7rocprim17ROCPRIM_400000_NS6detail30init_device_scan_by_key_kernelINS1_19lookback_scan_stateINS0_5tupleIJibEEELb0ELb1EEENS1_16block_id_wrapperIjLb1EEEEEvT_jjPNS9_10value_typeET0_.kd
    .uniform_work_group_size: 1
    .uses_dynamic_stack: false
    .vgpr_count:     10
    .vgpr_spill_count: 0
    .wavefront_size: 64
  - .agpr_count:     0
    .args:
      - .offset:         0
        .size:           112
        .value_kind:     by_value
    .group_segment_fixed_size: 0
    .kernarg_segment_align: 8
    .kernarg_segment_size: 112
    .language:       OpenCL C
    .language_version:
      - 2
      - 0
    .max_flat_workgroup_size: 256
    .name:           _ZN7rocprim17ROCPRIM_400000_NS6detail17trampoline_kernelINS0_14default_configENS1_27scan_by_key_config_selectorIiiEEZZNS1_16scan_by_key_implILNS1_25lookback_scan_determinismE0ELb0ES3_N6thrust23THRUST_200600_302600_NS6detail15normal_iteratorINS9_10device_ptrIiEEEESE_SE_iNS9_4plusIvEENS9_8equal_toIvEEiEE10hipError_tPvRmT2_T3_T4_T5_mT6_T7_P12ihipStream_tbENKUlT_T0_E_clISt17integral_constantIbLb0EESY_IbLb1EEEEDaSU_SV_EUlSU_E_NS1_11comp_targetILNS1_3genE0ELNS1_11target_archE4294967295ELNS1_3gpuE0ELNS1_3repE0EEENS1_30default_config_static_selectorELNS0_4arch9wavefront6targetE1EEEvT1_
    .private_segment_fixed_size: 0
    .sgpr_count:     4
    .sgpr_spill_count: 0
    .symbol:         _ZN7rocprim17ROCPRIM_400000_NS6detail17trampoline_kernelINS0_14default_configENS1_27scan_by_key_config_selectorIiiEEZZNS1_16scan_by_key_implILNS1_25lookback_scan_determinismE0ELb0ES3_N6thrust23THRUST_200600_302600_NS6detail15normal_iteratorINS9_10device_ptrIiEEEESE_SE_iNS9_4plusIvEENS9_8equal_toIvEEiEE10hipError_tPvRmT2_T3_T4_T5_mT6_T7_P12ihipStream_tbENKUlT_T0_E_clISt17integral_constantIbLb0EESY_IbLb1EEEEDaSU_SV_EUlSU_E_NS1_11comp_targetILNS1_3genE0ELNS1_11target_archE4294967295ELNS1_3gpuE0ELNS1_3repE0EEENS1_30default_config_static_selectorELNS0_4arch9wavefront6targetE1EEEvT1_.kd
    .uniform_work_group_size: 1
    .uses_dynamic_stack: false
    .vgpr_count:     0
    .vgpr_spill_count: 0
    .wavefront_size: 64
  - .agpr_count:     0
    .args:
      - .offset:         0
        .size:           112
        .value_kind:     by_value
    .group_segment_fixed_size: 0
    .kernarg_segment_align: 8
    .kernarg_segment_size: 112
    .language:       OpenCL C
    .language_version:
      - 2
      - 0
    .max_flat_workgroup_size: 256
    .name:           _ZN7rocprim17ROCPRIM_400000_NS6detail17trampoline_kernelINS0_14default_configENS1_27scan_by_key_config_selectorIiiEEZZNS1_16scan_by_key_implILNS1_25lookback_scan_determinismE0ELb0ES3_N6thrust23THRUST_200600_302600_NS6detail15normal_iteratorINS9_10device_ptrIiEEEESE_SE_iNS9_4plusIvEENS9_8equal_toIvEEiEE10hipError_tPvRmT2_T3_T4_T5_mT6_T7_P12ihipStream_tbENKUlT_T0_E_clISt17integral_constantIbLb0EESY_IbLb1EEEEDaSU_SV_EUlSU_E_NS1_11comp_targetILNS1_3genE10ELNS1_11target_archE1201ELNS1_3gpuE5ELNS1_3repE0EEENS1_30default_config_static_selectorELNS0_4arch9wavefront6targetE1EEEvT1_
    .private_segment_fixed_size: 0
    .sgpr_count:     4
    .sgpr_spill_count: 0
    .symbol:         _ZN7rocprim17ROCPRIM_400000_NS6detail17trampoline_kernelINS0_14default_configENS1_27scan_by_key_config_selectorIiiEEZZNS1_16scan_by_key_implILNS1_25lookback_scan_determinismE0ELb0ES3_N6thrust23THRUST_200600_302600_NS6detail15normal_iteratorINS9_10device_ptrIiEEEESE_SE_iNS9_4plusIvEENS9_8equal_toIvEEiEE10hipError_tPvRmT2_T3_T4_T5_mT6_T7_P12ihipStream_tbENKUlT_T0_E_clISt17integral_constantIbLb0EESY_IbLb1EEEEDaSU_SV_EUlSU_E_NS1_11comp_targetILNS1_3genE10ELNS1_11target_archE1201ELNS1_3gpuE5ELNS1_3repE0EEENS1_30default_config_static_selectorELNS0_4arch9wavefront6targetE1EEEvT1_.kd
    .uniform_work_group_size: 1
    .uses_dynamic_stack: false
    .vgpr_count:     0
    .vgpr_spill_count: 0
    .wavefront_size: 64
  - .agpr_count:     0
    .args:
      - .offset:         0
        .size:           112
        .value_kind:     by_value
    .group_segment_fixed_size: 0
    .kernarg_segment_align: 8
    .kernarg_segment_size: 112
    .language:       OpenCL C
    .language_version:
      - 2
      - 0
    .max_flat_workgroup_size: 256
    .name:           _ZN7rocprim17ROCPRIM_400000_NS6detail17trampoline_kernelINS0_14default_configENS1_27scan_by_key_config_selectorIiiEEZZNS1_16scan_by_key_implILNS1_25lookback_scan_determinismE0ELb0ES3_N6thrust23THRUST_200600_302600_NS6detail15normal_iteratorINS9_10device_ptrIiEEEESE_SE_iNS9_4plusIvEENS9_8equal_toIvEEiEE10hipError_tPvRmT2_T3_T4_T5_mT6_T7_P12ihipStream_tbENKUlT_T0_E_clISt17integral_constantIbLb0EESY_IbLb1EEEEDaSU_SV_EUlSU_E_NS1_11comp_targetILNS1_3genE5ELNS1_11target_archE942ELNS1_3gpuE9ELNS1_3repE0EEENS1_30default_config_static_selectorELNS0_4arch9wavefront6targetE1EEEvT1_
    .private_segment_fixed_size: 0
    .sgpr_count:     4
    .sgpr_spill_count: 0
    .symbol:         _ZN7rocprim17ROCPRIM_400000_NS6detail17trampoline_kernelINS0_14default_configENS1_27scan_by_key_config_selectorIiiEEZZNS1_16scan_by_key_implILNS1_25lookback_scan_determinismE0ELb0ES3_N6thrust23THRUST_200600_302600_NS6detail15normal_iteratorINS9_10device_ptrIiEEEESE_SE_iNS9_4plusIvEENS9_8equal_toIvEEiEE10hipError_tPvRmT2_T3_T4_T5_mT6_T7_P12ihipStream_tbENKUlT_T0_E_clISt17integral_constantIbLb0EESY_IbLb1EEEEDaSU_SV_EUlSU_E_NS1_11comp_targetILNS1_3genE5ELNS1_11target_archE942ELNS1_3gpuE9ELNS1_3repE0EEENS1_30default_config_static_selectorELNS0_4arch9wavefront6targetE1EEEvT1_.kd
    .uniform_work_group_size: 1
    .uses_dynamic_stack: false
    .vgpr_count:     0
    .vgpr_spill_count: 0
    .wavefront_size: 64
  - .agpr_count:     0
    .args:
      - .offset:         0
        .size:           112
        .value_kind:     by_value
    .group_segment_fixed_size: 16384
    .kernarg_segment_align: 8
    .kernarg_segment_size: 112
    .language:       OpenCL C
    .language_version:
      - 2
      - 0
    .max_flat_workgroup_size: 256
    .name:           _ZN7rocprim17ROCPRIM_400000_NS6detail17trampoline_kernelINS0_14default_configENS1_27scan_by_key_config_selectorIiiEEZZNS1_16scan_by_key_implILNS1_25lookback_scan_determinismE0ELb0ES3_N6thrust23THRUST_200600_302600_NS6detail15normal_iteratorINS9_10device_ptrIiEEEESE_SE_iNS9_4plusIvEENS9_8equal_toIvEEiEE10hipError_tPvRmT2_T3_T4_T5_mT6_T7_P12ihipStream_tbENKUlT_T0_E_clISt17integral_constantIbLb0EESY_IbLb1EEEEDaSU_SV_EUlSU_E_NS1_11comp_targetILNS1_3genE4ELNS1_11target_archE910ELNS1_3gpuE8ELNS1_3repE0EEENS1_30default_config_static_selectorELNS0_4arch9wavefront6targetE1EEEvT1_
    .private_segment_fixed_size: 0
    .sgpr_count:     69
    .sgpr_spill_count: 0
    .symbol:         _ZN7rocprim17ROCPRIM_400000_NS6detail17trampoline_kernelINS0_14default_configENS1_27scan_by_key_config_selectorIiiEEZZNS1_16scan_by_key_implILNS1_25lookback_scan_determinismE0ELb0ES3_N6thrust23THRUST_200600_302600_NS6detail15normal_iteratorINS9_10device_ptrIiEEEESE_SE_iNS9_4plusIvEENS9_8equal_toIvEEiEE10hipError_tPvRmT2_T3_T4_T5_mT6_T7_P12ihipStream_tbENKUlT_T0_E_clISt17integral_constantIbLb0EESY_IbLb1EEEEDaSU_SV_EUlSU_E_NS1_11comp_targetILNS1_3genE4ELNS1_11target_archE910ELNS1_3gpuE8ELNS1_3repE0EEENS1_30default_config_static_selectorELNS0_4arch9wavefront6targetE1EEEvT1_.kd
    .uniform_work_group_size: 1
    .uses_dynamic_stack: false
    .vgpr_count:     65
    .vgpr_spill_count: 0
    .wavefront_size: 64
  - .agpr_count:     0
    .args:
      - .offset:         0
        .size:           112
        .value_kind:     by_value
    .group_segment_fixed_size: 0
    .kernarg_segment_align: 8
    .kernarg_segment_size: 112
    .language:       OpenCL C
    .language_version:
      - 2
      - 0
    .max_flat_workgroup_size: 256
    .name:           _ZN7rocprim17ROCPRIM_400000_NS6detail17trampoline_kernelINS0_14default_configENS1_27scan_by_key_config_selectorIiiEEZZNS1_16scan_by_key_implILNS1_25lookback_scan_determinismE0ELb0ES3_N6thrust23THRUST_200600_302600_NS6detail15normal_iteratorINS9_10device_ptrIiEEEESE_SE_iNS9_4plusIvEENS9_8equal_toIvEEiEE10hipError_tPvRmT2_T3_T4_T5_mT6_T7_P12ihipStream_tbENKUlT_T0_E_clISt17integral_constantIbLb0EESY_IbLb1EEEEDaSU_SV_EUlSU_E_NS1_11comp_targetILNS1_3genE3ELNS1_11target_archE908ELNS1_3gpuE7ELNS1_3repE0EEENS1_30default_config_static_selectorELNS0_4arch9wavefront6targetE1EEEvT1_
    .private_segment_fixed_size: 0
    .sgpr_count:     4
    .sgpr_spill_count: 0
    .symbol:         _ZN7rocprim17ROCPRIM_400000_NS6detail17trampoline_kernelINS0_14default_configENS1_27scan_by_key_config_selectorIiiEEZZNS1_16scan_by_key_implILNS1_25lookback_scan_determinismE0ELb0ES3_N6thrust23THRUST_200600_302600_NS6detail15normal_iteratorINS9_10device_ptrIiEEEESE_SE_iNS9_4plusIvEENS9_8equal_toIvEEiEE10hipError_tPvRmT2_T3_T4_T5_mT6_T7_P12ihipStream_tbENKUlT_T0_E_clISt17integral_constantIbLb0EESY_IbLb1EEEEDaSU_SV_EUlSU_E_NS1_11comp_targetILNS1_3genE3ELNS1_11target_archE908ELNS1_3gpuE7ELNS1_3repE0EEENS1_30default_config_static_selectorELNS0_4arch9wavefront6targetE1EEEvT1_.kd
    .uniform_work_group_size: 1
    .uses_dynamic_stack: false
    .vgpr_count:     0
    .vgpr_spill_count: 0
    .wavefront_size: 64
  - .agpr_count:     0
    .args:
      - .offset:         0
        .size:           112
        .value_kind:     by_value
    .group_segment_fixed_size: 0
    .kernarg_segment_align: 8
    .kernarg_segment_size: 112
    .language:       OpenCL C
    .language_version:
      - 2
      - 0
    .max_flat_workgroup_size: 256
    .name:           _ZN7rocprim17ROCPRIM_400000_NS6detail17trampoline_kernelINS0_14default_configENS1_27scan_by_key_config_selectorIiiEEZZNS1_16scan_by_key_implILNS1_25lookback_scan_determinismE0ELb0ES3_N6thrust23THRUST_200600_302600_NS6detail15normal_iteratorINS9_10device_ptrIiEEEESE_SE_iNS9_4plusIvEENS9_8equal_toIvEEiEE10hipError_tPvRmT2_T3_T4_T5_mT6_T7_P12ihipStream_tbENKUlT_T0_E_clISt17integral_constantIbLb0EESY_IbLb1EEEEDaSU_SV_EUlSU_E_NS1_11comp_targetILNS1_3genE2ELNS1_11target_archE906ELNS1_3gpuE6ELNS1_3repE0EEENS1_30default_config_static_selectorELNS0_4arch9wavefront6targetE1EEEvT1_
    .private_segment_fixed_size: 0
    .sgpr_count:     4
    .sgpr_spill_count: 0
    .symbol:         _ZN7rocprim17ROCPRIM_400000_NS6detail17trampoline_kernelINS0_14default_configENS1_27scan_by_key_config_selectorIiiEEZZNS1_16scan_by_key_implILNS1_25lookback_scan_determinismE0ELb0ES3_N6thrust23THRUST_200600_302600_NS6detail15normal_iteratorINS9_10device_ptrIiEEEESE_SE_iNS9_4plusIvEENS9_8equal_toIvEEiEE10hipError_tPvRmT2_T3_T4_T5_mT6_T7_P12ihipStream_tbENKUlT_T0_E_clISt17integral_constantIbLb0EESY_IbLb1EEEEDaSU_SV_EUlSU_E_NS1_11comp_targetILNS1_3genE2ELNS1_11target_archE906ELNS1_3gpuE6ELNS1_3repE0EEENS1_30default_config_static_selectorELNS0_4arch9wavefront6targetE1EEEvT1_.kd
    .uniform_work_group_size: 1
    .uses_dynamic_stack: false
    .vgpr_count:     0
    .vgpr_spill_count: 0
    .wavefront_size: 64
  - .agpr_count:     0
    .args:
      - .offset:         0
        .size:           112
        .value_kind:     by_value
    .group_segment_fixed_size: 0
    .kernarg_segment_align: 8
    .kernarg_segment_size: 112
    .language:       OpenCL C
    .language_version:
      - 2
      - 0
    .max_flat_workgroup_size: 256
    .name:           _ZN7rocprim17ROCPRIM_400000_NS6detail17trampoline_kernelINS0_14default_configENS1_27scan_by_key_config_selectorIiiEEZZNS1_16scan_by_key_implILNS1_25lookback_scan_determinismE0ELb0ES3_N6thrust23THRUST_200600_302600_NS6detail15normal_iteratorINS9_10device_ptrIiEEEESE_SE_iNS9_4plusIvEENS9_8equal_toIvEEiEE10hipError_tPvRmT2_T3_T4_T5_mT6_T7_P12ihipStream_tbENKUlT_T0_E_clISt17integral_constantIbLb0EESY_IbLb1EEEEDaSU_SV_EUlSU_E_NS1_11comp_targetILNS1_3genE10ELNS1_11target_archE1200ELNS1_3gpuE4ELNS1_3repE0EEENS1_30default_config_static_selectorELNS0_4arch9wavefront6targetE1EEEvT1_
    .private_segment_fixed_size: 0
    .sgpr_count:     4
    .sgpr_spill_count: 0
    .symbol:         _ZN7rocprim17ROCPRIM_400000_NS6detail17trampoline_kernelINS0_14default_configENS1_27scan_by_key_config_selectorIiiEEZZNS1_16scan_by_key_implILNS1_25lookback_scan_determinismE0ELb0ES3_N6thrust23THRUST_200600_302600_NS6detail15normal_iteratorINS9_10device_ptrIiEEEESE_SE_iNS9_4plusIvEENS9_8equal_toIvEEiEE10hipError_tPvRmT2_T3_T4_T5_mT6_T7_P12ihipStream_tbENKUlT_T0_E_clISt17integral_constantIbLb0EESY_IbLb1EEEEDaSU_SV_EUlSU_E_NS1_11comp_targetILNS1_3genE10ELNS1_11target_archE1200ELNS1_3gpuE4ELNS1_3repE0EEENS1_30default_config_static_selectorELNS0_4arch9wavefront6targetE1EEEvT1_.kd
    .uniform_work_group_size: 1
    .uses_dynamic_stack: false
    .vgpr_count:     0
    .vgpr_spill_count: 0
    .wavefront_size: 64
  - .agpr_count:     0
    .args:
      - .offset:         0
        .size:           112
        .value_kind:     by_value
    .group_segment_fixed_size: 0
    .kernarg_segment_align: 8
    .kernarg_segment_size: 112
    .language:       OpenCL C
    .language_version:
      - 2
      - 0
    .max_flat_workgroup_size: 256
    .name:           _ZN7rocprim17ROCPRIM_400000_NS6detail17trampoline_kernelINS0_14default_configENS1_27scan_by_key_config_selectorIiiEEZZNS1_16scan_by_key_implILNS1_25lookback_scan_determinismE0ELb0ES3_N6thrust23THRUST_200600_302600_NS6detail15normal_iteratorINS9_10device_ptrIiEEEESE_SE_iNS9_4plusIvEENS9_8equal_toIvEEiEE10hipError_tPvRmT2_T3_T4_T5_mT6_T7_P12ihipStream_tbENKUlT_T0_E_clISt17integral_constantIbLb0EESY_IbLb1EEEEDaSU_SV_EUlSU_E_NS1_11comp_targetILNS1_3genE9ELNS1_11target_archE1100ELNS1_3gpuE3ELNS1_3repE0EEENS1_30default_config_static_selectorELNS0_4arch9wavefront6targetE1EEEvT1_
    .private_segment_fixed_size: 0
    .sgpr_count:     4
    .sgpr_spill_count: 0
    .symbol:         _ZN7rocprim17ROCPRIM_400000_NS6detail17trampoline_kernelINS0_14default_configENS1_27scan_by_key_config_selectorIiiEEZZNS1_16scan_by_key_implILNS1_25lookback_scan_determinismE0ELb0ES3_N6thrust23THRUST_200600_302600_NS6detail15normal_iteratorINS9_10device_ptrIiEEEESE_SE_iNS9_4plusIvEENS9_8equal_toIvEEiEE10hipError_tPvRmT2_T3_T4_T5_mT6_T7_P12ihipStream_tbENKUlT_T0_E_clISt17integral_constantIbLb0EESY_IbLb1EEEEDaSU_SV_EUlSU_E_NS1_11comp_targetILNS1_3genE9ELNS1_11target_archE1100ELNS1_3gpuE3ELNS1_3repE0EEENS1_30default_config_static_selectorELNS0_4arch9wavefront6targetE1EEEvT1_.kd
    .uniform_work_group_size: 1
    .uses_dynamic_stack: false
    .vgpr_count:     0
    .vgpr_spill_count: 0
    .wavefront_size: 64
  - .agpr_count:     0
    .args:
      - .offset:         0
        .size:           112
        .value_kind:     by_value
    .group_segment_fixed_size: 0
    .kernarg_segment_align: 8
    .kernarg_segment_size: 112
    .language:       OpenCL C
    .language_version:
      - 2
      - 0
    .max_flat_workgroup_size: 256
    .name:           _ZN7rocprim17ROCPRIM_400000_NS6detail17trampoline_kernelINS0_14default_configENS1_27scan_by_key_config_selectorIiiEEZZNS1_16scan_by_key_implILNS1_25lookback_scan_determinismE0ELb0ES3_N6thrust23THRUST_200600_302600_NS6detail15normal_iteratorINS9_10device_ptrIiEEEESE_SE_iNS9_4plusIvEENS9_8equal_toIvEEiEE10hipError_tPvRmT2_T3_T4_T5_mT6_T7_P12ihipStream_tbENKUlT_T0_E_clISt17integral_constantIbLb0EESY_IbLb1EEEEDaSU_SV_EUlSU_E_NS1_11comp_targetILNS1_3genE8ELNS1_11target_archE1030ELNS1_3gpuE2ELNS1_3repE0EEENS1_30default_config_static_selectorELNS0_4arch9wavefront6targetE1EEEvT1_
    .private_segment_fixed_size: 0
    .sgpr_count:     4
    .sgpr_spill_count: 0
    .symbol:         _ZN7rocprim17ROCPRIM_400000_NS6detail17trampoline_kernelINS0_14default_configENS1_27scan_by_key_config_selectorIiiEEZZNS1_16scan_by_key_implILNS1_25lookback_scan_determinismE0ELb0ES3_N6thrust23THRUST_200600_302600_NS6detail15normal_iteratorINS9_10device_ptrIiEEEESE_SE_iNS9_4plusIvEENS9_8equal_toIvEEiEE10hipError_tPvRmT2_T3_T4_T5_mT6_T7_P12ihipStream_tbENKUlT_T0_E_clISt17integral_constantIbLb0EESY_IbLb1EEEEDaSU_SV_EUlSU_E_NS1_11comp_targetILNS1_3genE8ELNS1_11target_archE1030ELNS1_3gpuE2ELNS1_3repE0EEENS1_30default_config_static_selectorELNS0_4arch9wavefront6targetE1EEEvT1_.kd
    .uniform_work_group_size: 1
    .uses_dynamic_stack: false
    .vgpr_count:     0
    .vgpr_spill_count: 0
    .wavefront_size: 64
  - .agpr_count:     0
    .args:
      - .offset:         0
        .size:           112
        .value_kind:     by_value
    .group_segment_fixed_size: 0
    .kernarg_segment_align: 8
    .kernarg_segment_size: 112
    .language:       OpenCL C
    .language_version:
      - 2
      - 0
    .max_flat_workgroup_size: 256
    .name:           _ZN7rocprim17ROCPRIM_400000_NS6detail17trampoline_kernelINS0_14default_configENS1_27scan_by_key_config_selectorIiiEEZZNS1_16scan_by_key_implILNS1_25lookback_scan_determinismE0ELb0ES3_N6thrust23THRUST_200600_302600_NS6detail15normal_iteratorINS9_10device_ptrIiEEEESE_SE_iNS9_4plusIvEE19head_flag_predicateIiEiEE10hipError_tPvRmT2_T3_T4_T5_mT6_T7_P12ihipStream_tbENKUlT_T0_E_clISt17integral_constantIbLb0EESZ_EEDaSU_SV_EUlSU_E_NS1_11comp_targetILNS1_3genE0ELNS1_11target_archE4294967295ELNS1_3gpuE0ELNS1_3repE0EEENS1_30default_config_static_selectorELNS0_4arch9wavefront6targetE1EEEvT1_
    .private_segment_fixed_size: 0
    .sgpr_count:     4
    .sgpr_spill_count: 0
    .symbol:         _ZN7rocprim17ROCPRIM_400000_NS6detail17trampoline_kernelINS0_14default_configENS1_27scan_by_key_config_selectorIiiEEZZNS1_16scan_by_key_implILNS1_25lookback_scan_determinismE0ELb0ES3_N6thrust23THRUST_200600_302600_NS6detail15normal_iteratorINS9_10device_ptrIiEEEESE_SE_iNS9_4plusIvEE19head_flag_predicateIiEiEE10hipError_tPvRmT2_T3_T4_T5_mT6_T7_P12ihipStream_tbENKUlT_T0_E_clISt17integral_constantIbLb0EESZ_EEDaSU_SV_EUlSU_E_NS1_11comp_targetILNS1_3genE0ELNS1_11target_archE4294967295ELNS1_3gpuE0ELNS1_3repE0EEENS1_30default_config_static_selectorELNS0_4arch9wavefront6targetE1EEEvT1_.kd
    .uniform_work_group_size: 1
    .uses_dynamic_stack: false
    .vgpr_count:     0
    .vgpr_spill_count: 0
    .wavefront_size: 64
  - .agpr_count:     0
    .args:
      - .offset:         0
        .size:           112
        .value_kind:     by_value
    .group_segment_fixed_size: 0
    .kernarg_segment_align: 8
    .kernarg_segment_size: 112
    .language:       OpenCL C
    .language_version:
      - 2
      - 0
    .max_flat_workgroup_size: 256
    .name:           _ZN7rocprim17ROCPRIM_400000_NS6detail17trampoline_kernelINS0_14default_configENS1_27scan_by_key_config_selectorIiiEEZZNS1_16scan_by_key_implILNS1_25lookback_scan_determinismE0ELb0ES3_N6thrust23THRUST_200600_302600_NS6detail15normal_iteratorINS9_10device_ptrIiEEEESE_SE_iNS9_4plusIvEE19head_flag_predicateIiEiEE10hipError_tPvRmT2_T3_T4_T5_mT6_T7_P12ihipStream_tbENKUlT_T0_E_clISt17integral_constantIbLb0EESZ_EEDaSU_SV_EUlSU_E_NS1_11comp_targetILNS1_3genE10ELNS1_11target_archE1201ELNS1_3gpuE5ELNS1_3repE0EEENS1_30default_config_static_selectorELNS0_4arch9wavefront6targetE1EEEvT1_
    .private_segment_fixed_size: 0
    .sgpr_count:     4
    .sgpr_spill_count: 0
    .symbol:         _ZN7rocprim17ROCPRIM_400000_NS6detail17trampoline_kernelINS0_14default_configENS1_27scan_by_key_config_selectorIiiEEZZNS1_16scan_by_key_implILNS1_25lookback_scan_determinismE0ELb0ES3_N6thrust23THRUST_200600_302600_NS6detail15normal_iteratorINS9_10device_ptrIiEEEESE_SE_iNS9_4plusIvEE19head_flag_predicateIiEiEE10hipError_tPvRmT2_T3_T4_T5_mT6_T7_P12ihipStream_tbENKUlT_T0_E_clISt17integral_constantIbLb0EESZ_EEDaSU_SV_EUlSU_E_NS1_11comp_targetILNS1_3genE10ELNS1_11target_archE1201ELNS1_3gpuE5ELNS1_3repE0EEENS1_30default_config_static_selectorELNS0_4arch9wavefront6targetE1EEEvT1_.kd
    .uniform_work_group_size: 1
    .uses_dynamic_stack: false
    .vgpr_count:     0
    .vgpr_spill_count: 0
    .wavefront_size: 64
  - .agpr_count:     0
    .args:
      - .offset:         0
        .size:           112
        .value_kind:     by_value
    .group_segment_fixed_size: 0
    .kernarg_segment_align: 8
    .kernarg_segment_size: 112
    .language:       OpenCL C
    .language_version:
      - 2
      - 0
    .max_flat_workgroup_size: 256
    .name:           _ZN7rocprim17ROCPRIM_400000_NS6detail17trampoline_kernelINS0_14default_configENS1_27scan_by_key_config_selectorIiiEEZZNS1_16scan_by_key_implILNS1_25lookback_scan_determinismE0ELb0ES3_N6thrust23THRUST_200600_302600_NS6detail15normal_iteratorINS9_10device_ptrIiEEEESE_SE_iNS9_4plusIvEE19head_flag_predicateIiEiEE10hipError_tPvRmT2_T3_T4_T5_mT6_T7_P12ihipStream_tbENKUlT_T0_E_clISt17integral_constantIbLb0EESZ_EEDaSU_SV_EUlSU_E_NS1_11comp_targetILNS1_3genE5ELNS1_11target_archE942ELNS1_3gpuE9ELNS1_3repE0EEENS1_30default_config_static_selectorELNS0_4arch9wavefront6targetE1EEEvT1_
    .private_segment_fixed_size: 0
    .sgpr_count:     4
    .sgpr_spill_count: 0
    .symbol:         _ZN7rocprim17ROCPRIM_400000_NS6detail17trampoline_kernelINS0_14default_configENS1_27scan_by_key_config_selectorIiiEEZZNS1_16scan_by_key_implILNS1_25lookback_scan_determinismE0ELb0ES3_N6thrust23THRUST_200600_302600_NS6detail15normal_iteratorINS9_10device_ptrIiEEEESE_SE_iNS9_4plusIvEE19head_flag_predicateIiEiEE10hipError_tPvRmT2_T3_T4_T5_mT6_T7_P12ihipStream_tbENKUlT_T0_E_clISt17integral_constantIbLb0EESZ_EEDaSU_SV_EUlSU_E_NS1_11comp_targetILNS1_3genE5ELNS1_11target_archE942ELNS1_3gpuE9ELNS1_3repE0EEENS1_30default_config_static_selectorELNS0_4arch9wavefront6targetE1EEEvT1_.kd
    .uniform_work_group_size: 1
    .uses_dynamic_stack: false
    .vgpr_count:     0
    .vgpr_spill_count: 0
    .wavefront_size: 64
  - .agpr_count:     0
    .args:
      - .offset:         0
        .size:           112
        .value_kind:     by_value
    .group_segment_fixed_size: 16384
    .kernarg_segment_align: 8
    .kernarg_segment_size: 112
    .language:       OpenCL C
    .language_version:
      - 2
      - 0
    .max_flat_workgroup_size: 256
    .name:           _ZN7rocprim17ROCPRIM_400000_NS6detail17trampoline_kernelINS0_14default_configENS1_27scan_by_key_config_selectorIiiEEZZNS1_16scan_by_key_implILNS1_25lookback_scan_determinismE0ELb0ES3_N6thrust23THRUST_200600_302600_NS6detail15normal_iteratorINS9_10device_ptrIiEEEESE_SE_iNS9_4plusIvEE19head_flag_predicateIiEiEE10hipError_tPvRmT2_T3_T4_T5_mT6_T7_P12ihipStream_tbENKUlT_T0_E_clISt17integral_constantIbLb0EESZ_EEDaSU_SV_EUlSU_E_NS1_11comp_targetILNS1_3genE4ELNS1_11target_archE910ELNS1_3gpuE8ELNS1_3repE0EEENS1_30default_config_static_selectorELNS0_4arch9wavefront6targetE1EEEvT1_
    .private_segment_fixed_size: 0
    .sgpr_count:     64
    .sgpr_spill_count: 0
    .symbol:         _ZN7rocprim17ROCPRIM_400000_NS6detail17trampoline_kernelINS0_14default_configENS1_27scan_by_key_config_selectorIiiEEZZNS1_16scan_by_key_implILNS1_25lookback_scan_determinismE0ELb0ES3_N6thrust23THRUST_200600_302600_NS6detail15normal_iteratorINS9_10device_ptrIiEEEESE_SE_iNS9_4plusIvEE19head_flag_predicateIiEiEE10hipError_tPvRmT2_T3_T4_T5_mT6_T7_P12ihipStream_tbENKUlT_T0_E_clISt17integral_constantIbLb0EESZ_EEDaSU_SV_EUlSU_E_NS1_11comp_targetILNS1_3genE4ELNS1_11target_archE910ELNS1_3gpuE8ELNS1_3repE0EEENS1_30default_config_static_selectorELNS0_4arch9wavefront6targetE1EEEvT1_.kd
    .uniform_work_group_size: 1
    .uses_dynamic_stack: false
    .vgpr_count:     65
    .vgpr_spill_count: 0
    .wavefront_size: 64
  - .agpr_count:     0
    .args:
      - .offset:         0
        .size:           112
        .value_kind:     by_value
    .group_segment_fixed_size: 0
    .kernarg_segment_align: 8
    .kernarg_segment_size: 112
    .language:       OpenCL C
    .language_version:
      - 2
      - 0
    .max_flat_workgroup_size: 256
    .name:           _ZN7rocprim17ROCPRIM_400000_NS6detail17trampoline_kernelINS0_14default_configENS1_27scan_by_key_config_selectorIiiEEZZNS1_16scan_by_key_implILNS1_25lookback_scan_determinismE0ELb0ES3_N6thrust23THRUST_200600_302600_NS6detail15normal_iteratorINS9_10device_ptrIiEEEESE_SE_iNS9_4plusIvEE19head_flag_predicateIiEiEE10hipError_tPvRmT2_T3_T4_T5_mT6_T7_P12ihipStream_tbENKUlT_T0_E_clISt17integral_constantIbLb0EESZ_EEDaSU_SV_EUlSU_E_NS1_11comp_targetILNS1_3genE3ELNS1_11target_archE908ELNS1_3gpuE7ELNS1_3repE0EEENS1_30default_config_static_selectorELNS0_4arch9wavefront6targetE1EEEvT1_
    .private_segment_fixed_size: 0
    .sgpr_count:     4
    .sgpr_spill_count: 0
    .symbol:         _ZN7rocprim17ROCPRIM_400000_NS6detail17trampoline_kernelINS0_14default_configENS1_27scan_by_key_config_selectorIiiEEZZNS1_16scan_by_key_implILNS1_25lookback_scan_determinismE0ELb0ES3_N6thrust23THRUST_200600_302600_NS6detail15normal_iteratorINS9_10device_ptrIiEEEESE_SE_iNS9_4plusIvEE19head_flag_predicateIiEiEE10hipError_tPvRmT2_T3_T4_T5_mT6_T7_P12ihipStream_tbENKUlT_T0_E_clISt17integral_constantIbLb0EESZ_EEDaSU_SV_EUlSU_E_NS1_11comp_targetILNS1_3genE3ELNS1_11target_archE908ELNS1_3gpuE7ELNS1_3repE0EEENS1_30default_config_static_selectorELNS0_4arch9wavefront6targetE1EEEvT1_.kd
    .uniform_work_group_size: 1
    .uses_dynamic_stack: false
    .vgpr_count:     0
    .vgpr_spill_count: 0
    .wavefront_size: 64
  - .agpr_count:     0
    .args:
      - .offset:         0
        .size:           112
        .value_kind:     by_value
    .group_segment_fixed_size: 0
    .kernarg_segment_align: 8
    .kernarg_segment_size: 112
    .language:       OpenCL C
    .language_version:
      - 2
      - 0
    .max_flat_workgroup_size: 256
    .name:           _ZN7rocprim17ROCPRIM_400000_NS6detail17trampoline_kernelINS0_14default_configENS1_27scan_by_key_config_selectorIiiEEZZNS1_16scan_by_key_implILNS1_25lookback_scan_determinismE0ELb0ES3_N6thrust23THRUST_200600_302600_NS6detail15normal_iteratorINS9_10device_ptrIiEEEESE_SE_iNS9_4plusIvEE19head_flag_predicateIiEiEE10hipError_tPvRmT2_T3_T4_T5_mT6_T7_P12ihipStream_tbENKUlT_T0_E_clISt17integral_constantIbLb0EESZ_EEDaSU_SV_EUlSU_E_NS1_11comp_targetILNS1_3genE2ELNS1_11target_archE906ELNS1_3gpuE6ELNS1_3repE0EEENS1_30default_config_static_selectorELNS0_4arch9wavefront6targetE1EEEvT1_
    .private_segment_fixed_size: 0
    .sgpr_count:     4
    .sgpr_spill_count: 0
    .symbol:         _ZN7rocprim17ROCPRIM_400000_NS6detail17trampoline_kernelINS0_14default_configENS1_27scan_by_key_config_selectorIiiEEZZNS1_16scan_by_key_implILNS1_25lookback_scan_determinismE0ELb0ES3_N6thrust23THRUST_200600_302600_NS6detail15normal_iteratorINS9_10device_ptrIiEEEESE_SE_iNS9_4plusIvEE19head_flag_predicateIiEiEE10hipError_tPvRmT2_T3_T4_T5_mT6_T7_P12ihipStream_tbENKUlT_T0_E_clISt17integral_constantIbLb0EESZ_EEDaSU_SV_EUlSU_E_NS1_11comp_targetILNS1_3genE2ELNS1_11target_archE906ELNS1_3gpuE6ELNS1_3repE0EEENS1_30default_config_static_selectorELNS0_4arch9wavefront6targetE1EEEvT1_.kd
    .uniform_work_group_size: 1
    .uses_dynamic_stack: false
    .vgpr_count:     0
    .vgpr_spill_count: 0
    .wavefront_size: 64
  - .agpr_count:     0
    .args:
      - .offset:         0
        .size:           112
        .value_kind:     by_value
    .group_segment_fixed_size: 0
    .kernarg_segment_align: 8
    .kernarg_segment_size: 112
    .language:       OpenCL C
    .language_version:
      - 2
      - 0
    .max_flat_workgroup_size: 256
    .name:           _ZN7rocprim17ROCPRIM_400000_NS6detail17trampoline_kernelINS0_14default_configENS1_27scan_by_key_config_selectorIiiEEZZNS1_16scan_by_key_implILNS1_25lookback_scan_determinismE0ELb0ES3_N6thrust23THRUST_200600_302600_NS6detail15normal_iteratorINS9_10device_ptrIiEEEESE_SE_iNS9_4plusIvEE19head_flag_predicateIiEiEE10hipError_tPvRmT2_T3_T4_T5_mT6_T7_P12ihipStream_tbENKUlT_T0_E_clISt17integral_constantIbLb0EESZ_EEDaSU_SV_EUlSU_E_NS1_11comp_targetILNS1_3genE10ELNS1_11target_archE1200ELNS1_3gpuE4ELNS1_3repE0EEENS1_30default_config_static_selectorELNS0_4arch9wavefront6targetE1EEEvT1_
    .private_segment_fixed_size: 0
    .sgpr_count:     4
    .sgpr_spill_count: 0
    .symbol:         _ZN7rocprim17ROCPRIM_400000_NS6detail17trampoline_kernelINS0_14default_configENS1_27scan_by_key_config_selectorIiiEEZZNS1_16scan_by_key_implILNS1_25lookback_scan_determinismE0ELb0ES3_N6thrust23THRUST_200600_302600_NS6detail15normal_iteratorINS9_10device_ptrIiEEEESE_SE_iNS9_4plusIvEE19head_flag_predicateIiEiEE10hipError_tPvRmT2_T3_T4_T5_mT6_T7_P12ihipStream_tbENKUlT_T0_E_clISt17integral_constantIbLb0EESZ_EEDaSU_SV_EUlSU_E_NS1_11comp_targetILNS1_3genE10ELNS1_11target_archE1200ELNS1_3gpuE4ELNS1_3repE0EEENS1_30default_config_static_selectorELNS0_4arch9wavefront6targetE1EEEvT1_.kd
    .uniform_work_group_size: 1
    .uses_dynamic_stack: false
    .vgpr_count:     0
    .vgpr_spill_count: 0
    .wavefront_size: 64
  - .agpr_count:     0
    .args:
      - .offset:         0
        .size:           112
        .value_kind:     by_value
    .group_segment_fixed_size: 0
    .kernarg_segment_align: 8
    .kernarg_segment_size: 112
    .language:       OpenCL C
    .language_version:
      - 2
      - 0
    .max_flat_workgroup_size: 256
    .name:           _ZN7rocprim17ROCPRIM_400000_NS6detail17trampoline_kernelINS0_14default_configENS1_27scan_by_key_config_selectorIiiEEZZNS1_16scan_by_key_implILNS1_25lookback_scan_determinismE0ELb0ES3_N6thrust23THRUST_200600_302600_NS6detail15normal_iteratorINS9_10device_ptrIiEEEESE_SE_iNS9_4plusIvEE19head_flag_predicateIiEiEE10hipError_tPvRmT2_T3_T4_T5_mT6_T7_P12ihipStream_tbENKUlT_T0_E_clISt17integral_constantIbLb0EESZ_EEDaSU_SV_EUlSU_E_NS1_11comp_targetILNS1_3genE9ELNS1_11target_archE1100ELNS1_3gpuE3ELNS1_3repE0EEENS1_30default_config_static_selectorELNS0_4arch9wavefront6targetE1EEEvT1_
    .private_segment_fixed_size: 0
    .sgpr_count:     4
    .sgpr_spill_count: 0
    .symbol:         _ZN7rocprim17ROCPRIM_400000_NS6detail17trampoline_kernelINS0_14default_configENS1_27scan_by_key_config_selectorIiiEEZZNS1_16scan_by_key_implILNS1_25lookback_scan_determinismE0ELb0ES3_N6thrust23THRUST_200600_302600_NS6detail15normal_iteratorINS9_10device_ptrIiEEEESE_SE_iNS9_4plusIvEE19head_flag_predicateIiEiEE10hipError_tPvRmT2_T3_T4_T5_mT6_T7_P12ihipStream_tbENKUlT_T0_E_clISt17integral_constantIbLb0EESZ_EEDaSU_SV_EUlSU_E_NS1_11comp_targetILNS1_3genE9ELNS1_11target_archE1100ELNS1_3gpuE3ELNS1_3repE0EEENS1_30default_config_static_selectorELNS0_4arch9wavefront6targetE1EEEvT1_.kd
    .uniform_work_group_size: 1
    .uses_dynamic_stack: false
    .vgpr_count:     0
    .vgpr_spill_count: 0
    .wavefront_size: 64
  - .agpr_count:     0
    .args:
      - .offset:         0
        .size:           112
        .value_kind:     by_value
    .group_segment_fixed_size: 0
    .kernarg_segment_align: 8
    .kernarg_segment_size: 112
    .language:       OpenCL C
    .language_version:
      - 2
      - 0
    .max_flat_workgroup_size: 256
    .name:           _ZN7rocprim17ROCPRIM_400000_NS6detail17trampoline_kernelINS0_14default_configENS1_27scan_by_key_config_selectorIiiEEZZNS1_16scan_by_key_implILNS1_25lookback_scan_determinismE0ELb0ES3_N6thrust23THRUST_200600_302600_NS6detail15normal_iteratorINS9_10device_ptrIiEEEESE_SE_iNS9_4plusIvEE19head_flag_predicateIiEiEE10hipError_tPvRmT2_T3_T4_T5_mT6_T7_P12ihipStream_tbENKUlT_T0_E_clISt17integral_constantIbLb0EESZ_EEDaSU_SV_EUlSU_E_NS1_11comp_targetILNS1_3genE8ELNS1_11target_archE1030ELNS1_3gpuE2ELNS1_3repE0EEENS1_30default_config_static_selectorELNS0_4arch9wavefront6targetE1EEEvT1_
    .private_segment_fixed_size: 0
    .sgpr_count:     4
    .sgpr_spill_count: 0
    .symbol:         _ZN7rocprim17ROCPRIM_400000_NS6detail17trampoline_kernelINS0_14default_configENS1_27scan_by_key_config_selectorIiiEEZZNS1_16scan_by_key_implILNS1_25lookback_scan_determinismE0ELb0ES3_N6thrust23THRUST_200600_302600_NS6detail15normal_iteratorINS9_10device_ptrIiEEEESE_SE_iNS9_4plusIvEE19head_flag_predicateIiEiEE10hipError_tPvRmT2_T3_T4_T5_mT6_T7_P12ihipStream_tbENKUlT_T0_E_clISt17integral_constantIbLb0EESZ_EEDaSU_SV_EUlSU_E_NS1_11comp_targetILNS1_3genE8ELNS1_11target_archE1030ELNS1_3gpuE2ELNS1_3repE0EEENS1_30default_config_static_selectorELNS0_4arch9wavefront6targetE1EEEvT1_.kd
    .uniform_work_group_size: 1
    .uses_dynamic_stack: false
    .vgpr_count:     0
    .vgpr_spill_count: 0
    .wavefront_size: 64
  - .agpr_count:     0
    .args:
      - .offset:         0
        .size:           112
        .value_kind:     by_value
    .group_segment_fixed_size: 0
    .kernarg_segment_align: 8
    .kernarg_segment_size: 112
    .language:       OpenCL C
    .language_version:
      - 2
      - 0
    .max_flat_workgroup_size: 256
    .name:           _ZN7rocprim17ROCPRIM_400000_NS6detail17trampoline_kernelINS0_14default_configENS1_27scan_by_key_config_selectorIiiEEZZNS1_16scan_by_key_implILNS1_25lookback_scan_determinismE0ELb0ES3_N6thrust23THRUST_200600_302600_NS6detail15normal_iteratorINS9_10device_ptrIiEEEESE_SE_iNS9_4plusIvEE19head_flag_predicateIiEiEE10hipError_tPvRmT2_T3_T4_T5_mT6_T7_P12ihipStream_tbENKUlT_T0_E_clISt17integral_constantIbLb1EESZ_EEDaSU_SV_EUlSU_E_NS1_11comp_targetILNS1_3genE0ELNS1_11target_archE4294967295ELNS1_3gpuE0ELNS1_3repE0EEENS1_30default_config_static_selectorELNS0_4arch9wavefront6targetE1EEEvT1_
    .private_segment_fixed_size: 0
    .sgpr_count:     4
    .sgpr_spill_count: 0
    .symbol:         _ZN7rocprim17ROCPRIM_400000_NS6detail17trampoline_kernelINS0_14default_configENS1_27scan_by_key_config_selectorIiiEEZZNS1_16scan_by_key_implILNS1_25lookback_scan_determinismE0ELb0ES3_N6thrust23THRUST_200600_302600_NS6detail15normal_iteratorINS9_10device_ptrIiEEEESE_SE_iNS9_4plusIvEE19head_flag_predicateIiEiEE10hipError_tPvRmT2_T3_T4_T5_mT6_T7_P12ihipStream_tbENKUlT_T0_E_clISt17integral_constantIbLb1EESZ_EEDaSU_SV_EUlSU_E_NS1_11comp_targetILNS1_3genE0ELNS1_11target_archE4294967295ELNS1_3gpuE0ELNS1_3repE0EEENS1_30default_config_static_selectorELNS0_4arch9wavefront6targetE1EEEvT1_.kd
    .uniform_work_group_size: 1
    .uses_dynamic_stack: false
    .vgpr_count:     0
    .vgpr_spill_count: 0
    .wavefront_size: 64
  - .agpr_count:     0
    .args:
      - .offset:         0
        .size:           112
        .value_kind:     by_value
    .group_segment_fixed_size: 0
    .kernarg_segment_align: 8
    .kernarg_segment_size: 112
    .language:       OpenCL C
    .language_version:
      - 2
      - 0
    .max_flat_workgroup_size: 256
    .name:           _ZN7rocprim17ROCPRIM_400000_NS6detail17trampoline_kernelINS0_14default_configENS1_27scan_by_key_config_selectorIiiEEZZNS1_16scan_by_key_implILNS1_25lookback_scan_determinismE0ELb0ES3_N6thrust23THRUST_200600_302600_NS6detail15normal_iteratorINS9_10device_ptrIiEEEESE_SE_iNS9_4plusIvEE19head_flag_predicateIiEiEE10hipError_tPvRmT2_T3_T4_T5_mT6_T7_P12ihipStream_tbENKUlT_T0_E_clISt17integral_constantIbLb1EESZ_EEDaSU_SV_EUlSU_E_NS1_11comp_targetILNS1_3genE10ELNS1_11target_archE1201ELNS1_3gpuE5ELNS1_3repE0EEENS1_30default_config_static_selectorELNS0_4arch9wavefront6targetE1EEEvT1_
    .private_segment_fixed_size: 0
    .sgpr_count:     4
    .sgpr_spill_count: 0
    .symbol:         _ZN7rocprim17ROCPRIM_400000_NS6detail17trampoline_kernelINS0_14default_configENS1_27scan_by_key_config_selectorIiiEEZZNS1_16scan_by_key_implILNS1_25lookback_scan_determinismE0ELb0ES3_N6thrust23THRUST_200600_302600_NS6detail15normal_iteratorINS9_10device_ptrIiEEEESE_SE_iNS9_4plusIvEE19head_flag_predicateIiEiEE10hipError_tPvRmT2_T3_T4_T5_mT6_T7_P12ihipStream_tbENKUlT_T0_E_clISt17integral_constantIbLb1EESZ_EEDaSU_SV_EUlSU_E_NS1_11comp_targetILNS1_3genE10ELNS1_11target_archE1201ELNS1_3gpuE5ELNS1_3repE0EEENS1_30default_config_static_selectorELNS0_4arch9wavefront6targetE1EEEvT1_.kd
    .uniform_work_group_size: 1
    .uses_dynamic_stack: false
    .vgpr_count:     0
    .vgpr_spill_count: 0
    .wavefront_size: 64
  - .agpr_count:     0
    .args:
      - .offset:         0
        .size:           112
        .value_kind:     by_value
    .group_segment_fixed_size: 0
    .kernarg_segment_align: 8
    .kernarg_segment_size: 112
    .language:       OpenCL C
    .language_version:
      - 2
      - 0
    .max_flat_workgroup_size: 256
    .name:           _ZN7rocprim17ROCPRIM_400000_NS6detail17trampoline_kernelINS0_14default_configENS1_27scan_by_key_config_selectorIiiEEZZNS1_16scan_by_key_implILNS1_25lookback_scan_determinismE0ELb0ES3_N6thrust23THRUST_200600_302600_NS6detail15normal_iteratorINS9_10device_ptrIiEEEESE_SE_iNS9_4plusIvEE19head_flag_predicateIiEiEE10hipError_tPvRmT2_T3_T4_T5_mT6_T7_P12ihipStream_tbENKUlT_T0_E_clISt17integral_constantIbLb1EESZ_EEDaSU_SV_EUlSU_E_NS1_11comp_targetILNS1_3genE5ELNS1_11target_archE942ELNS1_3gpuE9ELNS1_3repE0EEENS1_30default_config_static_selectorELNS0_4arch9wavefront6targetE1EEEvT1_
    .private_segment_fixed_size: 0
    .sgpr_count:     4
    .sgpr_spill_count: 0
    .symbol:         _ZN7rocprim17ROCPRIM_400000_NS6detail17trampoline_kernelINS0_14default_configENS1_27scan_by_key_config_selectorIiiEEZZNS1_16scan_by_key_implILNS1_25lookback_scan_determinismE0ELb0ES3_N6thrust23THRUST_200600_302600_NS6detail15normal_iteratorINS9_10device_ptrIiEEEESE_SE_iNS9_4plusIvEE19head_flag_predicateIiEiEE10hipError_tPvRmT2_T3_T4_T5_mT6_T7_P12ihipStream_tbENKUlT_T0_E_clISt17integral_constantIbLb1EESZ_EEDaSU_SV_EUlSU_E_NS1_11comp_targetILNS1_3genE5ELNS1_11target_archE942ELNS1_3gpuE9ELNS1_3repE0EEENS1_30default_config_static_selectorELNS0_4arch9wavefront6targetE1EEEvT1_.kd
    .uniform_work_group_size: 1
    .uses_dynamic_stack: false
    .vgpr_count:     0
    .vgpr_spill_count: 0
    .wavefront_size: 64
  - .agpr_count:     0
    .args:
      - .offset:         0
        .size:           112
        .value_kind:     by_value
    .group_segment_fixed_size: 16384
    .kernarg_segment_align: 8
    .kernarg_segment_size: 112
    .language:       OpenCL C
    .language_version:
      - 2
      - 0
    .max_flat_workgroup_size: 256
    .name:           _ZN7rocprim17ROCPRIM_400000_NS6detail17trampoline_kernelINS0_14default_configENS1_27scan_by_key_config_selectorIiiEEZZNS1_16scan_by_key_implILNS1_25lookback_scan_determinismE0ELb0ES3_N6thrust23THRUST_200600_302600_NS6detail15normal_iteratorINS9_10device_ptrIiEEEESE_SE_iNS9_4plusIvEE19head_flag_predicateIiEiEE10hipError_tPvRmT2_T3_T4_T5_mT6_T7_P12ihipStream_tbENKUlT_T0_E_clISt17integral_constantIbLb1EESZ_EEDaSU_SV_EUlSU_E_NS1_11comp_targetILNS1_3genE4ELNS1_11target_archE910ELNS1_3gpuE8ELNS1_3repE0EEENS1_30default_config_static_selectorELNS0_4arch9wavefront6targetE1EEEvT1_
    .private_segment_fixed_size: 0
    .sgpr_count:     68
    .sgpr_spill_count: 0
    .symbol:         _ZN7rocprim17ROCPRIM_400000_NS6detail17trampoline_kernelINS0_14default_configENS1_27scan_by_key_config_selectorIiiEEZZNS1_16scan_by_key_implILNS1_25lookback_scan_determinismE0ELb0ES3_N6thrust23THRUST_200600_302600_NS6detail15normal_iteratorINS9_10device_ptrIiEEEESE_SE_iNS9_4plusIvEE19head_flag_predicateIiEiEE10hipError_tPvRmT2_T3_T4_T5_mT6_T7_P12ihipStream_tbENKUlT_T0_E_clISt17integral_constantIbLb1EESZ_EEDaSU_SV_EUlSU_E_NS1_11comp_targetILNS1_3genE4ELNS1_11target_archE910ELNS1_3gpuE8ELNS1_3repE0EEENS1_30default_config_static_selectorELNS0_4arch9wavefront6targetE1EEEvT1_.kd
    .uniform_work_group_size: 1
    .uses_dynamic_stack: false
    .vgpr_count:     65
    .vgpr_spill_count: 0
    .wavefront_size: 64
  - .agpr_count:     0
    .args:
      - .offset:         0
        .size:           112
        .value_kind:     by_value
    .group_segment_fixed_size: 0
    .kernarg_segment_align: 8
    .kernarg_segment_size: 112
    .language:       OpenCL C
    .language_version:
      - 2
      - 0
    .max_flat_workgroup_size: 256
    .name:           _ZN7rocprim17ROCPRIM_400000_NS6detail17trampoline_kernelINS0_14default_configENS1_27scan_by_key_config_selectorIiiEEZZNS1_16scan_by_key_implILNS1_25lookback_scan_determinismE0ELb0ES3_N6thrust23THRUST_200600_302600_NS6detail15normal_iteratorINS9_10device_ptrIiEEEESE_SE_iNS9_4plusIvEE19head_flag_predicateIiEiEE10hipError_tPvRmT2_T3_T4_T5_mT6_T7_P12ihipStream_tbENKUlT_T0_E_clISt17integral_constantIbLb1EESZ_EEDaSU_SV_EUlSU_E_NS1_11comp_targetILNS1_3genE3ELNS1_11target_archE908ELNS1_3gpuE7ELNS1_3repE0EEENS1_30default_config_static_selectorELNS0_4arch9wavefront6targetE1EEEvT1_
    .private_segment_fixed_size: 0
    .sgpr_count:     4
    .sgpr_spill_count: 0
    .symbol:         _ZN7rocprim17ROCPRIM_400000_NS6detail17trampoline_kernelINS0_14default_configENS1_27scan_by_key_config_selectorIiiEEZZNS1_16scan_by_key_implILNS1_25lookback_scan_determinismE0ELb0ES3_N6thrust23THRUST_200600_302600_NS6detail15normal_iteratorINS9_10device_ptrIiEEEESE_SE_iNS9_4plusIvEE19head_flag_predicateIiEiEE10hipError_tPvRmT2_T3_T4_T5_mT6_T7_P12ihipStream_tbENKUlT_T0_E_clISt17integral_constantIbLb1EESZ_EEDaSU_SV_EUlSU_E_NS1_11comp_targetILNS1_3genE3ELNS1_11target_archE908ELNS1_3gpuE7ELNS1_3repE0EEENS1_30default_config_static_selectorELNS0_4arch9wavefront6targetE1EEEvT1_.kd
    .uniform_work_group_size: 1
    .uses_dynamic_stack: false
    .vgpr_count:     0
    .vgpr_spill_count: 0
    .wavefront_size: 64
  - .agpr_count:     0
    .args:
      - .offset:         0
        .size:           112
        .value_kind:     by_value
    .group_segment_fixed_size: 0
    .kernarg_segment_align: 8
    .kernarg_segment_size: 112
    .language:       OpenCL C
    .language_version:
      - 2
      - 0
    .max_flat_workgroup_size: 256
    .name:           _ZN7rocprim17ROCPRIM_400000_NS6detail17trampoline_kernelINS0_14default_configENS1_27scan_by_key_config_selectorIiiEEZZNS1_16scan_by_key_implILNS1_25lookback_scan_determinismE0ELb0ES3_N6thrust23THRUST_200600_302600_NS6detail15normal_iteratorINS9_10device_ptrIiEEEESE_SE_iNS9_4plusIvEE19head_flag_predicateIiEiEE10hipError_tPvRmT2_T3_T4_T5_mT6_T7_P12ihipStream_tbENKUlT_T0_E_clISt17integral_constantIbLb1EESZ_EEDaSU_SV_EUlSU_E_NS1_11comp_targetILNS1_3genE2ELNS1_11target_archE906ELNS1_3gpuE6ELNS1_3repE0EEENS1_30default_config_static_selectorELNS0_4arch9wavefront6targetE1EEEvT1_
    .private_segment_fixed_size: 0
    .sgpr_count:     4
    .sgpr_spill_count: 0
    .symbol:         _ZN7rocprim17ROCPRIM_400000_NS6detail17trampoline_kernelINS0_14default_configENS1_27scan_by_key_config_selectorIiiEEZZNS1_16scan_by_key_implILNS1_25lookback_scan_determinismE0ELb0ES3_N6thrust23THRUST_200600_302600_NS6detail15normal_iteratorINS9_10device_ptrIiEEEESE_SE_iNS9_4plusIvEE19head_flag_predicateIiEiEE10hipError_tPvRmT2_T3_T4_T5_mT6_T7_P12ihipStream_tbENKUlT_T0_E_clISt17integral_constantIbLb1EESZ_EEDaSU_SV_EUlSU_E_NS1_11comp_targetILNS1_3genE2ELNS1_11target_archE906ELNS1_3gpuE6ELNS1_3repE0EEENS1_30default_config_static_selectorELNS0_4arch9wavefront6targetE1EEEvT1_.kd
    .uniform_work_group_size: 1
    .uses_dynamic_stack: false
    .vgpr_count:     0
    .vgpr_spill_count: 0
    .wavefront_size: 64
  - .agpr_count:     0
    .args:
      - .offset:         0
        .size:           112
        .value_kind:     by_value
    .group_segment_fixed_size: 0
    .kernarg_segment_align: 8
    .kernarg_segment_size: 112
    .language:       OpenCL C
    .language_version:
      - 2
      - 0
    .max_flat_workgroup_size: 256
    .name:           _ZN7rocprim17ROCPRIM_400000_NS6detail17trampoline_kernelINS0_14default_configENS1_27scan_by_key_config_selectorIiiEEZZNS1_16scan_by_key_implILNS1_25lookback_scan_determinismE0ELb0ES3_N6thrust23THRUST_200600_302600_NS6detail15normal_iteratorINS9_10device_ptrIiEEEESE_SE_iNS9_4plusIvEE19head_flag_predicateIiEiEE10hipError_tPvRmT2_T3_T4_T5_mT6_T7_P12ihipStream_tbENKUlT_T0_E_clISt17integral_constantIbLb1EESZ_EEDaSU_SV_EUlSU_E_NS1_11comp_targetILNS1_3genE10ELNS1_11target_archE1200ELNS1_3gpuE4ELNS1_3repE0EEENS1_30default_config_static_selectorELNS0_4arch9wavefront6targetE1EEEvT1_
    .private_segment_fixed_size: 0
    .sgpr_count:     4
    .sgpr_spill_count: 0
    .symbol:         _ZN7rocprim17ROCPRIM_400000_NS6detail17trampoline_kernelINS0_14default_configENS1_27scan_by_key_config_selectorIiiEEZZNS1_16scan_by_key_implILNS1_25lookback_scan_determinismE0ELb0ES3_N6thrust23THRUST_200600_302600_NS6detail15normal_iteratorINS9_10device_ptrIiEEEESE_SE_iNS9_4plusIvEE19head_flag_predicateIiEiEE10hipError_tPvRmT2_T3_T4_T5_mT6_T7_P12ihipStream_tbENKUlT_T0_E_clISt17integral_constantIbLb1EESZ_EEDaSU_SV_EUlSU_E_NS1_11comp_targetILNS1_3genE10ELNS1_11target_archE1200ELNS1_3gpuE4ELNS1_3repE0EEENS1_30default_config_static_selectorELNS0_4arch9wavefront6targetE1EEEvT1_.kd
    .uniform_work_group_size: 1
    .uses_dynamic_stack: false
    .vgpr_count:     0
    .vgpr_spill_count: 0
    .wavefront_size: 64
  - .agpr_count:     0
    .args:
      - .offset:         0
        .size:           112
        .value_kind:     by_value
    .group_segment_fixed_size: 0
    .kernarg_segment_align: 8
    .kernarg_segment_size: 112
    .language:       OpenCL C
    .language_version:
      - 2
      - 0
    .max_flat_workgroup_size: 256
    .name:           _ZN7rocprim17ROCPRIM_400000_NS6detail17trampoline_kernelINS0_14default_configENS1_27scan_by_key_config_selectorIiiEEZZNS1_16scan_by_key_implILNS1_25lookback_scan_determinismE0ELb0ES3_N6thrust23THRUST_200600_302600_NS6detail15normal_iteratorINS9_10device_ptrIiEEEESE_SE_iNS9_4plusIvEE19head_flag_predicateIiEiEE10hipError_tPvRmT2_T3_T4_T5_mT6_T7_P12ihipStream_tbENKUlT_T0_E_clISt17integral_constantIbLb1EESZ_EEDaSU_SV_EUlSU_E_NS1_11comp_targetILNS1_3genE9ELNS1_11target_archE1100ELNS1_3gpuE3ELNS1_3repE0EEENS1_30default_config_static_selectorELNS0_4arch9wavefront6targetE1EEEvT1_
    .private_segment_fixed_size: 0
    .sgpr_count:     4
    .sgpr_spill_count: 0
    .symbol:         _ZN7rocprim17ROCPRIM_400000_NS6detail17trampoline_kernelINS0_14default_configENS1_27scan_by_key_config_selectorIiiEEZZNS1_16scan_by_key_implILNS1_25lookback_scan_determinismE0ELb0ES3_N6thrust23THRUST_200600_302600_NS6detail15normal_iteratorINS9_10device_ptrIiEEEESE_SE_iNS9_4plusIvEE19head_flag_predicateIiEiEE10hipError_tPvRmT2_T3_T4_T5_mT6_T7_P12ihipStream_tbENKUlT_T0_E_clISt17integral_constantIbLb1EESZ_EEDaSU_SV_EUlSU_E_NS1_11comp_targetILNS1_3genE9ELNS1_11target_archE1100ELNS1_3gpuE3ELNS1_3repE0EEENS1_30default_config_static_selectorELNS0_4arch9wavefront6targetE1EEEvT1_.kd
    .uniform_work_group_size: 1
    .uses_dynamic_stack: false
    .vgpr_count:     0
    .vgpr_spill_count: 0
    .wavefront_size: 64
  - .agpr_count:     0
    .args:
      - .offset:         0
        .size:           112
        .value_kind:     by_value
    .group_segment_fixed_size: 0
    .kernarg_segment_align: 8
    .kernarg_segment_size: 112
    .language:       OpenCL C
    .language_version:
      - 2
      - 0
    .max_flat_workgroup_size: 256
    .name:           _ZN7rocprim17ROCPRIM_400000_NS6detail17trampoline_kernelINS0_14default_configENS1_27scan_by_key_config_selectorIiiEEZZNS1_16scan_by_key_implILNS1_25lookback_scan_determinismE0ELb0ES3_N6thrust23THRUST_200600_302600_NS6detail15normal_iteratorINS9_10device_ptrIiEEEESE_SE_iNS9_4plusIvEE19head_flag_predicateIiEiEE10hipError_tPvRmT2_T3_T4_T5_mT6_T7_P12ihipStream_tbENKUlT_T0_E_clISt17integral_constantIbLb1EESZ_EEDaSU_SV_EUlSU_E_NS1_11comp_targetILNS1_3genE8ELNS1_11target_archE1030ELNS1_3gpuE2ELNS1_3repE0EEENS1_30default_config_static_selectorELNS0_4arch9wavefront6targetE1EEEvT1_
    .private_segment_fixed_size: 0
    .sgpr_count:     4
    .sgpr_spill_count: 0
    .symbol:         _ZN7rocprim17ROCPRIM_400000_NS6detail17trampoline_kernelINS0_14default_configENS1_27scan_by_key_config_selectorIiiEEZZNS1_16scan_by_key_implILNS1_25lookback_scan_determinismE0ELb0ES3_N6thrust23THRUST_200600_302600_NS6detail15normal_iteratorINS9_10device_ptrIiEEEESE_SE_iNS9_4plusIvEE19head_flag_predicateIiEiEE10hipError_tPvRmT2_T3_T4_T5_mT6_T7_P12ihipStream_tbENKUlT_T0_E_clISt17integral_constantIbLb1EESZ_EEDaSU_SV_EUlSU_E_NS1_11comp_targetILNS1_3genE8ELNS1_11target_archE1030ELNS1_3gpuE2ELNS1_3repE0EEENS1_30default_config_static_selectorELNS0_4arch9wavefront6targetE1EEEvT1_.kd
    .uniform_work_group_size: 1
    .uses_dynamic_stack: false
    .vgpr_count:     0
    .vgpr_spill_count: 0
    .wavefront_size: 64
  - .agpr_count:     0
    .args:
      - .offset:         0
        .size:           112
        .value_kind:     by_value
    .group_segment_fixed_size: 0
    .kernarg_segment_align: 8
    .kernarg_segment_size: 112
    .language:       OpenCL C
    .language_version:
      - 2
      - 0
    .max_flat_workgroup_size: 256
    .name:           _ZN7rocprim17ROCPRIM_400000_NS6detail17trampoline_kernelINS0_14default_configENS1_27scan_by_key_config_selectorIiiEEZZNS1_16scan_by_key_implILNS1_25lookback_scan_determinismE0ELb0ES3_N6thrust23THRUST_200600_302600_NS6detail15normal_iteratorINS9_10device_ptrIiEEEESE_SE_iNS9_4plusIvEE19head_flag_predicateIiEiEE10hipError_tPvRmT2_T3_T4_T5_mT6_T7_P12ihipStream_tbENKUlT_T0_E_clISt17integral_constantIbLb1EESY_IbLb0EEEEDaSU_SV_EUlSU_E_NS1_11comp_targetILNS1_3genE0ELNS1_11target_archE4294967295ELNS1_3gpuE0ELNS1_3repE0EEENS1_30default_config_static_selectorELNS0_4arch9wavefront6targetE1EEEvT1_
    .private_segment_fixed_size: 0
    .sgpr_count:     4
    .sgpr_spill_count: 0
    .symbol:         _ZN7rocprim17ROCPRIM_400000_NS6detail17trampoline_kernelINS0_14default_configENS1_27scan_by_key_config_selectorIiiEEZZNS1_16scan_by_key_implILNS1_25lookback_scan_determinismE0ELb0ES3_N6thrust23THRUST_200600_302600_NS6detail15normal_iteratorINS9_10device_ptrIiEEEESE_SE_iNS9_4plusIvEE19head_flag_predicateIiEiEE10hipError_tPvRmT2_T3_T4_T5_mT6_T7_P12ihipStream_tbENKUlT_T0_E_clISt17integral_constantIbLb1EESY_IbLb0EEEEDaSU_SV_EUlSU_E_NS1_11comp_targetILNS1_3genE0ELNS1_11target_archE4294967295ELNS1_3gpuE0ELNS1_3repE0EEENS1_30default_config_static_selectorELNS0_4arch9wavefront6targetE1EEEvT1_.kd
    .uniform_work_group_size: 1
    .uses_dynamic_stack: false
    .vgpr_count:     0
    .vgpr_spill_count: 0
    .wavefront_size: 64
  - .agpr_count:     0
    .args:
      - .offset:         0
        .size:           112
        .value_kind:     by_value
    .group_segment_fixed_size: 0
    .kernarg_segment_align: 8
    .kernarg_segment_size: 112
    .language:       OpenCL C
    .language_version:
      - 2
      - 0
    .max_flat_workgroup_size: 256
    .name:           _ZN7rocprim17ROCPRIM_400000_NS6detail17trampoline_kernelINS0_14default_configENS1_27scan_by_key_config_selectorIiiEEZZNS1_16scan_by_key_implILNS1_25lookback_scan_determinismE0ELb0ES3_N6thrust23THRUST_200600_302600_NS6detail15normal_iteratorINS9_10device_ptrIiEEEESE_SE_iNS9_4plusIvEE19head_flag_predicateIiEiEE10hipError_tPvRmT2_T3_T4_T5_mT6_T7_P12ihipStream_tbENKUlT_T0_E_clISt17integral_constantIbLb1EESY_IbLb0EEEEDaSU_SV_EUlSU_E_NS1_11comp_targetILNS1_3genE10ELNS1_11target_archE1201ELNS1_3gpuE5ELNS1_3repE0EEENS1_30default_config_static_selectorELNS0_4arch9wavefront6targetE1EEEvT1_
    .private_segment_fixed_size: 0
    .sgpr_count:     4
    .sgpr_spill_count: 0
    .symbol:         _ZN7rocprim17ROCPRIM_400000_NS6detail17trampoline_kernelINS0_14default_configENS1_27scan_by_key_config_selectorIiiEEZZNS1_16scan_by_key_implILNS1_25lookback_scan_determinismE0ELb0ES3_N6thrust23THRUST_200600_302600_NS6detail15normal_iteratorINS9_10device_ptrIiEEEESE_SE_iNS9_4plusIvEE19head_flag_predicateIiEiEE10hipError_tPvRmT2_T3_T4_T5_mT6_T7_P12ihipStream_tbENKUlT_T0_E_clISt17integral_constantIbLb1EESY_IbLb0EEEEDaSU_SV_EUlSU_E_NS1_11comp_targetILNS1_3genE10ELNS1_11target_archE1201ELNS1_3gpuE5ELNS1_3repE0EEENS1_30default_config_static_selectorELNS0_4arch9wavefront6targetE1EEEvT1_.kd
    .uniform_work_group_size: 1
    .uses_dynamic_stack: false
    .vgpr_count:     0
    .vgpr_spill_count: 0
    .wavefront_size: 64
  - .agpr_count:     0
    .args:
      - .offset:         0
        .size:           112
        .value_kind:     by_value
    .group_segment_fixed_size: 0
    .kernarg_segment_align: 8
    .kernarg_segment_size: 112
    .language:       OpenCL C
    .language_version:
      - 2
      - 0
    .max_flat_workgroup_size: 256
    .name:           _ZN7rocprim17ROCPRIM_400000_NS6detail17trampoline_kernelINS0_14default_configENS1_27scan_by_key_config_selectorIiiEEZZNS1_16scan_by_key_implILNS1_25lookback_scan_determinismE0ELb0ES3_N6thrust23THRUST_200600_302600_NS6detail15normal_iteratorINS9_10device_ptrIiEEEESE_SE_iNS9_4plusIvEE19head_flag_predicateIiEiEE10hipError_tPvRmT2_T3_T4_T5_mT6_T7_P12ihipStream_tbENKUlT_T0_E_clISt17integral_constantIbLb1EESY_IbLb0EEEEDaSU_SV_EUlSU_E_NS1_11comp_targetILNS1_3genE5ELNS1_11target_archE942ELNS1_3gpuE9ELNS1_3repE0EEENS1_30default_config_static_selectorELNS0_4arch9wavefront6targetE1EEEvT1_
    .private_segment_fixed_size: 0
    .sgpr_count:     4
    .sgpr_spill_count: 0
    .symbol:         _ZN7rocprim17ROCPRIM_400000_NS6detail17trampoline_kernelINS0_14default_configENS1_27scan_by_key_config_selectorIiiEEZZNS1_16scan_by_key_implILNS1_25lookback_scan_determinismE0ELb0ES3_N6thrust23THRUST_200600_302600_NS6detail15normal_iteratorINS9_10device_ptrIiEEEESE_SE_iNS9_4plusIvEE19head_flag_predicateIiEiEE10hipError_tPvRmT2_T3_T4_T5_mT6_T7_P12ihipStream_tbENKUlT_T0_E_clISt17integral_constantIbLb1EESY_IbLb0EEEEDaSU_SV_EUlSU_E_NS1_11comp_targetILNS1_3genE5ELNS1_11target_archE942ELNS1_3gpuE9ELNS1_3repE0EEENS1_30default_config_static_selectorELNS0_4arch9wavefront6targetE1EEEvT1_.kd
    .uniform_work_group_size: 1
    .uses_dynamic_stack: false
    .vgpr_count:     0
    .vgpr_spill_count: 0
    .wavefront_size: 64
  - .agpr_count:     0
    .args:
      - .offset:         0
        .size:           112
        .value_kind:     by_value
    .group_segment_fixed_size: 16384
    .kernarg_segment_align: 8
    .kernarg_segment_size: 112
    .language:       OpenCL C
    .language_version:
      - 2
      - 0
    .max_flat_workgroup_size: 256
    .name:           _ZN7rocprim17ROCPRIM_400000_NS6detail17trampoline_kernelINS0_14default_configENS1_27scan_by_key_config_selectorIiiEEZZNS1_16scan_by_key_implILNS1_25lookback_scan_determinismE0ELb0ES3_N6thrust23THRUST_200600_302600_NS6detail15normal_iteratorINS9_10device_ptrIiEEEESE_SE_iNS9_4plusIvEE19head_flag_predicateIiEiEE10hipError_tPvRmT2_T3_T4_T5_mT6_T7_P12ihipStream_tbENKUlT_T0_E_clISt17integral_constantIbLb1EESY_IbLb0EEEEDaSU_SV_EUlSU_E_NS1_11comp_targetILNS1_3genE4ELNS1_11target_archE910ELNS1_3gpuE8ELNS1_3repE0EEENS1_30default_config_static_selectorELNS0_4arch9wavefront6targetE1EEEvT1_
    .private_segment_fixed_size: 0
    .sgpr_count:     64
    .sgpr_spill_count: 0
    .symbol:         _ZN7rocprim17ROCPRIM_400000_NS6detail17trampoline_kernelINS0_14default_configENS1_27scan_by_key_config_selectorIiiEEZZNS1_16scan_by_key_implILNS1_25lookback_scan_determinismE0ELb0ES3_N6thrust23THRUST_200600_302600_NS6detail15normal_iteratorINS9_10device_ptrIiEEEESE_SE_iNS9_4plusIvEE19head_flag_predicateIiEiEE10hipError_tPvRmT2_T3_T4_T5_mT6_T7_P12ihipStream_tbENKUlT_T0_E_clISt17integral_constantIbLb1EESY_IbLb0EEEEDaSU_SV_EUlSU_E_NS1_11comp_targetILNS1_3genE4ELNS1_11target_archE910ELNS1_3gpuE8ELNS1_3repE0EEENS1_30default_config_static_selectorELNS0_4arch9wavefront6targetE1EEEvT1_.kd
    .uniform_work_group_size: 1
    .uses_dynamic_stack: false
    .vgpr_count:     65
    .vgpr_spill_count: 0
    .wavefront_size: 64
  - .agpr_count:     0
    .args:
      - .offset:         0
        .size:           112
        .value_kind:     by_value
    .group_segment_fixed_size: 0
    .kernarg_segment_align: 8
    .kernarg_segment_size: 112
    .language:       OpenCL C
    .language_version:
      - 2
      - 0
    .max_flat_workgroup_size: 256
    .name:           _ZN7rocprim17ROCPRIM_400000_NS6detail17trampoline_kernelINS0_14default_configENS1_27scan_by_key_config_selectorIiiEEZZNS1_16scan_by_key_implILNS1_25lookback_scan_determinismE0ELb0ES3_N6thrust23THRUST_200600_302600_NS6detail15normal_iteratorINS9_10device_ptrIiEEEESE_SE_iNS9_4plusIvEE19head_flag_predicateIiEiEE10hipError_tPvRmT2_T3_T4_T5_mT6_T7_P12ihipStream_tbENKUlT_T0_E_clISt17integral_constantIbLb1EESY_IbLb0EEEEDaSU_SV_EUlSU_E_NS1_11comp_targetILNS1_3genE3ELNS1_11target_archE908ELNS1_3gpuE7ELNS1_3repE0EEENS1_30default_config_static_selectorELNS0_4arch9wavefront6targetE1EEEvT1_
    .private_segment_fixed_size: 0
    .sgpr_count:     4
    .sgpr_spill_count: 0
    .symbol:         _ZN7rocprim17ROCPRIM_400000_NS6detail17trampoline_kernelINS0_14default_configENS1_27scan_by_key_config_selectorIiiEEZZNS1_16scan_by_key_implILNS1_25lookback_scan_determinismE0ELb0ES3_N6thrust23THRUST_200600_302600_NS6detail15normal_iteratorINS9_10device_ptrIiEEEESE_SE_iNS9_4plusIvEE19head_flag_predicateIiEiEE10hipError_tPvRmT2_T3_T4_T5_mT6_T7_P12ihipStream_tbENKUlT_T0_E_clISt17integral_constantIbLb1EESY_IbLb0EEEEDaSU_SV_EUlSU_E_NS1_11comp_targetILNS1_3genE3ELNS1_11target_archE908ELNS1_3gpuE7ELNS1_3repE0EEENS1_30default_config_static_selectorELNS0_4arch9wavefront6targetE1EEEvT1_.kd
    .uniform_work_group_size: 1
    .uses_dynamic_stack: false
    .vgpr_count:     0
    .vgpr_spill_count: 0
    .wavefront_size: 64
  - .agpr_count:     0
    .args:
      - .offset:         0
        .size:           112
        .value_kind:     by_value
    .group_segment_fixed_size: 0
    .kernarg_segment_align: 8
    .kernarg_segment_size: 112
    .language:       OpenCL C
    .language_version:
      - 2
      - 0
    .max_flat_workgroup_size: 256
    .name:           _ZN7rocprim17ROCPRIM_400000_NS6detail17trampoline_kernelINS0_14default_configENS1_27scan_by_key_config_selectorIiiEEZZNS1_16scan_by_key_implILNS1_25lookback_scan_determinismE0ELb0ES3_N6thrust23THRUST_200600_302600_NS6detail15normal_iteratorINS9_10device_ptrIiEEEESE_SE_iNS9_4plusIvEE19head_flag_predicateIiEiEE10hipError_tPvRmT2_T3_T4_T5_mT6_T7_P12ihipStream_tbENKUlT_T0_E_clISt17integral_constantIbLb1EESY_IbLb0EEEEDaSU_SV_EUlSU_E_NS1_11comp_targetILNS1_3genE2ELNS1_11target_archE906ELNS1_3gpuE6ELNS1_3repE0EEENS1_30default_config_static_selectorELNS0_4arch9wavefront6targetE1EEEvT1_
    .private_segment_fixed_size: 0
    .sgpr_count:     4
    .sgpr_spill_count: 0
    .symbol:         _ZN7rocprim17ROCPRIM_400000_NS6detail17trampoline_kernelINS0_14default_configENS1_27scan_by_key_config_selectorIiiEEZZNS1_16scan_by_key_implILNS1_25lookback_scan_determinismE0ELb0ES3_N6thrust23THRUST_200600_302600_NS6detail15normal_iteratorINS9_10device_ptrIiEEEESE_SE_iNS9_4plusIvEE19head_flag_predicateIiEiEE10hipError_tPvRmT2_T3_T4_T5_mT6_T7_P12ihipStream_tbENKUlT_T0_E_clISt17integral_constantIbLb1EESY_IbLb0EEEEDaSU_SV_EUlSU_E_NS1_11comp_targetILNS1_3genE2ELNS1_11target_archE906ELNS1_3gpuE6ELNS1_3repE0EEENS1_30default_config_static_selectorELNS0_4arch9wavefront6targetE1EEEvT1_.kd
    .uniform_work_group_size: 1
    .uses_dynamic_stack: false
    .vgpr_count:     0
    .vgpr_spill_count: 0
    .wavefront_size: 64
  - .agpr_count:     0
    .args:
      - .offset:         0
        .size:           112
        .value_kind:     by_value
    .group_segment_fixed_size: 0
    .kernarg_segment_align: 8
    .kernarg_segment_size: 112
    .language:       OpenCL C
    .language_version:
      - 2
      - 0
    .max_flat_workgroup_size: 256
    .name:           _ZN7rocprim17ROCPRIM_400000_NS6detail17trampoline_kernelINS0_14default_configENS1_27scan_by_key_config_selectorIiiEEZZNS1_16scan_by_key_implILNS1_25lookback_scan_determinismE0ELb0ES3_N6thrust23THRUST_200600_302600_NS6detail15normal_iteratorINS9_10device_ptrIiEEEESE_SE_iNS9_4plusIvEE19head_flag_predicateIiEiEE10hipError_tPvRmT2_T3_T4_T5_mT6_T7_P12ihipStream_tbENKUlT_T0_E_clISt17integral_constantIbLb1EESY_IbLb0EEEEDaSU_SV_EUlSU_E_NS1_11comp_targetILNS1_3genE10ELNS1_11target_archE1200ELNS1_3gpuE4ELNS1_3repE0EEENS1_30default_config_static_selectorELNS0_4arch9wavefront6targetE1EEEvT1_
    .private_segment_fixed_size: 0
    .sgpr_count:     4
    .sgpr_spill_count: 0
    .symbol:         _ZN7rocprim17ROCPRIM_400000_NS6detail17trampoline_kernelINS0_14default_configENS1_27scan_by_key_config_selectorIiiEEZZNS1_16scan_by_key_implILNS1_25lookback_scan_determinismE0ELb0ES3_N6thrust23THRUST_200600_302600_NS6detail15normal_iteratorINS9_10device_ptrIiEEEESE_SE_iNS9_4plusIvEE19head_flag_predicateIiEiEE10hipError_tPvRmT2_T3_T4_T5_mT6_T7_P12ihipStream_tbENKUlT_T0_E_clISt17integral_constantIbLb1EESY_IbLb0EEEEDaSU_SV_EUlSU_E_NS1_11comp_targetILNS1_3genE10ELNS1_11target_archE1200ELNS1_3gpuE4ELNS1_3repE0EEENS1_30default_config_static_selectorELNS0_4arch9wavefront6targetE1EEEvT1_.kd
    .uniform_work_group_size: 1
    .uses_dynamic_stack: false
    .vgpr_count:     0
    .vgpr_spill_count: 0
    .wavefront_size: 64
  - .agpr_count:     0
    .args:
      - .offset:         0
        .size:           112
        .value_kind:     by_value
    .group_segment_fixed_size: 0
    .kernarg_segment_align: 8
    .kernarg_segment_size: 112
    .language:       OpenCL C
    .language_version:
      - 2
      - 0
    .max_flat_workgroup_size: 256
    .name:           _ZN7rocprim17ROCPRIM_400000_NS6detail17trampoline_kernelINS0_14default_configENS1_27scan_by_key_config_selectorIiiEEZZNS1_16scan_by_key_implILNS1_25lookback_scan_determinismE0ELb0ES3_N6thrust23THRUST_200600_302600_NS6detail15normal_iteratorINS9_10device_ptrIiEEEESE_SE_iNS9_4plusIvEE19head_flag_predicateIiEiEE10hipError_tPvRmT2_T3_T4_T5_mT6_T7_P12ihipStream_tbENKUlT_T0_E_clISt17integral_constantIbLb1EESY_IbLb0EEEEDaSU_SV_EUlSU_E_NS1_11comp_targetILNS1_3genE9ELNS1_11target_archE1100ELNS1_3gpuE3ELNS1_3repE0EEENS1_30default_config_static_selectorELNS0_4arch9wavefront6targetE1EEEvT1_
    .private_segment_fixed_size: 0
    .sgpr_count:     4
    .sgpr_spill_count: 0
    .symbol:         _ZN7rocprim17ROCPRIM_400000_NS6detail17trampoline_kernelINS0_14default_configENS1_27scan_by_key_config_selectorIiiEEZZNS1_16scan_by_key_implILNS1_25lookback_scan_determinismE0ELb0ES3_N6thrust23THRUST_200600_302600_NS6detail15normal_iteratorINS9_10device_ptrIiEEEESE_SE_iNS9_4plusIvEE19head_flag_predicateIiEiEE10hipError_tPvRmT2_T3_T4_T5_mT6_T7_P12ihipStream_tbENKUlT_T0_E_clISt17integral_constantIbLb1EESY_IbLb0EEEEDaSU_SV_EUlSU_E_NS1_11comp_targetILNS1_3genE9ELNS1_11target_archE1100ELNS1_3gpuE3ELNS1_3repE0EEENS1_30default_config_static_selectorELNS0_4arch9wavefront6targetE1EEEvT1_.kd
    .uniform_work_group_size: 1
    .uses_dynamic_stack: false
    .vgpr_count:     0
    .vgpr_spill_count: 0
    .wavefront_size: 64
  - .agpr_count:     0
    .args:
      - .offset:         0
        .size:           112
        .value_kind:     by_value
    .group_segment_fixed_size: 0
    .kernarg_segment_align: 8
    .kernarg_segment_size: 112
    .language:       OpenCL C
    .language_version:
      - 2
      - 0
    .max_flat_workgroup_size: 256
    .name:           _ZN7rocprim17ROCPRIM_400000_NS6detail17trampoline_kernelINS0_14default_configENS1_27scan_by_key_config_selectorIiiEEZZNS1_16scan_by_key_implILNS1_25lookback_scan_determinismE0ELb0ES3_N6thrust23THRUST_200600_302600_NS6detail15normal_iteratorINS9_10device_ptrIiEEEESE_SE_iNS9_4plusIvEE19head_flag_predicateIiEiEE10hipError_tPvRmT2_T3_T4_T5_mT6_T7_P12ihipStream_tbENKUlT_T0_E_clISt17integral_constantIbLb1EESY_IbLb0EEEEDaSU_SV_EUlSU_E_NS1_11comp_targetILNS1_3genE8ELNS1_11target_archE1030ELNS1_3gpuE2ELNS1_3repE0EEENS1_30default_config_static_selectorELNS0_4arch9wavefront6targetE1EEEvT1_
    .private_segment_fixed_size: 0
    .sgpr_count:     4
    .sgpr_spill_count: 0
    .symbol:         _ZN7rocprim17ROCPRIM_400000_NS6detail17trampoline_kernelINS0_14default_configENS1_27scan_by_key_config_selectorIiiEEZZNS1_16scan_by_key_implILNS1_25lookback_scan_determinismE0ELb0ES3_N6thrust23THRUST_200600_302600_NS6detail15normal_iteratorINS9_10device_ptrIiEEEESE_SE_iNS9_4plusIvEE19head_flag_predicateIiEiEE10hipError_tPvRmT2_T3_T4_T5_mT6_T7_P12ihipStream_tbENKUlT_T0_E_clISt17integral_constantIbLb1EESY_IbLb0EEEEDaSU_SV_EUlSU_E_NS1_11comp_targetILNS1_3genE8ELNS1_11target_archE1030ELNS1_3gpuE2ELNS1_3repE0EEENS1_30default_config_static_selectorELNS0_4arch9wavefront6targetE1EEEvT1_.kd
    .uniform_work_group_size: 1
    .uses_dynamic_stack: false
    .vgpr_count:     0
    .vgpr_spill_count: 0
    .wavefront_size: 64
  - .agpr_count:     0
    .args:
      - .offset:         0
        .size:           112
        .value_kind:     by_value
    .group_segment_fixed_size: 0
    .kernarg_segment_align: 8
    .kernarg_segment_size: 112
    .language:       OpenCL C
    .language_version:
      - 2
      - 0
    .max_flat_workgroup_size: 256
    .name:           _ZN7rocprim17ROCPRIM_400000_NS6detail17trampoline_kernelINS0_14default_configENS1_27scan_by_key_config_selectorIiiEEZZNS1_16scan_by_key_implILNS1_25lookback_scan_determinismE0ELb0ES3_N6thrust23THRUST_200600_302600_NS6detail15normal_iteratorINS9_10device_ptrIiEEEESE_SE_iNS9_4plusIvEE19head_flag_predicateIiEiEE10hipError_tPvRmT2_T3_T4_T5_mT6_T7_P12ihipStream_tbENKUlT_T0_E_clISt17integral_constantIbLb0EESY_IbLb1EEEEDaSU_SV_EUlSU_E_NS1_11comp_targetILNS1_3genE0ELNS1_11target_archE4294967295ELNS1_3gpuE0ELNS1_3repE0EEENS1_30default_config_static_selectorELNS0_4arch9wavefront6targetE1EEEvT1_
    .private_segment_fixed_size: 0
    .sgpr_count:     4
    .sgpr_spill_count: 0
    .symbol:         _ZN7rocprim17ROCPRIM_400000_NS6detail17trampoline_kernelINS0_14default_configENS1_27scan_by_key_config_selectorIiiEEZZNS1_16scan_by_key_implILNS1_25lookback_scan_determinismE0ELb0ES3_N6thrust23THRUST_200600_302600_NS6detail15normal_iteratorINS9_10device_ptrIiEEEESE_SE_iNS9_4plusIvEE19head_flag_predicateIiEiEE10hipError_tPvRmT2_T3_T4_T5_mT6_T7_P12ihipStream_tbENKUlT_T0_E_clISt17integral_constantIbLb0EESY_IbLb1EEEEDaSU_SV_EUlSU_E_NS1_11comp_targetILNS1_3genE0ELNS1_11target_archE4294967295ELNS1_3gpuE0ELNS1_3repE0EEENS1_30default_config_static_selectorELNS0_4arch9wavefront6targetE1EEEvT1_.kd
    .uniform_work_group_size: 1
    .uses_dynamic_stack: false
    .vgpr_count:     0
    .vgpr_spill_count: 0
    .wavefront_size: 64
  - .agpr_count:     0
    .args:
      - .offset:         0
        .size:           112
        .value_kind:     by_value
    .group_segment_fixed_size: 0
    .kernarg_segment_align: 8
    .kernarg_segment_size: 112
    .language:       OpenCL C
    .language_version:
      - 2
      - 0
    .max_flat_workgroup_size: 256
    .name:           _ZN7rocprim17ROCPRIM_400000_NS6detail17trampoline_kernelINS0_14default_configENS1_27scan_by_key_config_selectorIiiEEZZNS1_16scan_by_key_implILNS1_25lookback_scan_determinismE0ELb0ES3_N6thrust23THRUST_200600_302600_NS6detail15normal_iteratorINS9_10device_ptrIiEEEESE_SE_iNS9_4plusIvEE19head_flag_predicateIiEiEE10hipError_tPvRmT2_T3_T4_T5_mT6_T7_P12ihipStream_tbENKUlT_T0_E_clISt17integral_constantIbLb0EESY_IbLb1EEEEDaSU_SV_EUlSU_E_NS1_11comp_targetILNS1_3genE10ELNS1_11target_archE1201ELNS1_3gpuE5ELNS1_3repE0EEENS1_30default_config_static_selectorELNS0_4arch9wavefront6targetE1EEEvT1_
    .private_segment_fixed_size: 0
    .sgpr_count:     4
    .sgpr_spill_count: 0
    .symbol:         _ZN7rocprim17ROCPRIM_400000_NS6detail17trampoline_kernelINS0_14default_configENS1_27scan_by_key_config_selectorIiiEEZZNS1_16scan_by_key_implILNS1_25lookback_scan_determinismE0ELb0ES3_N6thrust23THRUST_200600_302600_NS6detail15normal_iteratorINS9_10device_ptrIiEEEESE_SE_iNS9_4plusIvEE19head_flag_predicateIiEiEE10hipError_tPvRmT2_T3_T4_T5_mT6_T7_P12ihipStream_tbENKUlT_T0_E_clISt17integral_constantIbLb0EESY_IbLb1EEEEDaSU_SV_EUlSU_E_NS1_11comp_targetILNS1_3genE10ELNS1_11target_archE1201ELNS1_3gpuE5ELNS1_3repE0EEENS1_30default_config_static_selectorELNS0_4arch9wavefront6targetE1EEEvT1_.kd
    .uniform_work_group_size: 1
    .uses_dynamic_stack: false
    .vgpr_count:     0
    .vgpr_spill_count: 0
    .wavefront_size: 64
  - .agpr_count:     0
    .args:
      - .offset:         0
        .size:           112
        .value_kind:     by_value
    .group_segment_fixed_size: 0
    .kernarg_segment_align: 8
    .kernarg_segment_size: 112
    .language:       OpenCL C
    .language_version:
      - 2
      - 0
    .max_flat_workgroup_size: 256
    .name:           _ZN7rocprim17ROCPRIM_400000_NS6detail17trampoline_kernelINS0_14default_configENS1_27scan_by_key_config_selectorIiiEEZZNS1_16scan_by_key_implILNS1_25lookback_scan_determinismE0ELb0ES3_N6thrust23THRUST_200600_302600_NS6detail15normal_iteratorINS9_10device_ptrIiEEEESE_SE_iNS9_4plusIvEE19head_flag_predicateIiEiEE10hipError_tPvRmT2_T3_T4_T5_mT6_T7_P12ihipStream_tbENKUlT_T0_E_clISt17integral_constantIbLb0EESY_IbLb1EEEEDaSU_SV_EUlSU_E_NS1_11comp_targetILNS1_3genE5ELNS1_11target_archE942ELNS1_3gpuE9ELNS1_3repE0EEENS1_30default_config_static_selectorELNS0_4arch9wavefront6targetE1EEEvT1_
    .private_segment_fixed_size: 0
    .sgpr_count:     4
    .sgpr_spill_count: 0
    .symbol:         _ZN7rocprim17ROCPRIM_400000_NS6detail17trampoline_kernelINS0_14default_configENS1_27scan_by_key_config_selectorIiiEEZZNS1_16scan_by_key_implILNS1_25lookback_scan_determinismE0ELb0ES3_N6thrust23THRUST_200600_302600_NS6detail15normal_iteratorINS9_10device_ptrIiEEEESE_SE_iNS9_4plusIvEE19head_flag_predicateIiEiEE10hipError_tPvRmT2_T3_T4_T5_mT6_T7_P12ihipStream_tbENKUlT_T0_E_clISt17integral_constantIbLb0EESY_IbLb1EEEEDaSU_SV_EUlSU_E_NS1_11comp_targetILNS1_3genE5ELNS1_11target_archE942ELNS1_3gpuE9ELNS1_3repE0EEENS1_30default_config_static_selectorELNS0_4arch9wavefront6targetE1EEEvT1_.kd
    .uniform_work_group_size: 1
    .uses_dynamic_stack: false
    .vgpr_count:     0
    .vgpr_spill_count: 0
    .wavefront_size: 64
  - .agpr_count:     0
    .args:
      - .offset:         0
        .size:           112
        .value_kind:     by_value
    .group_segment_fixed_size: 16384
    .kernarg_segment_align: 8
    .kernarg_segment_size: 112
    .language:       OpenCL C
    .language_version:
      - 2
      - 0
    .max_flat_workgroup_size: 256
    .name:           _ZN7rocprim17ROCPRIM_400000_NS6detail17trampoline_kernelINS0_14default_configENS1_27scan_by_key_config_selectorIiiEEZZNS1_16scan_by_key_implILNS1_25lookback_scan_determinismE0ELb0ES3_N6thrust23THRUST_200600_302600_NS6detail15normal_iteratorINS9_10device_ptrIiEEEESE_SE_iNS9_4plusIvEE19head_flag_predicateIiEiEE10hipError_tPvRmT2_T3_T4_T5_mT6_T7_P12ihipStream_tbENKUlT_T0_E_clISt17integral_constantIbLb0EESY_IbLb1EEEEDaSU_SV_EUlSU_E_NS1_11comp_targetILNS1_3genE4ELNS1_11target_archE910ELNS1_3gpuE8ELNS1_3repE0EEENS1_30default_config_static_selectorELNS0_4arch9wavefront6targetE1EEEvT1_
    .private_segment_fixed_size: 0
    .sgpr_count:     68
    .sgpr_spill_count: 0
    .symbol:         _ZN7rocprim17ROCPRIM_400000_NS6detail17trampoline_kernelINS0_14default_configENS1_27scan_by_key_config_selectorIiiEEZZNS1_16scan_by_key_implILNS1_25lookback_scan_determinismE0ELb0ES3_N6thrust23THRUST_200600_302600_NS6detail15normal_iteratorINS9_10device_ptrIiEEEESE_SE_iNS9_4plusIvEE19head_flag_predicateIiEiEE10hipError_tPvRmT2_T3_T4_T5_mT6_T7_P12ihipStream_tbENKUlT_T0_E_clISt17integral_constantIbLb0EESY_IbLb1EEEEDaSU_SV_EUlSU_E_NS1_11comp_targetILNS1_3genE4ELNS1_11target_archE910ELNS1_3gpuE8ELNS1_3repE0EEENS1_30default_config_static_selectorELNS0_4arch9wavefront6targetE1EEEvT1_.kd
    .uniform_work_group_size: 1
    .uses_dynamic_stack: false
    .vgpr_count:     65
    .vgpr_spill_count: 0
    .wavefront_size: 64
  - .agpr_count:     0
    .args:
      - .offset:         0
        .size:           112
        .value_kind:     by_value
    .group_segment_fixed_size: 0
    .kernarg_segment_align: 8
    .kernarg_segment_size: 112
    .language:       OpenCL C
    .language_version:
      - 2
      - 0
    .max_flat_workgroup_size: 256
    .name:           _ZN7rocprim17ROCPRIM_400000_NS6detail17trampoline_kernelINS0_14default_configENS1_27scan_by_key_config_selectorIiiEEZZNS1_16scan_by_key_implILNS1_25lookback_scan_determinismE0ELb0ES3_N6thrust23THRUST_200600_302600_NS6detail15normal_iteratorINS9_10device_ptrIiEEEESE_SE_iNS9_4plusIvEE19head_flag_predicateIiEiEE10hipError_tPvRmT2_T3_T4_T5_mT6_T7_P12ihipStream_tbENKUlT_T0_E_clISt17integral_constantIbLb0EESY_IbLb1EEEEDaSU_SV_EUlSU_E_NS1_11comp_targetILNS1_3genE3ELNS1_11target_archE908ELNS1_3gpuE7ELNS1_3repE0EEENS1_30default_config_static_selectorELNS0_4arch9wavefront6targetE1EEEvT1_
    .private_segment_fixed_size: 0
    .sgpr_count:     4
    .sgpr_spill_count: 0
    .symbol:         _ZN7rocprim17ROCPRIM_400000_NS6detail17trampoline_kernelINS0_14default_configENS1_27scan_by_key_config_selectorIiiEEZZNS1_16scan_by_key_implILNS1_25lookback_scan_determinismE0ELb0ES3_N6thrust23THRUST_200600_302600_NS6detail15normal_iteratorINS9_10device_ptrIiEEEESE_SE_iNS9_4plusIvEE19head_flag_predicateIiEiEE10hipError_tPvRmT2_T3_T4_T5_mT6_T7_P12ihipStream_tbENKUlT_T0_E_clISt17integral_constantIbLb0EESY_IbLb1EEEEDaSU_SV_EUlSU_E_NS1_11comp_targetILNS1_3genE3ELNS1_11target_archE908ELNS1_3gpuE7ELNS1_3repE0EEENS1_30default_config_static_selectorELNS0_4arch9wavefront6targetE1EEEvT1_.kd
    .uniform_work_group_size: 1
    .uses_dynamic_stack: false
    .vgpr_count:     0
    .vgpr_spill_count: 0
    .wavefront_size: 64
  - .agpr_count:     0
    .args:
      - .offset:         0
        .size:           112
        .value_kind:     by_value
    .group_segment_fixed_size: 0
    .kernarg_segment_align: 8
    .kernarg_segment_size: 112
    .language:       OpenCL C
    .language_version:
      - 2
      - 0
    .max_flat_workgroup_size: 256
    .name:           _ZN7rocprim17ROCPRIM_400000_NS6detail17trampoline_kernelINS0_14default_configENS1_27scan_by_key_config_selectorIiiEEZZNS1_16scan_by_key_implILNS1_25lookback_scan_determinismE0ELb0ES3_N6thrust23THRUST_200600_302600_NS6detail15normal_iteratorINS9_10device_ptrIiEEEESE_SE_iNS9_4plusIvEE19head_flag_predicateIiEiEE10hipError_tPvRmT2_T3_T4_T5_mT6_T7_P12ihipStream_tbENKUlT_T0_E_clISt17integral_constantIbLb0EESY_IbLb1EEEEDaSU_SV_EUlSU_E_NS1_11comp_targetILNS1_3genE2ELNS1_11target_archE906ELNS1_3gpuE6ELNS1_3repE0EEENS1_30default_config_static_selectorELNS0_4arch9wavefront6targetE1EEEvT1_
    .private_segment_fixed_size: 0
    .sgpr_count:     4
    .sgpr_spill_count: 0
    .symbol:         _ZN7rocprim17ROCPRIM_400000_NS6detail17trampoline_kernelINS0_14default_configENS1_27scan_by_key_config_selectorIiiEEZZNS1_16scan_by_key_implILNS1_25lookback_scan_determinismE0ELb0ES3_N6thrust23THRUST_200600_302600_NS6detail15normal_iteratorINS9_10device_ptrIiEEEESE_SE_iNS9_4plusIvEE19head_flag_predicateIiEiEE10hipError_tPvRmT2_T3_T4_T5_mT6_T7_P12ihipStream_tbENKUlT_T0_E_clISt17integral_constantIbLb0EESY_IbLb1EEEEDaSU_SV_EUlSU_E_NS1_11comp_targetILNS1_3genE2ELNS1_11target_archE906ELNS1_3gpuE6ELNS1_3repE0EEENS1_30default_config_static_selectorELNS0_4arch9wavefront6targetE1EEEvT1_.kd
    .uniform_work_group_size: 1
    .uses_dynamic_stack: false
    .vgpr_count:     0
    .vgpr_spill_count: 0
    .wavefront_size: 64
  - .agpr_count:     0
    .args:
      - .offset:         0
        .size:           112
        .value_kind:     by_value
    .group_segment_fixed_size: 0
    .kernarg_segment_align: 8
    .kernarg_segment_size: 112
    .language:       OpenCL C
    .language_version:
      - 2
      - 0
    .max_flat_workgroup_size: 256
    .name:           _ZN7rocprim17ROCPRIM_400000_NS6detail17trampoline_kernelINS0_14default_configENS1_27scan_by_key_config_selectorIiiEEZZNS1_16scan_by_key_implILNS1_25lookback_scan_determinismE0ELb0ES3_N6thrust23THRUST_200600_302600_NS6detail15normal_iteratorINS9_10device_ptrIiEEEESE_SE_iNS9_4plusIvEE19head_flag_predicateIiEiEE10hipError_tPvRmT2_T3_T4_T5_mT6_T7_P12ihipStream_tbENKUlT_T0_E_clISt17integral_constantIbLb0EESY_IbLb1EEEEDaSU_SV_EUlSU_E_NS1_11comp_targetILNS1_3genE10ELNS1_11target_archE1200ELNS1_3gpuE4ELNS1_3repE0EEENS1_30default_config_static_selectorELNS0_4arch9wavefront6targetE1EEEvT1_
    .private_segment_fixed_size: 0
    .sgpr_count:     4
    .sgpr_spill_count: 0
    .symbol:         _ZN7rocprim17ROCPRIM_400000_NS6detail17trampoline_kernelINS0_14default_configENS1_27scan_by_key_config_selectorIiiEEZZNS1_16scan_by_key_implILNS1_25lookback_scan_determinismE0ELb0ES3_N6thrust23THRUST_200600_302600_NS6detail15normal_iteratorINS9_10device_ptrIiEEEESE_SE_iNS9_4plusIvEE19head_flag_predicateIiEiEE10hipError_tPvRmT2_T3_T4_T5_mT6_T7_P12ihipStream_tbENKUlT_T0_E_clISt17integral_constantIbLb0EESY_IbLb1EEEEDaSU_SV_EUlSU_E_NS1_11comp_targetILNS1_3genE10ELNS1_11target_archE1200ELNS1_3gpuE4ELNS1_3repE0EEENS1_30default_config_static_selectorELNS0_4arch9wavefront6targetE1EEEvT1_.kd
    .uniform_work_group_size: 1
    .uses_dynamic_stack: false
    .vgpr_count:     0
    .vgpr_spill_count: 0
    .wavefront_size: 64
  - .agpr_count:     0
    .args:
      - .offset:         0
        .size:           112
        .value_kind:     by_value
    .group_segment_fixed_size: 0
    .kernarg_segment_align: 8
    .kernarg_segment_size: 112
    .language:       OpenCL C
    .language_version:
      - 2
      - 0
    .max_flat_workgroup_size: 256
    .name:           _ZN7rocprim17ROCPRIM_400000_NS6detail17trampoline_kernelINS0_14default_configENS1_27scan_by_key_config_selectorIiiEEZZNS1_16scan_by_key_implILNS1_25lookback_scan_determinismE0ELb0ES3_N6thrust23THRUST_200600_302600_NS6detail15normal_iteratorINS9_10device_ptrIiEEEESE_SE_iNS9_4plusIvEE19head_flag_predicateIiEiEE10hipError_tPvRmT2_T3_T4_T5_mT6_T7_P12ihipStream_tbENKUlT_T0_E_clISt17integral_constantIbLb0EESY_IbLb1EEEEDaSU_SV_EUlSU_E_NS1_11comp_targetILNS1_3genE9ELNS1_11target_archE1100ELNS1_3gpuE3ELNS1_3repE0EEENS1_30default_config_static_selectorELNS0_4arch9wavefront6targetE1EEEvT1_
    .private_segment_fixed_size: 0
    .sgpr_count:     4
    .sgpr_spill_count: 0
    .symbol:         _ZN7rocprim17ROCPRIM_400000_NS6detail17trampoline_kernelINS0_14default_configENS1_27scan_by_key_config_selectorIiiEEZZNS1_16scan_by_key_implILNS1_25lookback_scan_determinismE0ELb0ES3_N6thrust23THRUST_200600_302600_NS6detail15normal_iteratorINS9_10device_ptrIiEEEESE_SE_iNS9_4plusIvEE19head_flag_predicateIiEiEE10hipError_tPvRmT2_T3_T4_T5_mT6_T7_P12ihipStream_tbENKUlT_T0_E_clISt17integral_constantIbLb0EESY_IbLb1EEEEDaSU_SV_EUlSU_E_NS1_11comp_targetILNS1_3genE9ELNS1_11target_archE1100ELNS1_3gpuE3ELNS1_3repE0EEENS1_30default_config_static_selectorELNS0_4arch9wavefront6targetE1EEEvT1_.kd
    .uniform_work_group_size: 1
    .uses_dynamic_stack: false
    .vgpr_count:     0
    .vgpr_spill_count: 0
    .wavefront_size: 64
  - .agpr_count:     0
    .args:
      - .offset:         0
        .size:           112
        .value_kind:     by_value
    .group_segment_fixed_size: 0
    .kernarg_segment_align: 8
    .kernarg_segment_size: 112
    .language:       OpenCL C
    .language_version:
      - 2
      - 0
    .max_flat_workgroup_size: 256
    .name:           _ZN7rocprim17ROCPRIM_400000_NS6detail17trampoline_kernelINS0_14default_configENS1_27scan_by_key_config_selectorIiiEEZZNS1_16scan_by_key_implILNS1_25lookback_scan_determinismE0ELb0ES3_N6thrust23THRUST_200600_302600_NS6detail15normal_iteratorINS9_10device_ptrIiEEEESE_SE_iNS9_4plusIvEE19head_flag_predicateIiEiEE10hipError_tPvRmT2_T3_T4_T5_mT6_T7_P12ihipStream_tbENKUlT_T0_E_clISt17integral_constantIbLb0EESY_IbLb1EEEEDaSU_SV_EUlSU_E_NS1_11comp_targetILNS1_3genE8ELNS1_11target_archE1030ELNS1_3gpuE2ELNS1_3repE0EEENS1_30default_config_static_selectorELNS0_4arch9wavefront6targetE1EEEvT1_
    .private_segment_fixed_size: 0
    .sgpr_count:     4
    .sgpr_spill_count: 0
    .symbol:         _ZN7rocprim17ROCPRIM_400000_NS6detail17trampoline_kernelINS0_14default_configENS1_27scan_by_key_config_selectorIiiEEZZNS1_16scan_by_key_implILNS1_25lookback_scan_determinismE0ELb0ES3_N6thrust23THRUST_200600_302600_NS6detail15normal_iteratorINS9_10device_ptrIiEEEESE_SE_iNS9_4plusIvEE19head_flag_predicateIiEiEE10hipError_tPvRmT2_T3_T4_T5_mT6_T7_P12ihipStream_tbENKUlT_T0_E_clISt17integral_constantIbLb0EESY_IbLb1EEEEDaSU_SV_EUlSU_E_NS1_11comp_targetILNS1_3genE8ELNS1_11target_archE1030ELNS1_3gpuE2ELNS1_3repE0EEENS1_30default_config_static_selectorELNS0_4arch9wavefront6targetE1EEEvT1_.kd
    .uniform_work_group_size: 1
    .uses_dynamic_stack: false
    .vgpr_count:     0
    .vgpr_spill_count: 0
    .wavefront_size: 64
  - .agpr_count:     0
    .args:
      - .offset:         0
        .size:           112
        .value_kind:     by_value
    .group_segment_fixed_size: 0
    .kernarg_segment_align: 8
    .kernarg_segment_size: 112
    .language:       OpenCL C
    .language_version:
      - 2
      - 0
    .max_flat_workgroup_size: 256
    .name:           _ZN7rocprim17ROCPRIM_400000_NS6detail17trampoline_kernelINS0_14default_configENS1_27scan_by_key_config_selectorIiiEEZZNS1_16scan_by_key_implILNS1_25lookback_scan_determinismE0ELb1ES3_N6thrust23THRUST_200600_302600_NS6detail15normal_iteratorINS9_10device_ptrIiEEEESE_SE_iNS9_4plusIvEENS9_8equal_toIvEEiEE10hipError_tPvRmT2_T3_T4_T5_mT6_T7_P12ihipStream_tbENKUlT_T0_E_clISt17integral_constantIbLb0EESZ_EEDaSU_SV_EUlSU_E_NS1_11comp_targetILNS1_3genE0ELNS1_11target_archE4294967295ELNS1_3gpuE0ELNS1_3repE0EEENS1_30default_config_static_selectorELNS0_4arch9wavefront6targetE1EEEvT1_
    .private_segment_fixed_size: 0
    .sgpr_count:     4
    .sgpr_spill_count: 0
    .symbol:         _ZN7rocprim17ROCPRIM_400000_NS6detail17trampoline_kernelINS0_14default_configENS1_27scan_by_key_config_selectorIiiEEZZNS1_16scan_by_key_implILNS1_25lookback_scan_determinismE0ELb1ES3_N6thrust23THRUST_200600_302600_NS6detail15normal_iteratorINS9_10device_ptrIiEEEESE_SE_iNS9_4plusIvEENS9_8equal_toIvEEiEE10hipError_tPvRmT2_T3_T4_T5_mT6_T7_P12ihipStream_tbENKUlT_T0_E_clISt17integral_constantIbLb0EESZ_EEDaSU_SV_EUlSU_E_NS1_11comp_targetILNS1_3genE0ELNS1_11target_archE4294967295ELNS1_3gpuE0ELNS1_3repE0EEENS1_30default_config_static_selectorELNS0_4arch9wavefront6targetE1EEEvT1_.kd
    .uniform_work_group_size: 1
    .uses_dynamic_stack: false
    .vgpr_count:     0
    .vgpr_spill_count: 0
    .wavefront_size: 64
  - .agpr_count:     0
    .args:
      - .offset:         0
        .size:           112
        .value_kind:     by_value
    .group_segment_fixed_size: 0
    .kernarg_segment_align: 8
    .kernarg_segment_size: 112
    .language:       OpenCL C
    .language_version:
      - 2
      - 0
    .max_flat_workgroup_size: 256
    .name:           _ZN7rocprim17ROCPRIM_400000_NS6detail17trampoline_kernelINS0_14default_configENS1_27scan_by_key_config_selectorIiiEEZZNS1_16scan_by_key_implILNS1_25lookback_scan_determinismE0ELb1ES3_N6thrust23THRUST_200600_302600_NS6detail15normal_iteratorINS9_10device_ptrIiEEEESE_SE_iNS9_4plusIvEENS9_8equal_toIvEEiEE10hipError_tPvRmT2_T3_T4_T5_mT6_T7_P12ihipStream_tbENKUlT_T0_E_clISt17integral_constantIbLb0EESZ_EEDaSU_SV_EUlSU_E_NS1_11comp_targetILNS1_3genE10ELNS1_11target_archE1201ELNS1_3gpuE5ELNS1_3repE0EEENS1_30default_config_static_selectorELNS0_4arch9wavefront6targetE1EEEvT1_
    .private_segment_fixed_size: 0
    .sgpr_count:     4
    .sgpr_spill_count: 0
    .symbol:         _ZN7rocprim17ROCPRIM_400000_NS6detail17trampoline_kernelINS0_14default_configENS1_27scan_by_key_config_selectorIiiEEZZNS1_16scan_by_key_implILNS1_25lookback_scan_determinismE0ELb1ES3_N6thrust23THRUST_200600_302600_NS6detail15normal_iteratorINS9_10device_ptrIiEEEESE_SE_iNS9_4plusIvEENS9_8equal_toIvEEiEE10hipError_tPvRmT2_T3_T4_T5_mT6_T7_P12ihipStream_tbENKUlT_T0_E_clISt17integral_constantIbLb0EESZ_EEDaSU_SV_EUlSU_E_NS1_11comp_targetILNS1_3genE10ELNS1_11target_archE1201ELNS1_3gpuE5ELNS1_3repE0EEENS1_30default_config_static_selectorELNS0_4arch9wavefront6targetE1EEEvT1_.kd
    .uniform_work_group_size: 1
    .uses_dynamic_stack: false
    .vgpr_count:     0
    .vgpr_spill_count: 0
    .wavefront_size: 64
  - .agpr_count:     0
    .args:
      - .offset:         0
        .size:           112
        .value_kind:     by_value
    .group_segment_fixed_size: 0
    .kernarg_segment_align: 8
    .kernarg_segment_size: 112
    .language:       OpenCL C
    .language_version:
      - 2
      - 0
    .max_flat_workgroup_size: 256
    .name:           _ZN7rocprim17ROCPRIM_400000_NS6detail17trampoline_kernelINS0_14default_configENS1_27scan_by_key_config_selectorIiiEEZZNS1_16scan_by_key_implILNS1_25lookback_scan_determinismE0ELb1ES3_N6thrust23THRUST_200600_302600_NS6detail15normal_iteratorINS9_10device_ptrIiEEEESE_SE_iNS9_4plusIvEENS9_8equal_toIvEEiEE10hipError_tPvRmT2_T3_T4_T5_mT6_T7_P12ihipStream_tbENKUlT_T0_E_clISt17integral_constantIbLb0EESZ_EEDaSU_SV_EUlSU_E_NS1_11comp_targetILNS1_3genE5ELNS1_11target_archE942ELNS1_3gpuE9ELNS1_3repE0EEENS1_30default_config_static_selectorELNS0_4arch9wavefront6targetE1EEEvT1_
    .private_segment_fixed_size: 0
    .sgpr_count:     4
    .sgpr_spill_count: 0
    .symbol:         _ZN7rocprim17ROCPRIM_400000_NS6detail17trampoline_kernelINS0_14default_configENS1_27scan_by_key_config_selectorIiiEEZZNS1_16scan_by_key_implILNS1_25lookback_scan_determinismE0ELb1ES3_N6thrust23THRUST_200600_302600_NS6detail15normal_iteratorINS9_10device_ptrIiEEEESE_SE_iNS9_4plusIvEENS9_8equal_toIvEEiEE10hipError_tPvRmT2_T3_T4_T5_mT6_T7_P12ihipStream_tbENKUlT_T0_E_clISt17integral_constantIbLb0EESZ_EEDaSU_SV_EUlSU_E_NS1_11comp_targetILNS1_3genE5ELNS1_11target_archE942ELNS1_3gpuE9ELNS1_3repE0EEENS1_30default_config_static_selectorELNS0_4arch9wavefront6targetE1EEEvT1_.kd
    .uniform_work_group_size: 1
    .uses_dynamic_stack: false
    .vgpr_count:     0
    .vgpr_spill_count: 0
    .wavefront_size: 64
  - .agpr_count:     0
    .args:
      - .offset:         0
        .size:           112
        .value_kind:     by_value
    .group_segment_fixed_size: 16384
    .kernarg_segment_align: 8
    .kernarg_segment_size: 112
    .language:       OpenCL C
    .language_version:
      - 2
      - 0
    .max_flat_workgroup_size: 256
    .name:           _ZN7rocprim17ROCPRIM_400000_NS6detail17trampoline_kernelINS0_14default_configENS1_27scan_by_key_config_selectorIiiEEZZNS1_16scan_by_key_implILNS1_25lookback_scan_determinismE0ELb1ES3_N6thrust23THRUST_200600_302600_NS6detail15normal_iteratorINS9_10device_ptrIiEEEESE_SE_iNS9_4plusIvEENS9_8equal_toIvEEiEE10hipError_tPvRmT2_T3_T4_T5_mT6_T7_P12ihipStream_tbENKUlT_T0_E_clISt17integral_constantIbLb0EESZ_EEDaSU_SV_EUlSU_E_NS1_11comp_targetILNS1_3genE4ELNS1_11target_archE910ELNS1_3gpuE8ELNS1_3repE0EEENS1_30default_config_static_selectorELNS0_4arch9wavefront6targetE1EEEvT1_
    .private_segment_fixed_size: 0
    .sgpr_count:     64
    .sgpr_spill_count: 0
    .symbol:         _ZN7rocprim17ROCPRIM_400000_NS6detail17trampoline_kernelINS0_14default_configENS1_27scan_by_key_config_selectorIiiEEZZNS1_16scan_by_key_implILNS1_25lookback_scan_determinismE0ELb1ES3_N6thrust23THRUST_200600_302600_NS6detail15normal_iteratorINS9_10device_ptrIiEEEESE_SE_iNS9_4plusIvEENS9_8equal_toIvEEiEE10hipError_tPvRmT2_T3_T4_T5_mT6_T7_P12ihipStream_tbENKUlT_T0_E_clISt17integral_constantIbLb0EESZ_EEDaSU_SV_EUlSU_E_NS1_11comp_targetILNS1_3genE4ELNS1_11target_archE910ELNS1_3gpuE8ELNS1_3repE0EEENS1_30default_config_static_selectorELNS0_4arch9wavefront6targetE1EEEvT1_.kd
    .uniform_work_group_size: 1
    .uses_dynamic_stack: false
    .vgpr_count:     65
    .vgpr_spill_count: 0
    .wavefront_size: 64
  - .agpr_count:     0
    .args:
      - .offset:         0
        .size:           112
        .value_kind:     by_value
    .group_segment_fixed_size: 0
    .kernarg_segment_align: 8
    .kernarg_segment_size: 112
    .language:       OpenCL C
    .language_version:
      - 2
      - 0
    .max_flat_workgroup_size: 256
    .name:           _ZN7rocprim17ROCPRIM_400000_NS6detail17trampoline_kernelINS0_14default_configENS1_27scan_by_key_config_selectorIiiEEZZNS1_16scan_by_key_implILNS1_25lookback_scan_determinismE0ELb1ES3_N6thrust23THRUST_200600_302600_NS6detail15normal_iteratorINS9_10device_ptrIiEEEESE_SE_iNS9_4plusIvEENS9_8equal_toIvEEiEE10hipError_tPvRmT2_T3_T4_T5_mT6_T7_P12ihipStream_tbENKUlT_T0_E_clISt17integral_constantIbLb0EESZ_EEDaSU_SV_EUlSU_E_NS1_11comp_targetILNS1_3genE3ELNS1_11target_archE908ELNS1_3gpuE7ELNS1_3repE0EEENS1_30default_config_static_selectorELNS0_4arch9wavefront6targetE1EEEvT1_
    .private_segment_fixed_size: 0
    .sgpr_count:     4
    .sgpr_spill_count: 0
    .symbol:         _ZN7rocprim17ROCPRIM_400000_NS6detail17trampoline_kernelINS0_14default_configENS1_27scan_by_key_config_selectorIiiEEZZNS1_16scan_by_key_implILNS1_25lookback_scan_determinismE0ELb1ES3_N6thrust23THRUST_200600_302600_NS6detail15normal_iteratorINS9_10device_ptrIiEEEESE_SE_iNS9_4plusIvEENS9_8equal_toIvEEiEE10hipError_tPvRmT2_T3_T4_T5_mT6_T7_P12ihipStream_tbENKUlT_T0_E_clISt17integral_constantIbLb0EESZ_EEDaSU_SV_EUlSU_E_NS1_11comp_targetILNS1_3genE3ELNS1_11target_archE908ELNS1_3gpuE7ELNS1_3repE0EEENS1_30default_config_static_selectorELNS0_4arch9wavefront6targetE1EEEvT1_.kd
    .uniform_work_group_size: 1
    .uses_dynamic_stack: false
    .vgpr_count:     0
    .vgpr_spill_count: 0
    .wavefront_size: 64
  - .agpr_count:     0
    .args:
      - .offset:         0
        .size:           112
        .value_kind:     by_value
    .group_segment_fixed_size: 0
    .kernarg_segment_align: 8
    .kernarg_segment_size: 112
    .language:       OpenCL C
    .language_version:
      - 2
      - 0
    .max_flat_workgroup_size: 256
    .name:           _ZN7rocprim17ROCPRIM_400000_NS6detail17trampoline_kernelINS0_14default_configENS1_27scan_by_key_config_selectorIiiEEZZNS1_16scan_by_key_implILNS1_25lookback_scan_determinismE0ELb1ES3_N6thrust23THRUST_200600_302600_NS6detail15normal_iteratorINS9_10device_ptrIiEEEESE_SE_iNS9_4plusIvEENS9_8equal_toIvEEiEE10hipError_tPvRmT2_T3_T4_T5_mT6_T7_P12ihipStream_tbENKUlT_T0_E_clISt17integral_constantIbLb0EESZ_EEDaSU_SV_EUlSU_E_NS1_11comp_targetILNS1_3genE2ELNS1_11target_archE906ELNS1_3gpuE6ELNS1_3repE0EEENS1_30default_config_static_selectorELNS0_4arch9wavefront6targetE1EEEvT1_
    .private_segment_fixed_size: 0
    .sgpr_count:     4
    .sgpr_spill_count: 0
    .symbol:         _ZN7rocprim17ROCPRIM_400000_NS6detail17trampoline_kernelINS0_14default_configENS1_27scan_by_key_config_selectorIiiEEZZNS1_16scan_by_key_implILNS1_25lookback_scan_determinismE0ELb1ES3_N6thrust23THRUST_200600_302600_NS6detail15normal_iteratorINS9_10device_ptrIiEEEESE_SE_iNS9_4plusIvEENS9_8equal_toIvEEiEE10hipError_tPvRmT2_T3_T4_T5_mT6_T7_P12ihipStream_tbENKUlT_T0_E_clISt17integral_constantIbLb0EESZ_EEDaSU_SV_EUlSU_E_NS1_11comp_targetILNS1_3genE2ELNS1_11target_archE906ELNS1_3gpuE6ELNS1_3repE0EEENS1_30default_config_static_selectorELNS0_4arch9wavefront6targetE1EEEvT1_.kd
    .uniform_work_group_size: 1
    .uses_dynamic_stack: false
    .vgpr_count:     0
    .vgpr_spill_count: 0
    .wavefront_size: 64
  - .agpr_count:     0
    .args:
      - .offset:         0
        .size:           112
        .value_kind:     by_value
    .group_segment_fixed_size: 0
    .kernarg_segment_align: 8
    .kernarg_segment_size: 112
    .language:       OpenCL C
    .language_version:
      - 2
      - 0
    .max_flat_workgroup_size: 256
    .name:           _ZN7rocprim17ROCPRIM_400000_NS6detail17trampoline_kernelINS0_14default_configENS1_27scan_by_key_config_selectorIiiEEZZNS1_16scan_by_key_implILNS1_25lookback_scan_determinismE0ELb1ES3_N6thrust23THRUST_200600_302600_NS6detail15normal_iteratorINS9_10device_ptrIiEEEESE_SE_iNS9_4plusIvEENS9_8equal_toIvEEiEE10hipError_tPvRmT2_T3_T4_T5_mT6_T7_P12ihipStream_tbENKUlT_T0_E_clISt17integral_constantIbLb0EESZ_EEDaSU_SV_EUlSU_E_NS1_11comp_targetILNS1_3genE10ELNS1_11target_archE1200ELNS1_3gpuE4ELNS1_3repE0EEENS1_30default_config_static_selectorELNS0_4arch9wavefront6targetE1EEEvT1_
    .private_segment_fixed_size: 0
    .sgpr_count:     4
    .sgpr_spill_count: 0
    .symbol:         _ZN7rocprim17ROCPRIM_400000_NS6detail17trampoline_kernelINS0_14default_configENS1_27scan_by_key_config_selectorIiiEEZZNS1_16scan_by_key_implILNS1_25lookback_scan_determinismE0ELb1ES3_N6thrust23THRUST_200600_302600_NS6detail15normal_iteratorINS9_10device_ptrIiEEEESE_SE_iNS9_4plusIvEENS9_8equal_toIvEEiEE10hipError_tPvRmT2_T3_T4_T5_mT6_T7_P12ihipStream_tbENKUlT_T0_E_clISt17integral_constantIbLb0EESZ_EEDaSU_SV_EUlSU_E_NS1_11comp_targetILNS1_3genE10ELNS1_11target_archE1200ELNS1_3gpuE4ELNS1_3repE0EEENS1_30default_config_static_selectorELNS0_4arch9wavefront6targetE1EEEvT1_.kd
    .uniform_work_group_size: 1
    .uses_dynamic_stack: false
    .vgpr_count:     0
    .vgpr_spill_count: 0
    .wavefront_size: 64
  - .agpr_count:     0
    .args:
      - .offset:         0
        .size:           112
        .value_kind:     by_value
    .group_segment_fixed_size: 0
    .kernarg_segment_align: 8
    .kernarg_segment_size: 112
    .language:       OpenCL C
    .language_version:
      - 2
      - 0
    .max_flat_workgroup_size: 256
    .name:           _ZN7rocprim17ROCPRIM_400000_NS6detail17trampoline_kernelINS0_14default_configENS1_27scan_by_key_config_selectorIiiEEZZNS1_16scan_by_key_implILNS1_25lookback_scan_determinismE0ELb1ES3_N6thrust23THRUST_200600_302600_NS6detail15normal_iteratorINS9_10device_ptrIiEEEESE_SE_iNS9_4plusIvEENS9_8equal_toIvEEiEE10hipError_tPvRmT2_T3_T4_T5_mT6_T7_P12ihipStream_tbENKUlT_T0_E_clISt17integral_constantIbLb0EESZ_EEDaSU_SV_EUlSU_E_NS1_11comp_targetILNS1_3genE9ELNS1_11target_archE1100ELNS1_3gpuE3ELNS1_3repE0EEENS1_30default_config_static_selectorELNS0_4arch9wavefront6targetE1EEEvT1_
    .private_segment_fixed_size: 0
    .sgpr_count:     4
    .sgpr_spill_count: 0
    .symbol:         _ZN7rocprim17ROCPRIM_400000_NS6detail17trampoline_kernelINS0_14default_configENS1_27scan_by_key_config_selectorIiiEEZZNS1_16scan_by_key_implILNS1_25lookback_scan_determinismE0ELb1ES3_N6thrust23THRUST_200600_302600_NS6detail15normal_iteratorINS9_10device_ptrIiEEEESE_SE_iNS9_4plusIvEENS9_8equal_toIvEEiEE10hipError_tPvRmT2_T3_T4_T5_mT6_T7_P12ihipStream_tbENKUlT_T0_E_clISt17integral_constantIbLb0EESZ_EEDaSU_SV_EUlSU_E_NS1_11comp_targetILNS1_3genE9ELNS1_11target_archE1100ELNS1_3gpuE3ELNS1_3repE0EEENS1_30default_config_static_selectorELNS0_4arch9wavefront6targetE1EEEvT1_.kd
    .uniform_work_group_size: 1
    .uses_dynamic_stack: false
    .vgpr_count:     0
    .vgpr_spill_count: 0
    .wavefront_size: 64
  - .agpr_count:     0
    .args:
      - .offset:         0
        .size:           112
        .value_kind:     by_value
    .group_segment_fixed_size: 0
    .kernarg_segment_align: 8
    .kernarg_segment_size: 112
    .language:       OpenCL C
    .language_version:
      - 2
      - 0
    .max_flat_workgroup_size: 256
    .name:           _ZN7rocprim17ROCPRIM_400000_NS6detail17trampoline_kernelINS0_14default_configENS1_27scan_by_key_config_selectorIiiEEZZNS1_16scan_by_key_implILNS1_25lookback_scan_determinismE0ELb1ES3_N6thrust23THRUST_200600_302600_NS6detail15normal_iteratorINS9_10device_ptrIiEEEESE_SE_iNS9_4plusIvEENS9_8equal_toIvEEiEE10hipError_tPvRmT2_T3_T4_T5_mT6_T7_P12ihipStream_tbENKUlT_T0_E_clISt17integral_constantIbLb0EESZ_EEDaSU_SV_EUlSU_E_NS1_11comp_targetILNS1_3genE8ELNS1_11target_archE1030ELNS1_3gpuE2ELNS1_3repE0EEENS1_30default_config_static_selectorELNS0_4arch9wavefront6targetE1EEEvT1_
    .private_segment_fixed_size: 0
    .sgpr_count:     4
    .sgpr_spill_count: 0
    .symbol:         _ZN7rocprim17ROCPRIM_400000_NS6detail17trampoline_kernelINS0_14default_configENS1_27scan_by_key_config_selectorIiiEEZZNS1_16scan_by_key_implILNS1_25lookback_scan_determinismE0ELb1ES3_N6thrust23THRUST_200600_302600_NS6detail15normal_iteratorINS9_10device_ptrIiEEEESE_SE_iNS9_4plusIvEENS9_8equal_toIvEEiEE10hipError_tPvRmT2_T3_T4_T5_mT6_T7_P12ihipStream_tbENKUlT_T0_E_clISt17integral_constantIbLb0EESZ_EEDaSU_SV_EUlSU_E_NS1_11comp_targetILNS1_3genE8ELNS1_11target_archE1030ELNS1_3gpuE2ELNS1_3repE0EEENS1_30default_config_static_selectorELNS0_4arch9wavefront6targetE1EEEvT1_.kd
    .uniform_work_group_size: 1
    .uses_dynamic_stack: false
    .vgpr_count:     0
    .vgpr_spill_count: 0
    .wavefront_size: 64
  - .agpr_count:     0
    .args:
      - .offset:         0
        .size:           112
        .value_kind:     by_value
    .group_segment_fixed_size: 0
    .kernarg_segment_align: 8
    .kernarg_segment_size: 112
    .language:       OpenCL C
    .language_version:
      - 2
      - 0
    .max_flat_workgroup_size: 256
    .name:           _ZN7rocprim17ROCPRIM_400000_NS6detail17trampoline_kernelINS0_14default_configENS1_27scan_by_key_config_selectorIiiEEZZNS1_16scan_by_key_implILNS1_25lookback_scan_determinismE0ELb1ES3_N6thrust23THRUST_200600_302600_NS6detail15normal_iteratorINS9_10device_ptrIiEEEESE_SE_iNS9_4plusIvEENS9_8equal_toIvEEiEE10hipError_tPvRmT2_T3_T4_T5_mT6_T7_P12ihipStream_tbENKUlT_T0_E_clISt17integral_constantIbLb1EESZ_EEDaSU_SV_EUlSU_E_NS1_11comp_targetILNS1_3genE0ELNS1_11target_archE4294967295ELNS1_3gpuE0ELNS1_3repE0EEENS1_30default_config_static_selectorELNS0_4arch9wavefront6targetE1EEEvT1_
    .private_segment_fixed_size: 0
    .sgpr_count:     4
    .sgpr_spill_count: 0
    .symbol:         _ZN7rocprim17ROCPRIM_400000_NS6detail17trampoline_kernelINS0_14default_configENS1_27scan_by_key_config_selectorIiiEEZZNS1_16scan_by_key_implILNS1_25lookback_scan_determinismE0ELb1ES3_N6thrust23THRUST_200600_302600_NS6detail15normal_iteratorINS9_10device_ptrIiEEEESE_SE_iNS9_4plusIvEENS9_8equal_toIvEEiEE10hipError_tPvRmT2_T3_T4_T5_mT6_T7_P12ihipStream_tbENKUlT_T0_E_clISt17integral_constantIbLb1EESZ_EEDaSU_SV_EUlSU_E_NS1_11comp_targetILNS1_3genE0ELNS1_11target_archE4294967295ELNS1_3gpuE0ELNS1_3repE0EEENS1_30default_config_static_selectorELNS0_4arch9wavefront6targetE1EEEvT1_.kd
    .uniform_work_group_size: 1
    .uses_dynamic_stack: false
    .vgpr_count:     0
    .vgpr_spill_count: 0
    .wavefront_size: 64
  - .agpr_count:     0
    .args:
      - .offset:         0
        .size:           112
        .value_kind:     by_value
    .group_segment_fixed_size: 0
    .kernarg_segment_align: 8
    .kernarg_segment_size: 112
    .language:       OpenCL C
    .language_version:
      - 2
      - 0
    .max_flat_workgroup_size: 256
    .name:           _ZN7rocprim17ROCPRIM_400000_NS6detail17trampoline_kernelINS0_14default_configENS1_27scan_by_key_config_selectorIiiEEZZNS1_16scan_by_key_implILNS1_25lookback_scan_determinismE0ELb1ES3_N6thrust23THRUST_200600_302600_NS6detail15normal_iteratorINS9_10device_ptrIiEEEESE_SE_iNS9_4plusIvEENS9_8equal_toIvEEiEE10hipError_tPvRmT2_T3_T4_T5_mT6_T7_P12ihipStream_tbENKUlT_T0_E_clISt17integral_constantIbLb1EESZ_EEDaSU_SV_EUlSU_E_NS1_11comp_targetILNS1_3genE10ELNS1_11target_archE1201ELNS1_3gpuE5ELNS1_3repE0EEENS1_30default_config_static_selectorELNS0_4arch9wavefront6targetE1EEEvT1_
    .private_segment_fixed_size: 0
    .sgpr_count:     4
    .sgpr_spill_count: 0
    .symbol:         _ZN7rocprim17ROCPRIM_400000_NS6detail17trampoline_kernelINS0_14default_configENS1_27scan_by_key_config_selectorIiiEEZZNS1_16scan_by_key_implILNS1_25lookback_scan_determinismE0ELb1ES3_N6thrust23THRUST_200600_302600_NS6detail15normal_iteratorINS9_10device_ptrIiEEEESE_SE_iNS9_4plusIvEENS9_8equal_toIvEEiEE10hipError_tPvRmT2_T3_T4_T5_mT6_T7_P12ihipStream_tbENKUlT_T0_E_clISt17integral_constantIbLb1EESZ_EEDaSU_SV_EUlSU_E_NS1_11comp_targetILNS1_3genE10ELNS1_11target_archE1201ELNS1_3gpuE5ELNS1_3repE0EEENS1_30default_config_static_selectorELNS0_4arch9wavefront6targetE1EEEvT1_.kd
    .uniform_work_group_size: 1
    .uses_dynamic_stack: false
    .vgpr_count:     0
    .vgpr_spill_count: 0
    .wavefront_size: 64
  - .agpr_count:     0
    .args:
      - .offset:         0
        .size:           112
        .value_kind:     by_value
    .group_segment_fixed_size: 0
    .kernarg_segment_align: 8
    .kernarg_segment_size: 112
    .language:       OpenCL C
    .language_version:
      - 2
      - 0
    .max_flat_workgroup_size: 256
    .name:           _ZN7rocprim17ROCPRIM_400000_NS6detail17trampoline_kernelINS0_14default_configENS1_27scan_by_key_config_selectorIiiEEZZNS1_16scan_by_key_implILNS1_25lookback_scan_determinismE0ELb1ES3_N6thrust23THRUST_200600_302600_NS6detail15normal_iteratorINS9_10device_ptrIiEEEESE_SE_iNS9_4plusIvEENS9_8equal_toIvEEiEE10hipError_tPvRmT2_T3_T4_T5_mT6_T7_P12ihipStream_tbENKUlT_T0_E_clISt17integral_constantIbLb1EESZ_EEDaSU_SV_EUlSU_E_NS1_11comp_targetILNS1_3genE5ELNS1_11target_archE942ELNS1_3gpuE9ELNS1_3repE0EEENS1_30default_config_static_selectorELNS0_4arch9wavefront6targetE1EEEvT1_
    .private_segment_fixed_size: 0
    .sgpr_count:     4
    .sgpr_spill_count: 0
    .symbol:         _ZN7rocprim17ROCPRIM_400000_NS6detail17trampoline_kernelINS0_14default_configENS1_27scan_by_key_config_selectorIiiEEZZNS1_16scan_by_key_implILNS1_25lookback_scan_determinismE0ELb1ES3_N6thrust23THRUST_200600_302600_NS6detail15normal_iteratorINS9_10device_ptrIiEEEESE_SE_iNS9_4plusIvEENS9_8equal_toIvEEiEE10hipError_tPvRmT2_T3_T4_T5_mT6_T7_P12ihipStream_tbENKUlT_T0_E_clISt17integral_constantIbLb1EESZ_EEDaSU_SV_EUlSU_E_NS1_11comp_targetILNS1_3genE5ELNS1_11target_archE942ELNS1_3gpuE9ELNS1_3repE0EEENS1_30default_config_static_selectorELNS0_4arch9wavefront6targetE1EEEvT1_.kd
    .uniform_work_group_size: 1
    .uses_dynamic_stack: false
    .vgpr_count:     0
    .vgpr_spill_count: 0
    .wavefront_size: 64
  - .agpr_count:     0
    .args:
      - .offset:         0
        .size:           112
        .value_kind:     by_value
    .group_segment_fixed_size: 16384
    .kernarg_segment_align: 8
    .kernarg_segment_size: 112
    .language:       OpenCL C
    .language_version:
      - 2
      - 0
    .max_flat_workgroup_size: 256
    .name:           _ZN7rocprim17ROCPRIM_400000_NS6detail17trampoline_kernelINS0_14default_configENS1_27scan_by_key_config_selectorIiiEEZZNS1_16scan_by_key_implILNS1_25lookback_scan_determinismE0ELb1ES3_N6thrust23THRUST_200600_302600_NS6detail15normal_iteratorINS9_10device_ptrIiEEEESE_SE_iNS9_4plusIvEENS9_8equal_toIvEEiEE10hipError_tPvRmT2_T3_T4_T5_mT6_T7_P12ihipStream_tbENKUlT_T0_E_clISt17integral_constantIbLb1EESZ_EEDaSU_SV_EUlSU_E_NS1_11comp_targetILNS1_3genE4ELNS1_11target_archE910ELNS1_3gpuE8ELNS1_3repE0EEENS1_30default_config_static_selectorELNS0_4arch9wavefront6targetE1EEEvT1_
    .private_segment_fixed_size: 0
    .sgpr_count:     64
    .sgpr_spill_count: 0
    .symbol:         _ZN7rocprim17ROCPRIM_400000_NS6detail17trampoline_kernelINS0_14default_configENS1_27scan_by_key_config_selectorIiiEEZZNS1_16scan_by_key_implILNS1_25lookback_scan_determinismE0ELb1ES3_N6thrust23THRUST_200600_302600_NS6detail15normal_iteratorINS9_10device_ptrIiEEEESE_SE_iNS9_4plusIvEENS9_8equal_toIvEEiEE10hipError_tPvRmT2_T3_T4_T5_mT6_T7_P12ihipStream_tbENKUlT_T0_E_clISt17integral_constantIbLb1EESZ_EEDaSU_SV_EUlSU_E_NS1_11comp_targetILNS1_3genE4ELNS1_11target_archE910ELNS1_3gpuE8ELNS1_3repE0EEENS1_30default_config_static_selectorELNS0_4arch9wavefront6targetE1EEEvT1_.kd
    .uniform_work_group_size: 1
    .uses_dynamic_stack: false
    .vgpr_count:     67
    .vgpr_spill_count: 0
    .wavefront_size: 64
  - .agpr_count:     0
    .args:
      - .offset:         0
        .size:           112
        .value_kind:     by_value
    .group_segment_fixed_size: 0
    .kernarg_segment_align: 8
    .kernarg_segment_size: 112
    .language:       OpenCL C
    .language_version:
      - 2
      - 0
    .max_flat_workgroup_size: 256
    .name:           _ZN7rocprim17ROCPRIM_400000_NS6detail17trampoline_kernelINS0_14default_configENS1_27scan_by_key_config_selectorIiiEEZZNS1_16scan_by_key_implILNS1_25lookback_scan_determinismE0ELb1ES3_N6thrust23THRUST_200600_302600_NS6detail15normal_iteratorINS9_10device_ptrIiEEEESE_SE_iNS9_4plusIvEENS9_8equal_toIvEEiEE10hipError_tPvRmT2_T3_T4_T5_mT6_T7_P12ihipStream_tbENKUlT_T0_E_clISt17integral_constantIbLb1EESZ_EEDaSU_SV_EUlSU_E_NS1_11comp_targetILNS1_3genE3ELNS1_11target_archE908ELNS1_3gpuE7ELNS1_3repE0EEENS1_30default_config_static_selectorELNS0_4arch9wavefront6targetE1EEEvT1_
    .private_segment_fixed_size: 0
    .sgpr_count:     4
    .sgpr_spill_count: 0
    .symbol:         _ZN7rocprim17ROCPRIM_400000_NS6detail17trampoline_kernelINS0_14default_configENS1_27scan_by_key_config_selectorIiiEEZZNS1_16scan_by_key_implILNS1_25lookback_scan_determinismE0ELb1ES3_N6thrust23THRUST_200600_302600_NS6detail15normal_iteratorINS9_10device_ptrIiEEEESE_SE_iNS9_4plusIvEENS9_8equal_toIvEEiEE10hipError_tPvRmT2_T3_T4_T5_mT6_T7_P12ihipStream_tbENKUlT_T0_E_clISt17integral_constantIbLb1EESZ_EEDaSU_SV_EUlSU_E_NS1_11comp_targetILNS1_3genE3ELNS1_11target_archE908ELNS1_3gpuE7ELNS1_3repE0EEENS1_30default_config_static_selectorELNS0_4arch9wavefront6targetE1EEEvT1_.kd
    .uniform_work_group_size: 1
    .uses_dynamic_stack: false
    .vgpr_count:     0
    .vgpr_spill_count: 0
    .wavefront_size: 64
  - .agpr_count:     0
    .args:
      - .offset:         0
        .size:           112
        .value_kind:     by_value
    .group_segment_fixed_size: 0
    .kernarg_segment_align: 8
    .kernarg_segment_size: 112
    .language:       OpenCL C
    .language_version:
      - 2
      - 0
    .max_flat_workgroup_size: 256
    .name:           _ZN7rocprim17ROCPRIM_400000_NS6detail17trampoline_kernelINS0_14default_configENS1_27scan_by_key_config_selectorIiiEEZZNS1_16scan_by_key_implILNS1_25lookback_scan_determinismE0ELb1ES3_N6thrust23THRUST_200600_302600_NS6detail15normal_iteratorINS9_10device_ptrIiEEEESE_SE_iNS9_4plusIvEENS9_8equal_toIvEEiEE10hipError_tPvRmT2_T3_T4_T5_mT6_T7_P12ihipStream_tbENKUlT_T0_E_clISt17integral_constantIbLb1EESZ_EEDaSU_SV_EUlSU_E_NS1_11comp_targetILNS1_3genE2ELNS1_11target_archE906ELNS1_3gpuE6ELNS1_3repE0EEENS1_30default_config_static_selectorELNS0_4arch9wavefront6targetE1EEEvT1_
    .private_segment_fixed_size: 0
    .sgpr_count:     4
    .sgpr_spill_count: 0
    .symbol:         _ZN7rocprim17ROCPRIM_400000_NS6detail17trampoline_kernelINS0_14default_configENS1_27scan_by_key_config_selectorIiiEEZZNS1_16scan_by_key_implILNS1_25lookback_scan_determinismE0ELb1ES3_N6thrust23THRUST_200600_302600_NS6detail15normal_iteratorINS9_10device_ptrIiEEEESE_SE_iNS9_4plusIvEENS9_8equal_toIvEEiEE10hipError_tPvRmT2_T3_T4_T5_mT6_T7_P12ihipStream_tbENKUlT_T0_E_clISt17integral_constantIbLb1EESZ_EEDaSU_SV_EUlSU_E_NS1_11comp_targetILNS1_3genE2ELNS1_11target_archE906ELNS1_3gpuE6ELNS1_3repE0EEENS1_30default_config_static_selectorELNS0_4arch9wavefront6targetE1EEEvT1_.kd
    .uniform_work_group_size: 1
    .uses_dynamic_stack: false
    .vgpr_count:     0
    .vgpr_spill_count: 0
    .wavefront_size: 64
  - .agpr_count:     0
    .args:
      - .offset:         0
        .size:           112
        .value_kind:     by_value
    .group_segment_fixed_size: 0
    .kernarg_segment_align: 8
    .kernarg_segment_size: 112
    .language:       OpenCL C
    .language_version:
      - 2
      - 0
    .max_flat_workgroup_size: 256
    .name:           _ZN7rocprim17ROCPRIM_400000_NS6detail17trampoline_kernelINS0_14default_configENS1_27scan_by_key_config_selectorIiiEEZZNS1_16scan_by_key_implILNS1_25lookback_scan_determinismE0ELb1ES3_N6thrust23THRUST_200600_302600_NS6detail15normal_iteratorINS9_10device_ptrIiEEEESE_SE_iNS9_4plusIvEENS9_8equal_toIvEEiEE10hipError_tPvRmT2_T3_T4_T5_mT6_T7_P12ihipStream_tbENKUlT_T0_E_clISt17integral_constantIbLb1EESZ_EEDaSU_SV_EUlSU_E_NS1_11comp_targetILNS1_3genE10ELNS1_11target_archE1200ELNS1_3gpuE4ELNS1_3repE0EEENS1_30default_config_static_selectorELNS0_4arch9wavefront6targetE1EEEvT1_
    .private_segment_fixed_size: 0
    .sgpr_count:     4
    .sgpr_spill_count: 0
    .symbol:         _ZN7rocprim17ROCPRIM_400000_NS6detail17trampoline_kernelINS0_14default_configENS1_27scan_by_key_config_selectorIiiEEZZNS1_16scan_by_key_implILNS1_25lookback_scan_determinismE0ELb1ES3_N6thrust23THRUST_200600_302600_NS6detail15normal_iteratorINS9_10device_ptrIiEEEESE_SE_iNS9_4plusIvEENS9_8equal_toIvEEiEE10hipError_tPvRmT2_T3_T4_T5_mT6_T7_P12ihipStream_tbENKUlT_T0_E_clISt17integral_constantIbLb1EESZ_EEDaSU_SV_EUlSU_E_NS1_11comp_targetILNS1_3genE10ELNS1_11target_archE1200ELNS1_3gpuE4ELNS1_3repE0EEENS1_30default_config_static_selectorELNS0_4arch9wavefront6targetE1EEEvT1_.kd
    .uniform_work_group_size: 1
    .uses_dynamic_stack: false
    .vgpr_count:     0
    .vgpr_spill_count: 0
    .wavefront_size: 64
  - .agpr_count:     0
    .args:
      - .offset:         0
        .size:           112
        .value_kind:     by_value
    .group_segment_fixed_size: 0
    .kernarg_segment_align: 8
    .kernarg_segment_size: 112
    .language:       OpenCL C
    .language_version:
      - 2
      - 0
    .max_flat_workgroup_size: 256
    .name:           _ZN7rocprim17ROCPRIM_400000_NS6detail17trampoline_kernelINS0_14default_configENS1_27scan_by_key_config_selectorIiiEEZZNS1_16scan_by_key_implILNS1_25lookback_scan_determinismE0ELb1ES3_N6thrust23THRUST_200600_302600_NS6detail15normal_iteratorINS9_10device_ptrIiEEEESE_SE_iNS9_4plusIvEENS9_8equal_toIvEEiEE10hipError_tPvRmT2_T3_T4_T5_mT6_T7_P12ihipStream_tbENKUlT_T0_E_clISt17integral_constantIbLb1EESZ_EEDaSU_SV_EUlSU_E_NS1_11comp_targetILNS1_3genE9ELNS1_11target_archE1100ELNS1_3gpuE3ELNS1_3repE0EEENS1_30default_config_static_selectorELNS0_4arch9wavefront6targetE1EEEvT1_
    .private_segment_fixed_size: 0
    .sgpr_count:     4
    .sgpr_spill_count: 0
    .symbol:         _ZN7rocprim17ROCPRIM_400000_NS6detail17trampoline_kernelINS0_14default_configENS1_27scan_by_key_config_selectorIiiEEZZNS1_16scan_by_key_implILNS1_25lookback_scan_determinismE0ELb1ES3_N6thrust23THRUST_200600_302600_NS6detail15normal_iteratorINS9_10device_ptrIiEEEESE_SE_iNS9_4plusIvEENS9_8equal_toIvEEiEE10hipError_tPvRmT2_T3_T4_T5_mT6_T7_P12ihipStream_tbENKUlT_T0_E_clISt17integral_constantIbLb1EESZ_EEDaSU_SV_EUlSU_E_NS1_11comp_targetILNS1_3genE9ELNS1_11target_archE1100ELNS1_3gpuE3ELNS1_3repE0EEENS1_30default_config_static_selectorELNS0_4arch9wavefront6targetE1EEEvT1_.kd
    .uniform_work_group_size: 1
    .uses_dynamic_stack: false
    .vgpr_count:     0
    .vgpr_spill_count: 0
    .wavefront_size: 64
  - .agpr_count:     0
    .args:
      - .offset:         0
        .size:           112
        .value_kind:     by_value
    .group_segment_fixed_size: 0
    .kernarg_segment_align: 8
    .kernarg_segment_size: 112
    .language:       OpenCL C
    .language_version:
      - 2
      - 0
    .max_flat_workgroup_size: 256
    .name:           _ZN7rocprim17ROCPRIM_400000_NS6detail17trampoline_kernelINS0_14default_configENS1_27scan_by_key_config_selectorIiiEEZZNS1_16scan_by_key_implILNS1_25lookback_scan_determinismE0ELb1ES3_N6thrust23THRUST_200600_302600_NS6detail15normal_iteratorINS9_10device_ptrIiEEEESE_SE_iNS9_4plusIvEENS9_8equal_toIvEEiEE10hipError_tPvRmT2_T3_T4_T5_mT6_T7_P12ihipStream_tbENKUlT_T0_E_clISt17integral_constantIbLb1EESZ_EEDaSU_SV_EUlSU_E_NS1_11comp_targetILNS1_3genE8ELNS1_11target_archE1030ELNS1_3gpuE2ELNS1_3repE0EEENS1_30default_config_static_selectorELNS0_4arch9wavefront6targetE1EEEvT1_
    .private_segment_fixed_size: 0
    .sgpr_count:     4
    .sgpr_spill_count: 0
    .symbol:         _ZN7rocprim17ROCPRIM_400000_NS6detail17trampoline_kernelINS0_14default_configENS1_27scan_by_key_config_selectorIiiEEZZNS1_16scan_by_key_implILNS1_25lookback_scan_determinismE0ELb1ES3_N6thrust23THRUST_200600_302600_NS6detail15normal_iteratorINS9_10device_ptrIiEEEESE_SE_iNS9_4plusIvEENS9_8equal_toIvEEiEE10hipError_tPvRmT2_T3_T4_T5_mT6_T7_P12ihipStream_tbENKUlT_T0_E_clISt17integral_constantIbLb1EESZ_EEDaSU_SV_EUlSU_E_NS1_11comp_targetILNS1_3genE8ELNS1_11target_archE1030ELNS1_3gpuE2ELNS1_3repE0EEENS1_30default_config_static_selectorELNS0_4arch9wavefront6targetE1EEEvT1_.kd
    .uniform_work_group_size: 1
    .uses_dynamic_stack: false
    .vgpr_count:     0
    .vgpr_spill_count: 0
    .wavefront_size: 64
  - .agpr_count:     0
    .args:
      - .offset:         0
        .size:           112
        .value_kind:     by_value
    .group_segment_fixed_size: 0
    .kernarg_segment_align: 8
    .kernarg_segment_size: 112
    .language:       OpenCL C
    .language_version:
      - 2
      - 0
    .max_flat_workgroup_size: 256
    .name:           _ZN7rocprim17ROCPRIM_400000_NS6detail17trampoline_kernelINS0_14default_configENS1_27scan_by_key_config_selectorIiiEEZZNS1_16scan_by_key_implILNS1_25lookback_scan_determinismE0ELb1ES3_N6thrust23THRUST_200600_302600_NS6detail15normal_iteratorINS9_10device_ptrIiEEEESE_SE_iNS9_4plusIvEENS9_8equal_toIvEEiEE10hipError_tPvRmT2_T3_T4_T5_mT6_T7_P12ihipStream_tbENKUlT_T0_E_clISt17integral_constantIbLb1EESY_IbLb0EEEEDaSU_SV_EUlSU_E_NS1_11comp_targetILNS1_3genE0ELNS1_11target_archE4294967295ELNS1_3gpuE0ELNS1_3repE0EEENS1_30default_config_static_selectorELNS0_4arch9wavefront6targetE1EEEvT1_
    .private_segment_fixed_size: 0
    .sgpr_count:     4
    .sgpr_spill_count: 0
    .symbol:         _ZN7rocprim17ROCPRIM_400000_NS6detail17trampoline_kernelINS0_14default_configENS1_27scan_by_key_config_selectorIiiEEZZNS1_16scan_by_key_implILNS1_25lookback_scan_determinismE0ELb1ES3_N6thrust23THRUST_200600_302600_NS6detail15normal_iteratorINS9_10device_ptrIiEEEESE_SE_iNS9_4plusIvEENS9_8equal_toIvEEiEE10hipError_tPvRmT2_T3_T4_T5_mT6_T7_P12ihipStream_tbENKUlT_T0_E_clISt17integral_constantIbLb1EESY_IbLb0EEEEDaSU_SV_EUlSU_E_NS1_11comp_targetILNS1_3genE0ELNS1_11target_archE4294967295ELNS1_3gpuE0ELNS1_3repE0EEENS1_30default_config_static_selectorELNS0_4arch9wavefront6targetE1EEEvT1_.kd
    .uniform_work_group_size: 1
    .uses_dynamic_stack: false
    .vgpr_count:     0
    .vgpr_spill_count: 0
    .wavefront_size: 64
  - .agpr_count:     0
    .args:
      - .offset:         0
        .size:           112
        .value_kind:     by_value
    .group_segment_fixed_size: 0
    .kernarg_segment_align: 8
    .kernarg_segment_size: 112
    .language:       OpenCL C
    .language_version:
      - 2
      - 0
    .max_flat_workgroup_size: 256
    .name:           _ZN7rocprim17ROCPRIM_400000_NS6detail17trampoline_kernelINS0_14default_configENS1_27scan_by_key_config_selectorIiiEEZZNS1_16scan_by_key_implILNS1_25lookback_scan_determinismE0ELb1ES3_N6thrust23THRUST_200600_302600_NS6detail15normal_iteratorINS9_10device_ptrIiEEEESE_SE_iNS9_4plusIvEENS9_8equal_toIvEEiEE10hipError_tPvRmT2_T3_T4_T5_mT6_T7_P12ihipStream_tbENKUlT_T0_E_clISt17integral_constantIbLb1EESY_IbLb0EEEEDaSU_SV_EUlSU_E_NS1_11comp_targetILNS1_3genE10ELNS1_11target_archE1201ELNS1_3gpuE5ELNS1_3repE0EEENS1_30default_config_static_selectorELNS0_4arch9wavefront6targetE1EEEvT1_
    .private_segment_fixed_size: 0
    .sgpr_count:     4
    .sgpr_spill_count: 0
    .symbol:         _ZN7rocprim17ROCPRIM_400000_NS6detail17trampoline_kernelINS0_14default_configENS1_27scan_by_key_config_selectorIiiEEZZNS1_16scan_by_key_implILNS1_25lookback_scan_determinismE0ELb1ES3_N6thrust23THRUST_200600_302600_NS6detail15normal_iteratorINS9_10device_ptrIiEEEESE_SE_iNS9_4plusIvEENS9_8equal_toIvEEiEE10hipError_tPvRmT2_T3_T4_T5_mT6_T7_P12ihipStream_tbENKUlT_T0_E_clISt17integral_constantIbLb1EESY_IbLb0EEEEDaSU_SV_EUlSU_E_NS1_11comp_targetILNS1_3genE10ELNS1_11target_archE1201ELNS1_3gpuE5ELNS1_3repE0EEENS1_30default_config_static_selectorELNS0_4arch9wavefront6targetE1EEEvT1_.kd
    .uniform_work_group_size: 1
    .uses_dynamic_stack: false
    .vgpr_count:     0
    .vgpr_spill_count: 0
    .wavefront_size: 64
  - .agpr_count:     0
    .args:
      - .offset:         0
        .size:           112
        .value_kind:     by_value
    .group_segment_fixed_size: 0
    .kernarg_segment_align: 8
    .kernarg_segment_size: 112
    .language:       OpenCL C
    .language_version:
      - 2
      - 0
    .max_flat_workgroup_size: 256
    .name:           _ZN7rocprim17ROCPRIM_400000_NS6detail17trampoline_kernelINS0_14default_configENS1_27scan_by_key_config_selectorIiiEEZZNS1_16scan_by_key_implILNS1_25lookback_scan_determinismE0ELb1ES3_N6thrust23THRUST_200600_302600_NS6detail15normal_iteratorINS9_10device_ptrIiEEEESE_SE_iNS9_4plusIvEENS9_8equal_toIvEEiEE10hipError_tPvRmT2_T3_T4_T5_mT6_T7_P12ihipStream_tbENKUlT_T0_E_clISt17integral_constantIbLb1EESY_IbLb0EEEEDaSU_SV_EUlSU_E_NS1_11comp_targetILNS1_3genE5ELNS1_11target_archE942ELNS1_3gpuE9ELNS1_3repE0EEENS1_30default_config_static_selectorELNS0_4arch9wavefront6targetE1EEEvT1_
    .private_segment_fixed_size: 0
    .sgpr_count:     4
    .sgpr_spill_count: 0
    .symbol:         _ZN7rocprim17ROCPRIM_400000_NS6detail17trampoline_kernelINS0_14default_configENS1_27scan_by_key_config_selectorIiiEEZZNS1_16scan_by_key_implILNS1_25lookback_scan_determinismE0ELb1ES3_N6thrust23THRUST_200600_302600_NS6detail15normal_iteratorINS9_10device_ptrIiEEEESE_SE_iNS9_4plusIvEENS9_8equal_toIvEEiEE10hipError_tPvRmT2_T3_T4_T5_mT6_T7_P12ihipStream_tbENKUlT_T0_E_clISt17integral_constantIbLb1EESY_IbLb0EEEEDaSU_SV_EUlSU_E_NS1_11comp_targetILNS1_3genE5ELNS1_11target_archE942ELNS1_3gpuE9ELNS1_3repE0EEENS1_30default_config_static_selectorELNS0_4arch9wavefront6targetE1EEEvT1_.kd
    .uniform_work_group_size: 1
    .uses_dynamic_stack: false
    .vgpr_count:     0
    .vgpr_spill_count: 0
    .wavefront_size: 64
  - .agpr_count:     0
    .args:
      - .offset:         0
        .size:           112
        .value_kind:     by_value
    .group_segment_fixed_size: 16384
    .kernarg_segment_align: 8
    .kernarg_segment_size: 112
    .language:       OpenCL C
    .language_version:
      - 2
      - 0
    .max_flat_workgroup_size: 256
    .name:           _ZN7rocprim17ROCPRIM_400000_NS6detail17trampoline_kernelINS0_14default_configENS1_27scan_by_key_config_selectorIiiEEZZNS1_16scan_by_key_implILNS1_25lookback_scan_determinismE0ELb1ES3_N6thrust23THRUST_200600_302600_NS6detail15normal_iteratorINS9_10device_ptrIiEEEESE_SE_iNS9_4plusIvEENS9_8equal_toIvEEiEE10hipError_tPvRmT2_T3_T4_T5_mT6_T7_P12ihipStream_tbENKUlT_T0_E_clISt17integral_constantIbLb1EESY_IbLb0EEEEDaSU_SV_EUlSU_E_NS1_11comp_targetILNS1_3genE4ELNS1_11target_archE910ELNS1_3gpuE8ELNS1_3repE0EEENS1_30default_config_static_selectorELNS0_4arch9wavefront6targetE1EEEvT1_
    .private_segment_fixed_size: 0
    .sgpr_count:     64
    .sgpr_spill_count: 0
    .symbol:         _ZN7rocprim17ROCPRIM_400000_NS6detail17trampoline_kernelINS0_14default_configENS1_27scan_by_key_config_selectorIiiEEZZNS1_16scan_by_key_implILNS1_25lookback_scan_determinismE0ELb1ES3_N6thrust23THRUST_200600_302600_NS6detail15normal_iteratorINS9_10device_ptrIiEEEESE_SE_iNS9_4plusIvEENS9_8equal_toIvEEiEE10hipError_tPvRmT2_T3_T4_T5_mT6_T7_P12ihipStream_tbENKUlT_T0_E_clISt17integral_constantIbLb1EESY_IbLb0EEEEDaSU_SV_EUlSU_E_NS1_11comp_targetILNS1_3genE4ELNS1_11target_archE910ELNS1_3gpuE8ELNS1_3repE0EEENS1_30default_config_static_selectorELNS0_4arch9wavefront6targetE1EEEvT1_.kd
    .uniform_work_group_size: 1
    .uses_dynamic_stack: false
    .vgpr_count:     65
    .vgpr_spill_count: 0
    .wavefront_size: 64
  - .agpr_count:     0
    .args:
      - .offset:         0
        .size:           112
        .value_kind:     by_value
    .group_segment_fixed_size: 0
    .kernarg_segment_align: 8
    .kernarg_segment_size: 112
    .language:       OpenCL C
    .language_version:
      - 2
      - 0
    .max_flat_workgroup_size: 256
    .name:           _ZN7rocprim17ROCPRIM_400000_NS6detail17trampoline_kernelINS0_14default_configENS1_27scan_by_key_config_selectorIiiEEZZNS1_16scan_by_key_implILNS1_25lookback_scan_determinismE0ELb1ES3_N6thrust23THRUST_200600_302600_NS6detail15normal_iteratorINS9_10device_ptrIiEEEESE_SE_iNS9_4plusIvEENS9_8equal_toIvEEiEE10hipError_tPvRmT2_T3_T4_T5_mT6_T7_P12ihipStream_tbENKUlT_T0_E_clISt17integral_constantIbLb1EESY_IbLb0EEEEDaSU_SV_EUlSU_E_NS1_11comp_targetILNS1_3genE3ELNS1_11target_archE908ELNS1_3gpuE7ELNS1_3repE0EEENS1_30default_config_static_selectorELNS0_4arch9wavefront6targetE1EEEvT1_
    .private_segment_fixed_size: 0
    .sgpr_count:     4
    .sgpr_spill_count: 0
    .symbol:         _ZN7rocprim17ROCPRIM_400000_NS6detail17trampoline_kernelINS0_14default_configENS1_27scan_by_key_config_selectorIiiEEZZNS1_16scan_by_key_implILNS1_25lookback_scan_determinismE0ELb1ES3_N6thrust23THRUST_200600_302600_NS6detail15normal_iteratorINS9_10device_ptrIiEEEESE_SE_iNS9_4plusIvEENS9_8equal_toIvEEiEE10hipError_tPvRmT2_T3_T4_T5_mT6_T7_P12ihipStream_tbENKUlT_T0_E_clISt17integral_constantIbLb1EESY_IbLb0EEEEDaSU_SV_EUlSU_E_NS1_11comp_targetILNS1_3genE3ELNS1_11target_archE908ELNS1_3gpuE7ELNS1_3repE0EEENS1_30default_config_static_selectorELNS0_4arch9wavefront6targetE1EEEvT1_.kd
    .uniform_work_group_size: 1
    .uses_dynamic_stack: false
    .vgpr_count:     0
    .vgpr_spill_count: 0
    .wavefront_size: 64
  - .agpr_count:     0
    .args:
      - .offset:         0
        .size:           112
        .value_kind:     by_value
    .group_segment_fixed_size: 0
    .kernarg_segment_align: 8
    .kernarg_segment_size: 112
    .language:       OpenCL C
    .language_version:
      - 2
      - 0
    .max_flat_workgroup_size: 256
    .name:           _ZN7rocprim17ROCPRIM_400000_NS6detail17trampoline_kernelINS0_14default_configENS1_27scan_by_key_config_selectorIiiEEZZNS1_16scan_by_key_implILNS1_25lookback_scan_determinismE0ELb1ES3_N6thrust23THRUST_200600_302600_NS6detail15normal_iteratorINS9_10device_ptrIiEEEESE_SE_iNS9_4plusIvEENS9_8equal_toIvEEiEE10hipError_tPvRmT2_T3_T4_T5_mT6_T7_P12ihipStream_tbENKUlT_T0_E_clISt17integral_constantIbLb1EESY_IbLb0EEEEDaSU_SV_EUlSU_E_NS1_11comp_targetILNS1_3genE2ELNS1_11target_archE906ELNS1_3gpuE6ELNS1_3repE0EEENS1_30default_config_static_selectorELNS0_4arch9wavefront6targetE1EEEvT1_
    .private_segment_fixed_size: 0
    .sgpr_count:     4
    .sgpr_spill_count: 0
    .symbol:         _ZN7rocprim17ROCPRIM_400000_NS6detail17trampoline_kernelINS0_14default_configENS1_27scan_by_key_config_selectorIiiEEZZNS1_16scan_by_key_implILNS1_25lookback_scan_determinismE0ELb1ES3_N6thrust23THRUST_200600_302600_NS6detail15normal_iteratorINS9_10device_ptrIiEEEESE_SE_iNS9_4plusIvEENS9_8equal_toIvEEiEE10hipError_tPvRmT2_T3_T4_T5_mT6_T7_P12ihipStream_tbENKUlT_T0_E_clISt17integral_constantIbLb1EESY_IbLb0EEEEDaSU_SV_EUlSU_E_NS1_11comp_targetILNS1_3genE2ELNS1_11target_archE906ELNS1_3gpuE6ELNS1_3repE0EEENS1_30default_config_static_selectorELNS0_4arch9wavefront6targetE1EEEvT1_.kd
    .uniform_work_group_size: 1
    .uses_dynamic_stack: false
    .vgpr_count:     0
    .vgpr_spill_count: 0
    .wavefront_size: 64
  - .agpr_count:     0
    .args:
      - .offset:         0
        .size:           112
        .value_kind:     by_value
    .group_segment_fixed_size: 0
    .kernarg_segment_align: 8
    .kernarg_segment_size: 112
    .language:       OpenCL C
    .language_version:
      - 2
      - 0
    .max_flat_workgroup_size: 256
    .name:           _ZN7rocprim17ROCPRIM_400000_NS6detail17trampoline_kernelINS0_14default_configENS1_27scan_by_key_config_selectorIiiEEZZNS1_16scan_by_key_implILNS1_25lookback_scan_determinismE0ELb1ES3_N6thrust23THRUST_200600_302600_NS6detail15normal_iteratorINS9_10device_ptrIiEEEESE_SE_iNS9_4plusIvEENS9_8equal_toIvEEiEE10hipError_tPvRmT2_T3_T4_T5_mT6_T7_P12ihipStream_tbENKUlT_T0_E_clISt17integral_constantIbLb1EESY_IbLb0EEEEDaSU_SV_EUlSU_E_NS1_11comp_targetILNS1_3genE10ELNS1_11target_archE1200ELNS1_3gpuE4ELNS1_3repE0EEENS1_30default_config_static_selectorELNS0_4arch9wavefront6targetE1EEEvT1_
    .private_segment_fixed_size: 0
    .sgpr_count:     4
    .sgpr_spill_count: 0
    .symbol:         _ZN7rocprim17ROCPRIM_400000_NS6detail17trampoline_kernelINS0_14default_configENS1_27scan_by_key_config_selectorIiiEEZZNS1_16scan_by_key_implILNS1_25lookback_scan_determinismE0ELb1ES3_N6thrust23THRUST_200600_302600_NS6detail15normal_iteratorINS9_10device_ptrIiEEEESE_SE_iNS9_4plusIvEENS9_8equal_toIvEEiEE10hipError_tPvRmT2_T3_T4_T5_mT6_T7_P12ihipStream_tbENKUlT_T0_E_clISt17integral_constantIbLb1EESY_IbLb0EEEEDaSU_SV_EUlSU_E_NS1_11comp_targetILNS1_3genE10ELNS1_11target_archE1200ELNS1_3gpuE4ELNS1_3repE0EEENS1_30default_config_static_selectorELNS0_4arch9wavefront6targetE1EEEvT1_.kd
    .uniform_work_group_size: 1
    .uses_dynamic_stack: false
    .vgpr_count:     0
    .vgpr_spill_count: 0
    .wavefront_size: 64
  - .agpr_count:     0
    .args:
      - .offset:         0
        .size:           112
        .value_kind:     by_value
    .group_segment_fixed_size: 0
    .kernarg_segment_align: 8
    .kernarg_segment_size: 112
    .language:       OpenCL C
    .language_version:
      - 2
      - 0
    .max_flat_workgroup_size: 256
    .name:           _ZN7rocprim17ROCPRIM_400000_NS6detail17trampoline_kernelINS0_14default_configENS1_27scan_by_key_config_selectorIiiEEZZNS1_16scan_by_key_implILNS1_25lookback_scan_determinismE0ELb1ES3_N6thrust23THRUST_200600_302600_NS6detail15normal_iteratorINS9_10device_ptrIiEEEESE_SE_iNS9_4plusIvEENS9_8equal_toIvEEiEE10hipError_tPvRmT2_T3_T4_T5_mT6_T7_P12ihipStream_tbENKUlT_T0_E_clISt17integral_constantIbLb1EESY_IbLb0EEEEDaSU_SV_EUlSU_E_NS1_11comp_targetILNS1_3genE9ELNS1_11target_archE1100ELNS1_3gpuE3ELNS1_3repE0EEENS1_30default_config_static_selectorELNS0_4arch9wavefront6targetE1EEEvT1_
    .private_segment_fixed_size: 0
    .sgpr_count:     4
    .sgpr_spill_count: 0
    .symbol:         _ZN7rocprim17ROCPRIM_400000_NS6detail17trampoline_kernelINS0_14default_configENS1_27scan_by_key_config_selectorIiiEEZZNS1_16scan_by_key_implILNS1_25lookback_scan_determinismE0ELb1ES3_N6thrust23THRUST_200600_302600_NS6detail15normal_iteratorINS9_10device_ptrIiEEEESE_SE_iNS9_4plusIvEENS9_8equal_toIvEEiEE10hipError_tPvRmT2_T3_T4_T5_mT6_T7_P12ihipStream_tbENKUlT_T0_E_clISt17integral_constantIbLb1EESY_IbLb0EEEEDaSU_SV_EUlSU_E_NS1_11comp_targetILNS1_3genE9ELNS1_11target_archE1100ELNS1_3gpuE3ELNS1_3repE0EEENS1_30default_config_static_selectorELNS0_4arch9wavefront6targetE1EEEvT1_.kd
    .uniform_work_group_size: 1
    .uses_dynamic_stack: false
    .vgpr_count:     0
    .vgpr_spill_count: 0
    .wavefront_size: 64
  - .agpr_count:     0
    .args:
      - .offset:         0
        .size:           112
        .value_kind:     by_value
    .group_segment_fixed_size: 0
    .kernarg_segment_align: 8
    .kernarg_segment_size: 112
    .language:       OpenCL C
    .language_version:
      - 2
      - 0
    .max_flat_workgroup_size: 256
    .name:           _ZN7rocprim17ROCPRIM_400000_NS6detail17trampoline_kernelINS0_14default_configENS1_27scan_by_key_config_selectorIiiEEZZNS1_16scan_by_key_implILNS1_25lookback_scan_determinismE0ELb1ES3_N6thrust23THRUST_200600_302600_NS6detail15normal_iteratorINS9_10device_ptrIiEEEESE_SE_iNS9_4plusIvEENS9_8equal_toIvEEiEE10hipError_tPvRmT2_T3_T4_T5_mT6_T7_P12ihipStream_tbENKUlT_T0_E_clISt17integral_constantIbLb1EESY_IbLb0EEEEDaSU_SV_EUlSU_E_NS1_11comp_targetILNS1_3genE8ELNS1_11target_archE1030ELNS1_3gpuE2ELNS1_3repE0EEENS1_30default_config_static_selectorELNS0_4arch9wavefront6targetE1EEEvT1_
    .private_segment_fixed_size: 0
    .sgpr_count:     4
    .sgpr_spill_count: 0
    .symbol:         _ZN7rocprim17ROCPRIM_400000_NS6detail17trampoline_kernelINS0_14default_configENS1_27scan_by_key_config_selectorIiiEEZZNS1_16scan_by_key_implILNS1_25lookback_scan_determinismE0ELb1ES3_N6thrust23THRUST_200600_302600_NS6detail15normal_iteratorINS9_10device_ptrIiEEEESE_SE_iNS9_4plusIvEENS9_8equal_toIvEEiEE10hipError_tPvRmT2_T3_T4_T5_mT6_T7_P12ihipStream_tbENKUlT_T0_E_clISt17integral_constantIbLb1EESY_IbLb0EEEEDaSU_SV_EUlSU_E_NS1_11comp_targetILNS1_3genE8ELNS1_11target_archE1030ELNS1_3gpuE2ELNS1_3repE0EEENS1_30default_config_static_selectorELNS0_4arch9wavefront6targetE1EEEvT1_.kd
    .uniform_work_group_size: 1
    .uses_dynamic_stack: false
    .vgpr_count:     0
    .vgpr_spill_count: 0
    .wavefront_size: 64
  - .agpr_count:     0
    .args:
      - .offset:         0
        .size:           112
        .value_kind:     by_value
    .group_segment_fixed_size: 0
    .kernarg_segment_align: 8
    .kernarg_segment_size: 112
    .language:       OpenCL C
    .language_version:
      - 2
      - 0
    .max_flat_workgroup_size: 256
    .name:           _ZN7rocprim17ROCPRIM_400000_NS6detail17trampoline_kernelINS0_14default_configENS1_27scan_by_key_config_selectorIiiEEZZNS1_16scan_by_key_implILNS1_25lookback_scan_determinismE0ELb1ES3_N6thrust23THRUST_200600_302600_NS6detail15normal_iteratorINS9_10device_ptrIiEEEESE_SE_iNS9_4plusIvEENS9_8equal_toIvEEiEE10hipError_tPvRmT2_T3_T4_T5_mT6_T7_P12ihipStream_tbENKUlT_T0_E_clISt17integral_constantIbLb0EESY_IbLb1EEEEDaSU_SV_EUlSU_E_NS1_11comp_targetILNS1_3genE0ELNS1_11target_archE4294967295ELNS1_3gpuE0ELNS1_3repE0EEENS1_30default_config_static_selectorELNS0_4arch9wavefront6targetE1EEEvT1_
    .private_segment_fixed_size: 0
    .sgpr_count:     4
    .sgpr_spill_count: 0
    .symbol:         _ZN7rocprim17ROCPRIM_400000_NS6detail17trampoline_kernelINS0_14default_configENS1_27scan_by_key_config_selectorIiiEEZZNS1_16scan_by_key_implILNS1_25lookback_scan_determinismE0ELb1ES3_N6thrust23THRUST_200600_302600_NS6detail15normal_iteratorINS9_10device_ptrIiEEEESE_SE_iNS9_4plusIvEENS9_8equal_toIvEEiEE10hipError_tPvRmT2_T3_T4_T5_mT6_T7_P12ihipStream_tbENKUlT_T0_E_clISt17integral_constantIbLb0EESY_IbLb1EEEEDaSU_SV_EUlSU_E_NS1_11comp_targetILNS1_3genE0ELNS1_11target_archE4294967295ELNS1_3gpuE0ELNS1_3repE0EEENS1_30default_config_static_selectorELNS0_4arch9wavefront6targetE1EEEvT1_.kd
    .uniform_work_group_size: 1
    .uses_dynamic_stack: false
    .vgpr_count:     0
    .vgpr_spill_count: 0
    .wavefront_size: 64
  - .agpr_count:     0
    .args:
      - .offset:         0
        .size:           112
        .value_kind:     by_value
    .group_segment_fixed_size: 0
    .kernarg_segment_align: 8
    .kernarg_segment_size: 112
    .language:       OpenCL C
    .language_version:
      - 2
      - 0
    .max_flat_workgroup_size: 256
    .name:           _ZN7rocprim17ROCPRIM_400000_NS6detail17trampoline_kernelINS0_14default_configENS1_27scan_by_key_config_selectorIiiEEZZNS1_16scan_by_key_implILNS1_25lookback_scan_determinismE0ELb1ES3_N6thrust23THRUST_200600_302600_NS6detail15normal_iteratorINS9_10device_ptrIiEEEESE_SE_iNS9_4plusIvEENS9_8equal_toIvEEiEE10hipError_tPvRmT2_T3_T4_T5_mT6_T7_P12ihipStream_tbENKUlT_T0_E_clISt17integral_constantIbLb0EESY_IbLb1EEEEDaSU_SV_EUlSU_E_NS1_11comp_targetILNS1_3genE10ELNS1_11target_archE1201ELNS1_3gpuE5ELNS1_3repE0EEENS1_30default_config_static_selectorELNS0_4arch9wavefront6targetE1EEEvT1_
    .private_segment_fixed_size: 0
    .sgpr_count:     4
    .sgpr_spill_count: 0
    .symbol:         _ZN7rocprim17ROCPRIM_400000_NS6detail17trampoline_kernelINS0_14default_configENS1_27scan_by_key_config_selectorIiiEEZZNS1_16scan_by_key_implILNS1_25lookback_scan_determinismE0ELb1ES3_N6thrust23THRUST_200600_302600_NS6detail15normal_iteratorINS9_10device_ptrIiEEEESE_SE_iNS9_4plusIvEENS9_8equal_toIvEEiEE10hipError_tPvRmT2_T3_T4_T5_mT6_T7_P12ihipStream_tbENKUlT_T0_E_clISt17integral_constantIbLb0EESY_IbLb1EEEEDaSU_SV_EUlSU_E_NS1_11comp_targetILNS1_3genE10ELNS1_11target_archE1201ELNS1_3gpuE5ELNS1_3repE0EEENS1_30default_config_static_selectorELNS0_4arch9wavefront6targetE1EEEvT1_.kd
    .uniform_work_group_size: 1
    .uses_dynamic_stack: false
    .vgpr_count:     0
    .vgpr_spill_count: 0
    .wavefront_size: 64
  - .agpr_count:     0
    .args:
      - .offset:         0
        .size:           112
        .value_kind:     by_value
    .group_segment_fixed_size: 0
    .kernarg_segment_align: 8
    .kernarg_segment_size: 112
    .language:       OpenCL C
    .language_version:
      - 2
      - 0
    .max_flat_workgroup_size: 256
    .name:           _ZN7rocprim17ROCPRIM_400000_NS6detail17trampoline_kernelINS0_14default_configENS1_27scan_by_key_config_selectorIiiEEZZNS1_16scan_by_key_implILNS1_25lookback_scan_determinismE0ELb1ES3_N6thrust23THRUST_200600_302600_NS6detail15normal_iteratorINS9_10device_ptrIiEEEESE_SE_iNS9_4plusIvEENS9_8equal_toIvEEiEE10hipError_tPvRmT2_T3_T4_T5_mT6_T7_P12ihipStream_tbENKUlT_T0_E_clISt17integral_constantIbLb0EESY_IbLb1EEEEDaSU_SV_EUlSU_E_NS1_11comp_targetILNS1_3genE5ELNS1_11target_archE942ELNS1_3gpuE9ELNS1_3repE0EEENS1_30default_config_static_selectorELNS0_4arch9wavefront6targetE1EEEvT1_
    .private_segment_fixed_size: 0
    .sgpr_count:     4
    .sgpr_spill_count: 0
    .symbol:         _ZN7rocprim17ROCPRIM_400000_NS6detail17trampoline_kernelINS0_14default_configENS1_27scan_by_key_config_selectorIiiEEZZNS1_16scan_by_key_implILNS1_25lookback_scan_determinismE0ELb1ES3_N6thrust23THRUST_200600_302600_NS6detail15normal_iteratorINS9_10device_ptrIiEEEESE_SE_iNS9_4plusIvEENS9_8equal_toIvEEiEE10hipError_tPvRmT2_T3_T4_T5_mT6_T7_P12ihipStream_tbENKUlT_T0_E_clISt17integral_constantIbLb0EESY_IbLb1EEEEDaSU_SV_EUlSU_E_NS1_11comp_targetILNS1_3genE5ELNS1_11target_archE942ELNS1_3gpuE9ELNS1_3repE0EEENS1_30default_config_static_selectorELNS0_4arch9wavefront6targetE1EEEvT1_.kd
    .uniform_work_group_size: 1
    .uses_dynamic_stack: false
    .vgpr_count:     0
    .vgpr_spill_count: 0
    .wavefront_size: 64
  - .agpr_count:     0
    .args:
      - .offset:         0
        .size:           112
        .value_kind:     by_value
    .group_segment_fixed_size: 16384
    .kernarg_segment_align: 8
    .kernarg_segment_size: 112
    .language:       OpenCL C
    .language_version:
      - 2
      - 0
    .max_flat_workgroup_size: 256
    .name:           _ZN7rocprim17ROCPRIM_400000_NS6detail17trampoline_kernelINS0_14default_configENS1_27scan_by_key_config_selectorIiiEEZZNS1_16scan_by_key_implILNS1_25lookback_scan_determinismE0ELb1ES3_N6thrust23THRUST_200600_302600_NS6detail15normal_iteratorINS9_10device_ptrIiEEEESE_SE_iNS9_4plusIvEENS9_8equal_toIvEEiEE10hipError_tPvRmT2_T3_T4_T5_mT6_T7_P12ihipStream_tbENKUlT_T0_E_clISt17integral_constantIbLb0EESY_IbLb1EEEEDaSU_SV_EUlSU_E_NS1_11comp_targetILNS1_3genE4ELNS1_11target_archE910ELNS1_3gpuE8ELNS1_3repE0EEENS1_30default_config_static_selectorELNS0_4arch9wavefront6targetE1EEEvT1_
    .private_segment_fixed_size: 0
    .sgpr_count:     64
    .sgpr_spill_count: 0
    .symbol:         _ZN7rocprim17ROCPRIM_400000_NS6detail17trampoline_kernelINS0_14default_configENS1_27scan_by_key_config_selectorIiiEEZZNS1_16scan_by_key_implILNS1_25lookback_scan_determinismE0ELb1ES3_N6thrust23THRUST_200600_302600_NS6detail15normal_iteratorINS9_10device_ptrIiEEEESE_SE_iNS9_4plusIvEENS9_8equal_toIvEEiEE10hipError_tPvRmT2_T3_T4_T5_mT6_T7_P12ihipStream_tbENKUlT_T0_E_clISt17integral_constantIbLb0EESY_IbLb1EEEEDaSU_SV_EUlSU_E_NS1_11comp_targetILNS1_3genE4ELNS1_11target_archE910ELNS1_3gpuE8ELNS1_3repE0EEENS1_30default_config_static_selectorELNS0_4arch9wavefront6targetE1EEEvT1_.kd
    .uniform_work_group_size: 1
    .uses_dynamic_stack: false
    .vgpr_count:     67
    .vgpr_spill_count: 0
    .wavefront_size: 64
  - .agpr_count:     0
    .args:
      - .offset:         0
        .size:           112
        .value_kind:     by_value
    .group_segment_fixed_size: 0
    .kernarg_segment_align: 8
    .kernarg_segment_size: 112
    .language:       OpenCL C
    .language_version:
      - 2
      - 0
    .max_flat_workgroup_size: 256
    .name:           _ZN7rocprim17ROCPRIM_400000_NS6detail17trampoline_kernelINS0_14default_configENS1_27scan_by_key_config_selectorIiiEEZZNS1_16scan_by_key_implILNS1_25lookback_scan_determinismE0ELb1ES3_N6thrust23THRUST_200600_302600_NS6detail15normal_iteratorINS9_10device_ptrIiEEEESE_SE_iNS9_4plusIvEENS9_8equal_toIvEEiEE10hipError_tPvRmT2_T3_T4_T5_mT6_T7_P12ihipStream_tbENKUlT_T0_E_clISt17integral_constantIbLb0EESY_IbLb1EEEEDaSU_SV_EUlSU_E_NS1_11comp_targetILNS1_3genE3ELNS1_11target_archE908ELNS1_3gpuE7ELNS1_3repE0EEENS1_30default_config_static_selectorELNS0_4arch9wavefront6targetE1EEEvT1_
    .private_segment_fixed_size: 0
    .sgpr_count:     4
    .sgpr_spill_count: 0
    .symbol:         _ZN7rocprim17ROCPRIM_400000_NS6detail17trampoline_kernelINS0_14default_configENS1_27scan_by_key_config_selectorIiiEEZZNS1_16scan_by_key_implILNS1_25lookback_scan_determinismE0ELb1ES3_N6thrust23THRUST_200600_302600_NS6detail15normal_iteratorINS9_10device_ptrIiEEEESE_SE_iNS9_4plusIvEENS9_8equal_toIvEEiEE10hipError_tPvRmT2_T3_T4_T5_mT6_T7_P12ihipStream_tbENKUlT_T0_E_clISt17integral_constantIbLb0EESY_IbLb1EEEEDaSU_SV_EUlSU_E_NS1_11comp_targetILNS1_3genE3ELNS1_11target_archE908ELNS1_3gpuE7ELNS1_3repE0EEENS1_30default_config_static_selectorELNS0_4arch9wavefront6targetE1EEEvT1_.kd
    .uniform_work_group_size: 1
    .uses_dynamic_stack: false
    .vgpr_count:     0
    .vgpr_spill_count: 0
    .wavefront_size: 64
  - .agpr_count:     0
    .args:
      - .offset:         0
        .size:           112
        .value_kind:     by_value
    .group_segment_fixed_size: 0
    .kernarg_segment_align: 8
    .kernarg_segment_size: 112
    .language:       OpenCL C
    .language_version:
      - 2
      - 0
    .max_flat_workgroup_size: 256
    .name:           _ZN7rocprim17ROCPRIM_400000_NS6detail17trampoline_kernelINS0_14default_configENS1_27scan_by_key_config_selectorIiiEEZZNS1_16scan_by_key_implILNS1_25lookback_scan_determinismE0ELb1ES3_N6thrust23THRUST_200600_302600_NS6detail15normal_iteratorINS9_10device_ptrIiEEEESE_SE_iNS9_4plusIvEENS9_8equal_toIvEEiEE10hipError_tPvRmT2_T3_T4_T5_mT6_T7_P12ihipStream_tbENKUlT_T0_E_clISt17integral_constantIbLb0EESY_IbLb1EEEEDaSU_SV_EUlSU_E_NS1_11comp_targetILNS1_3genE2ELNS1_11target_archE906ELNS1_3gpuE6ELNS1_3repE0EEENS1_30default_config_static_selectorELNS0_4arch9wavefront6targetE1EEEvT1_
    .private_segment_fixed_size: 0
    .sgpr_count:     4
    .sgpr_spill_count: 0
    .symbol:         _ZN7rocprim17ROCPRIM_400000_NS6detail17trampoline_kernelINS0_14default_configENS1_27scan_by_key_config_selectorIiiEEZZNS1_16scan_by_key_implILNS1_25lookback_scan_determinismE0ELb1ES3_N6thrust23THRUST_200600_302600_NS6detail15normal_iteratorINS9_10device_ptrIiEEEESE_SE_iNS9_4plusIvEENS9_8equal_toIvEEiEE10hipError_tPvRmT2_T3_T4_T5_mT6_T7_P12ihipStream_tbENKUlT_T0_E_clISt17integral_constantIbLb0EESY_IbLb1EEEEDaSU_SV_EUlSU_E_NS1_11comp_targetILNS1_3genE2ELNS1_11target_archE906ELNS1_3gpuE6ELNS1_3repE0EEENS1_30default_config_static_selectorELNS0_4arch9wavefront6targetE1EEEvT1_.kd
    .uniform_work_group_size: 1
    .uses_dynamic_stack: false
    .vgpr_count:     0
    .vgpr_spill_count: 0
    .wavefront_size: 64
  - .agpr_count:     0
    .args:
      - .offset:         0
        .size:           112
        .value_kind:     by_value
    .group_segment_fixed_size: 0
    .kernarg_segment_align: 8
    .kernarg_segment_size: 112
    .language:       OpenCL C
    .language_version:
      - 2
      - 0
    .max_flat_workgroup_size: 256
    .name:           _ZN7rocprim17ROCPRIM_400000_NS6detail17trampoline_kernelINS0_14default_configENS1_27scan_by_key_config_selectorIiiEEZZNS1_16scan_by_key_implILNS1_25lookback_scan_determinismE0ELb1ES3_N6thrust23THRUST_200600_302600_NS6detail15normal_iteratorINS9_10device_ptrIiEEEESE_SE_iNS9_4plusIvEENS9_8equal_toIvEEiEE10hipError_tPvRmT2_T3_T4_T5_mT6_T7_P12ihipStream_tbENKUlT_T0_E_clISt17integral_constantIbLb0EESY_IbLb1EEEEDaSU_SV_EUlSU_E_NS1_11comp_targetILNS1_3genE10ELNS1_11target_archE1200ELNS1_3gpuE4ELNS1_3repE0EEENS1_30default_config_static_selectorELNS0_4arch9wavefront6targetE1EEEvT1_
    .private_segment_fixed_size: 0
    .sgpr_count:     4
    .sgpr_spill_count: 0
    .symbol:         _ZN7rocprim17ROCPRIM_400000_NS6detail17trampoline_kernelINS0_14default_configENS1_27scan_by_key_config_selectorIiiEEZZNS1_16scan_by_key_implILNS1_25lookback_scan_determinismE0ELb1ES3_N6thrust23THRUST_200600_302600_NS6detail15normal_iteratorINS9_10device_ptrIiEEEESE_SE_iNS9_4plusIvEENS9_8equal_toIvEEiEE10hipError_tPvRmT2_T3_T4_T5_mT6_T7_P12ihipStream_tbENKUlT_T0_E_clISt17integral_constantIbLb0EESY_IbLb1EEEEDaSU_SV_EUlSU_E_NS1_11comp_targetILNS1_3genE10ELNS1_11target_archE1200ELNS1_3gpuE4ELNS1_3repE0EEENS1_30default_config_static_selectorELNS0_4arch9wavefront6targetE1EEEvT1_.kd
    .uniform_work_group_size: 1
    .uses_dynamic_stack: false
    .vgpr_count:     0
    .vgpr_spill_count: 0
    .wavefront_size: 64
  - .agpr_count:     0
    .args:
      - .offset:         0
        .size:           112
        .value_kind:     by_value
    .group_segment_fixed_size: 0
    .kernarg_segment_align: 8
    .kernarg_segment_size: 112
    .language:       OpenCL C
    .language_version:
      - 2
      - 0
    .max_flat_workgroup_size: 256
    .name:           _ZN7rocprim17ROCPRIM_400000_NS6detail17trampoline_kernelINS0_14default_configENS1_27scan_by_key_config_selectorIiiEEZZNS1_16scan_by_key_implILNS1_25lookback_scan_determinismE0ELb1ES3_N6thrust23THRUST_200600_302600_NS6detail15normal_iteratorINS9_10device_ptrIiEEEESE_SE_iNS9_4plusIvEENS9_8equal_toIvEEiEE10hipError_tPvRmT2_T3_T4_T5_mT6_T7_P12ihipStream_tbENKUlT_T0_E_clISt17integral_constantIbLb0EESY_IbLb1EEEEDaSU_SV_EUlSU_E_NS1_11comp_targetILNS1_3genE9ELNS1_11target_archE1100ELNS1_3gpuE3ELNS1_3repE0EEENS1_30default_config_static_selectorELNS0_4arch9wavefront6targetE1EEEvT1_
    .private_segment_fixed_size: 0
    .sgpr_count:     4
    .sgpr_spill_count: 0
    .symbol:         _ZN7rocprim17ROCPRIM_400000_NS6detail17trampoline_kernelINS0_14default_configENS1_27scan_by_key_config_selectorIiiEEZZNS1_16scan_by_key_implILNS1_25lookback_scan_determinismE0ELb1ES3_N6thrust23THRUST_200600_302600_NS6detail15normal_iteratorINS9_10device_ptrIiEEEESE_SE_iNS9_4plusIvEENS9_8equal_toIvEEiEE10hipError_tPvRmT2_T3_T4_T5_mT6_T7_P12ihipStream_tbENKUlT_T0_E_clISt17integral_constantIbLb0EESY_IbLb1EEEEDaSU_SV_EUlSU_E_NS1_11comp_targetILNS1_3genE9ELNS1_11target_archE1100ELNS1_3gpuE3ELNS1_3repE0EEENS1_30default_config_static_selectorELNS0_4arch9wavefront6targetE1EEEvT1_.kd
    .uniform_work_group_size: 1
    .uses_dynamic_stack: false
    .vgpr_count:     0
    .vgpr_spill_count: 0
    .wavefront_size: 64
  - .agpr_count:     0
    .args:
      - .offset:         0
        .size:           112
        .value_kind:     by_value
    .group_segment_fixed_size: 0
    .kernarg_segment_align: 8
    .kernarg_segment_size: 112
    .language:       OpenCL C
    .language_version:
      - 2
      - 0
    .max_flat_workgroup_size: 256
    .name:           _ZN7rocprim17ROCPRIM_400000_NS6detail17trampoline_kernelINS0_14default_configENS1_27scan_by_key_config_selectorIiiEEZZNS1_16scan_by_key_implILNS1_25lookback_scan_determinismE0ELb1ES3_N6thrust23THRUST_200600_302600_NS6detail15normal_iteratorINS9_10device_ptrIiEEEESE_SE_iNS9_4plusIvEENS9_8equal_toIvEEiEE10hipError_tPvRmT2_T3_T4_T5_mT6_T7_P12ihipStream_tbENKUlT_T0_E_clISt17integral_constantIbLb0EESY_IbLb1EEEEDaSU_SV_EUlSU_E_NS1_11comp_targetILNS1_3genE8ELNS1_11target_archE1030ELNS1_3gpuE2ELNS1_3repE0EEENS1_30default_config_static_selectorELNS0_4arch9wavefront6targetE1EEEvT1_
    .private_segment_fixed_size: 0
    .sgpr_count:     4
    .sgpr_spill_count: 0
    .symbol:         _ZN7rocprim17ROCPRIM_400000_NS6detail17trampoline_kernelINS0_14default_configENS1_27scan_by_key_config_selectorIiiEEZZNS1_16scan_by_key_implILNS1_25lookback_scan_determinismE0ELb1ES3_N6thrust23THRUST_200600_302600_NS6detail15normal_iteratorINS9_10device_ptrIiEEEESE_SE_iNS9_4plusIvEENS9_8equal_toIvEEiEE10hipError_tPvRmT2_T3_T4_T5_mT6_T7_P12ihipStream_tbENKUlT_T0_E_clISt17integral_constantIbLb0EESY_IbLb1EEEEDaSU_SV_EUlSU_E_NS1_11comp_targetILNS1_3genE8ELNS1_11target_archE1030ELNS1_3gpuE2ELNS1_3repE0EEENS1_30default_config_static_selectorELNS0_4arch9wavefront6targetE1EEEvT1_.kd
    .uniform_work_group_size: 1
    .uses_dynamic_stack: false
    .vgpr_count:     0
    .vgpr_spill_count: 0
    .wavefront_size: 64
  - .agpr_count:     0
    .args:
      - .offset:         0
        .size:           112
        .value_kind:     by_value
    .group_segment_fixed_size: 0
    .kernarg_segment_align: 8
    .kernarg_segment_size: 112
    .language:       OpenCL C
    .language_version:
      - 2
      - 0
    .max_flat_workgroup_size: 256
    .name:           _ZN7rocprim17ROCPRIM_400000_NS6detail17trampoline_kernelINS0_14default_configENS1_27scan_by_key_config_selectorIiiEEZZNS1_16scan_by_key_implILNS1_25lookback_scan_determinismE0ELb1ES3_N6thrust23THRUST_200600_302600_NS6detail15normal_iteratorINS9_10device_ptrIiEEEESE_SE_iNS9_4plusIvEE19head_flag_predicateIiEiEE10hipError_tPvRmT2_T3_T4_T5_mT6_T7_P12ihipStream_tbENKUlT_T0_E_clISt17integral_constantIbLb0EESZ_EEDaSU_SV_EUlSU_E_NS1_11comp_targetILNS1_3genE0ELNS1_11target_archE4294967295ELNS1_3gpuE0ELNS1_3repE0EEENS1_30default_config_static_selectorELNS0_4arch9wavefront6targetE1EEEvT1_
    .private_segment_fixed_size: 0
    .sgpr_count:     4
    .sgpr_spill_count: 0
    .symbol:         _ZN7rocprim17ROCPRIM_400000_NS6detail17trampoline_kernelINS0_14default_configENS1_27scan_by_key_config_selectorIiiEEZZNS1_16scan_by_key_implILNS1_25lookback_scan_determinismE0ELb1ES3_N6thrust23THRUST_200600_302600_NS6detail15normal_iteratorINS9_10device_ptrIiEEEESE_SE_iNS9_4plusIvEE19head_flag_predicateIiEiEE10hipError_tPvRmT2_T3_T4_T5_mT6_T7_P12ihipStream_tbENKUlT_T0_E_clISt17integral_constantIbLb0EESZ_EEDaSU_SV_EUlSU_E_NS1_11comp_targetILNS1_3genE0ELNS1_11target_archE4294967295ELNS1_3gpuE0ELNS1_3repE0EEENS1_30default_config_static_selectorELNS0_4arch9wavefront6targetE1EEEvT1_.kd
    .uniform_work_group_size: 1
    .uses_dynamic_stack: false
    .vgpr_count:     0
    .vgpr_spill_count: 0
    .wavefront_size: 64
  - .agpr_count:     0
    .args:
      - .offset:         0
        .size:           112
        .value_kind:     by_value
    .group_segment_fixed_size: 0
    .kernarg_segment_align: 8
    .kernarg_segment_size: 112
    .language:       OpenCL C
    .language_version:
      - 2
      - 0
    .max_flat_workgroup_size: 256
    .name:           _ZN7rocprim17ROCPRIM_400000_NS6detail17trampoline_kernelINS0_14default_configENS1_27scan_by_key_config_selectorIiiEEZZNS1_16scan_by_key_implILNS1_25lookback_scan_determinismE0ELb1ES3_N6thrust23THRUST_200600_302600_NS6detail15normal_iteratorINS9_10device_ptrIiEEEESE_SE_iNS9_4plusIvEE19head_flag_predicateIiEiEE10hipError_tPvRmT2_T3_T4_T5_mT6_T7_P12ihipStream_tbENKUlT_T0_E_clISt17integral_constantIbLb0EESZ_EEDaSU_SV_EUlSU_E_NS1_11comp_targetILNS1_3genE10ELNS1_11target_archE1201ELNS1_3gpuE5ELNS1_3repE0EEENS1_30default_config_static_selectorELNS0_4arch9wavefront6targetE1EEEvT1_
    .private_segment_fixed_size: 0
    .sgpr_count:     4
    .sgpr_spill_count: 0
    .symbol:         _ZN7rocprim17ROCPRIM_400000_NS6detail17trampoline_kernelINS0_14default_configENS1_27scan_by_key_config_selectorIiiEEZZNS1_16scan_by_key_implILNS1_25lookback_scan_determinismE0ELb1ES3_N6thrust23THRUST_200600_302600_NS6detail15normal_iteratorINS9_10device_ptrIiEEEESE_SE_iNS9_4plusIvEE19head_flag_predicateIiEiEE10hipError_tPvRmT2_T3_T4_T5_mT6_T7_P12ihipStream_tbENKUlT_T0_E_clISt17integral_constantIbLb0EESZ_EEDaSU_SV_EUlSU_E_NS1_11comp_targetILNS1_3genE10ELNS1_11target_archE1201ELNS1_3gpuE5ELNS1_3repE0EEENS1_30default_config_static_selectorELNS0_4arch9wavefront6targetE1EEEvT1_.kd
    .uniform_work_group_size: 1
    .uses_dynamic_stack: false
    .vgpr_count:     0
    .vgpr_spill_count: 0
    .wavefront_size: 64
  - .agpr_count:     0
    .args:
      - .offset:         0
        .size:           112
        .value_kind:     by_value
    .group_segment_fixed_size: 0
    .kernarg_segment_align: 8
    .kernarg_segment_size: 112
    .language:       OpenCL C
    .language_version:
      - 2
      - 0
    .max_flat_workgroup_size: 256
    .name:           _ZN7rocprim17ROCPRIM_400000_NS6detail17trampoline_kernelINS0_14default_configENS1_27scan_by_key_config_selectorIiiEEZZNS1_16scan_by_key_implILNS1_25lookback_scan_determinismE0ELb1ES3_N6thrust23THRUST_200600_302600_NS6detail15normal_iteratorINS9_10device_ptrIiEEEESE_SE_iNS9_4plusIvEE19head_flag_predicateIiEiEE10hipError_tPvRmT2_T3_T4_T5_mT6_T7_P12ihipStream_tbENKUlT_T0_E_clISt17integral_constantIbLb0EESZ_EEDaSU_SV_EUlSU_E_NS1_11comp_targetILNS1_3genE5ELNS1_11target_archE942ELNS1_3gpuE9ELNS1_3repE0EEENS1_30default_config_static_selectorELNS0_4arch9wavefront6targetE1EEEvT1_
    .private_segment_fixed_size: 0
    .sgpr_count:     4
    .sgpr_spill_count: 0
    .symbol:         _ZN7rocprim17ROCPRIM_400000_NS6detail17trampoline_kernelINS0_14default_configENS1_27scan_by_key_config_selectorIiiEEZZNS1_16scan_by_key_implILNS1_25lookback_scan_determinismE0ELb1ES3_N6thrust23THRUST_200600_302600_NS6detail15normal_iteratorINS9_10device_ptrIiEEEESE_SE_iNS9_4plusIvEE19head_flag_predicateIiEiEE10hipError_tPvRmT2_T3_T4_T5_mT6_T7_P12ihipStream_tbENKUlT_T0_E_clISt17integral_constantIbLb0EESZ_EEDaSU_SV_EUlSU_E_NS1_11comp_targetILNS1_3genE5ELNS1_11target_archE942ELNS1_3gpuE9ELNS1_3repE0EEENS1_30default_config_static_selectorELNS0_4arch9wavefront6targetE1EEEvT1_.kd
    .uniform_work_group_size: 1
    .uses_dynamic_stack: false
    .vgpr_count:     0
    .vgpr_spill_count: 0
    .wavefront_size: 64
  - .agpr_count:     0
    .args:
      - .offset:         0
        .size:           112
        .value_kind:     by_value
    .group_segment_fixed_size: 16384
    .kernarg_segment_align: 8
    .kernarg_segment_size: 112
    .language:       OpenCL C
    .language_version:
      - 2
      - 0
    .max_flat_workgroup_size: 256
    .name:           _ZN7rocprim17ROCPRIM_400000_NS6detail17trampoline_kernelINS0_14default_configENS1_27scan_by_key_config_selectorIiiEEZZNS1_16scan_by_key_implILNS1_25lookback_scan_determinismE0ELb1ES3_N6thrust23THRUST_200600_302600_NS6detail15normal_iteratorINS9_10device_ptrIiEEEESE_SE_iNS9_4plusIvEE19head_flag_predicateIiEiEE10hipError_tPvRmT2_T3_T4_T5_mT6_T7_P12ihipStream_tbENKUlT_T0_E_clISt17integral_constantIbLb0EESZ_EEDaSU_SV_EUlSU_E_NS1_11comp_targetILNS1_3genE4ELNS1_11target_archE910ELNS1_3gpuE8ELNS1_3repE0EEENS1_30default_config_static_selectorELNS0_4arch9wavefront6targetE1EEEvT1_
    .private_segment_fixed_size: 0
    .sgpr_count:     64
    .sgpr_spill_count: 0
    .symbol:         _ZN7rocprim17ROCPRIM_400000_NS6detail17trampoline_kernelINS0_14default_configENS1_27scan_by_key_config_selectorIiiEEZZNS1_16scan_by_key_implILNS1_25lookback_scan_determinismE0ELb1ES3_N6thrust23THRUST_200600_302600_NS6detail15normal_iteratorINS9_10device_ptrIiEEEESE_SE_iNS9_4plusIvEE19head_flag_predicateIiEiEE10hipError_tPvRmT2_T3_T4_T5_mT6_T7_P12ihipStream_tbENKUlT_T0_E_clISt17integral_constantIbLb0EESZ_EEDaSU_SV_EUlSU_E_NS1_11comp_targetILNS1_3genE4ELNS1_11target_archE910ELNS1_3gpuE8ELNS1_3repE0EEENS1_30default_config_static_selectorELNS0_4arch9wavefront6targetE1EEEvT1_.kd
    .uniform_work_group_size: 1
    .uses_dynamic_stack: false
    .vgpr_count:     65
    .vgpr_spill_count: 0
    .wavefront_size: 64
  - .agpr_count:     0
    .args:
      - .offset:         0
        .size:           112
        .value_kind:     by_value
    .group_segment_fixed_size: 0
    .kernarg_segment_align: 8
    .kernarg_segment_size: 112
    .language:       OpenCL C
    .language_version:
      - 2
      - 0
    .max_flat_workgroup_size: 256
    .name:           _ZN7rocprim17ROCPRIM_400000_NS6detail17trampoline_kernelINS0_14default_configENS1_27scan_by_key_config_selectorIiiEEZZNS1_16scan_by_key_implILNS1_25lookback_scan_determinismE0ELb1ES3_N6thrust23THRUST_200600_302600_NS6detail15normal_iteratorINS9_10device_ptrIiEEEESE_SE_iNS9_4plusIvEE19head_flag_predicateIiEiEE10hipError_tPvRmT2_T3_T4_T5_mT6_T7_P12ihipStream_tbENKUlT_T0_E_clISt17integral_constantIbLb0EESZ_EEDaSU_SV_EUlSU_E_NS1_11comp_targetILNS1_3genE3ELNS1_11target_archE908ELNS1_3gpuE7ELNS1_3repE0EEENS1_30default_config_static_selectorELNS0_4arch9wavefront6targetE1EEEvT1_
    .private_segment_fixed_size: 0
    .sgpr_count:     4
    .sgpr_spill_count: 0
    .symbol:         _ZN7rocprim17ROCPRIM_400000_NS6detail17trampoline_kernelINS0_14default_configENS1_27scan_by_key_config_selectorIiiEEZZNS1_16scan_by_key_implILNS1_25lookback_scan_determinismE0ELb1ES3_N6thrust23THRUST_200600_302600_NS6detail15normal_iteratorINS9_10device_ptrIiEEEESE_SE_iNS9_4plusIvEE19head_flag_predicateIiEiEE10hipError_tPvRmT2_T3_T4_T5_mT6_T7_P12ihipStream_tbENKUlT_T0_E_clISt17integral_constantIbLb0EESZ_EEDaSU_SV_EUlSU_E_NS1_11comp_targetILNS1_3genE3ELNS1_11target_archE908ELNS1_3gpuE7ELNS1_3repE0EEENS1_30default_config_static_selectorELNS0_4arch9wavefront6targetE1EEEvT1_.kd
    .uniform_work_group_size: 1
    .uses_dynamic_stack: false
    .vgpr_count:     0
    .vgpr_spill_count: 0
    .wavefront_size: 64
  - .agpr_count:     0
    .args:
      - .offset:         0
        .size:           112
        .value_kind:     by_value
    .group_segment_fixed_size: 0
    .kernarg_segment_align: 8
    .kernarg_segment_size: 112
    .language:       OpenCL C
    .language_version:
      - 2
      - 0
    .max_flat_workgroup_size: 256
    .name:           _ZN7rocprim17ROCPRIM_400000_NS6detail17trampoline_kernelINS0_14default_configENS1_27scan_by_key_config_selectorIiiEEZZNS1_16scan_by_key_implILNS1_25lookback_scan_determinismE0ELb1ES3_N6thrust23THRUST_200600_302600_NS6detail15normal_iteratorINS9_10device_ptrIiEEEESE_SE_iNS9_4plusIvEE19head_flag_predicateIiEiEE10hipError_tPvRmT2_T3_T4_T5_mT6_T7_P12ihipStream_tbENKUlT_T0_E_clISt17integral_constantIbLb0EESZ_EEDaSU_SV_EUlSU_E_NS1_11comp_targetILNS1_3genE2ELNS1_11target_archE906ELNS1_3gpuE6ELNS1_3repE0EEENS1_30default_config_static_selectorELNS0_4arch9wavefront6targetE1EEEvT1_
    .private_segment_fixed_size: 0
    .sgpr_count:     4
    .sgpr_spill_count: 0
    .symbol:         _ZN7rocprim17ROCPRIM_400000_NS6detail17trampoline_kernelINS0_14default_configENS1_27scan_by_key_config_selectorIiiEEZZNS1_16scan_by_key_implILNS1_25lookback_scan_determinismE0ELb1ES3_N6thrust23THRUST_200600_302600_NS6detail15normal_iteratorINS9_10device_ptrIiEEEESE_SE_iNS9_4plusIvEE19head_flag_predicateIiEiEE10hipError_tPvRmT2_T3_T4_T5_mT6_T7_P12ihipStream_tbENKUlT_T0_E_clISt17integral_constantIbLb0EESZ_EEDaSU_SV_EUlSU_E_NS1_11comp_targetILNS1_3genE2ELNS1_11target_archE906ELNS1_3gpuE6ELNS1_3repE0EEENS1_30default_config_static_selectorELNS0_4arch9wavefront6targetE1EEEvT1_.kd
    .uniform_work_group_size: 1
    .uses_dynamic_stack: false
    .vgpr_count:     0
    .vgpr_spill_count: 0
    .wavefront_size: 64
  - .agpr_count:     0
    .args:
      - .offset:         0
        .size:           112
        .value_kind:     by_value
    .group_segment_fixed_size: 0
    .kernarg_segment_align: 8
    .kernarg_segment_size: 112
    .language:       OpenCL C
    .language_version:
      - 2
      - 0
    .max_flat_workgroup_size: 256
    .name:           _ZN7rocprim17ROCPRIM_400000_NS6detail17trampoline_kernelINS0_14default_configENS1_27scan_by_key_config_selectorIiiEEZZNS1_16scan_by_key_implILNS1_25lookback_scan_determinismE0ELb1ES3_N6thrust23THRUST_200600_302600_NS6detail15normal_iteratorINS9_10device_ptrIiEEEESE_SE_iNS9_4plusIvEE19head_flag_predicateIiEiEE10hipError_tPvRmT2_T3_T4_T5_mT6_T7_P12ihipStream_tbENKUlT_T0_E_clISt17integral_constantIbLb0EESZ_EEDaSU_SV_EUlSU_E_NS1_11comp_targetILNS1_3genE10ELNS1_11target_archE1200ELNS1_3gpuE4ELNS1_3repE0EEENS1_30default_config_static_selectorELNS0_4arch9wavefront6targetE1EEEvT1_
    .private_segment_fixed_size: 0
    .sgpr_count:     4
    .sgpr_spill_count: 0
    .symbol:         _ZN7rocprim17ROCPRIM_400000_NS6detail17trampoline_kernelINS0_14default_configENS1_27scan_by_key_config_selectorIiiEEZZNS1_16scan_by_key_implILNS1_25lookback_scan_determinismE0ELb1ES3_N6thrust23THRUST_200600_302600_NS6detail15normal_iteratorINS9_10device_ptrIiEEEESE_SE_iNS9_4plusIvEE19head_flag_predicateIiEiEE10hipError_tPvRmT2_T3_T4_T5_mT6_T7_P12ihipStream_tbENKUlT_T0_E_clISt17integral_constantIbLb0EESZ_EEDaSU_SV_EUlSU_E_NS1_11comp_targetILNS1_3genE10ELNS1_11target_archE1200ELNS1_3gpuE4ELNS1_3repE0EEENS1_30default_config_static_selectorELNS0_4arch9wavefront6targetE1EEEvT1_.kd
    .uniform_work_group_size: 1
    .uses_dynamic_stack: false
    .vgpr_count:     0
    .vgpr_spill_count: 0
    .wavefront_size: 64
  - .agpr_count:     0
    .args:
      - .offset:         0
        .size:           112
        .value_kind:     by_value
    .group_segment_fixed_size: 0
    .kernarg_segment_align: 8
    .kernarg_segment_size: 112
    .language:       OpenCL C
    .language_version:
      - 2
      - 0
    .max_flat_workgroup_size: 256
    .name:           _ZN7rocprim17ROCPRIM_400000_NS6detail17trampoline_kernelINS0_14default_configENS1_27scan_by_key_config_selectorIiiEEZZNS1_16scan_by_key_implILNS1_25lookback_scan_determinismE0ELb1ES3_N6thrust23THRUST_200600_302600_NS6detail15normal_iteratorINS9_10device_ptrIiEEEESE_SE_iNS9_4plusIvEE19head_flag_predicateIiEiEE10hipError_tPvRmT2_T3_T4_T5_mT6_T7_P12ihipStream_tbENKUlT_T0_E_clISt17integral_constantIbLb0EESZ_EEDaSU_SV_EUlSU_E_NS1_11comp_targetILNS1_3genE9ELNS1_11target_archE1100ELNS1_3gpuE3ELNS1_3repE0EEENS1_30default_config_static_selectorELNS0_4arch9wavefront6targetE1EEEvT1_
    .private_segment_fixed_size: 0
    .sgpr_count:     4
    .sgpr_spill_count: 0
    .symbol:         _ZN7rocprim17ROCPRIM_400000_NS6detail17trampoline_kernelINS0_14default_configENS1_27scan_by_key_config_selectorIiiEEZZNS1_16scan_by_key_implILNS1_25lookback_scan_determinismE0ELb1ES3_N6thrust23THRUST_200600_302600_NS6detail15normal_iteratorINS9_10device_ptrIiEEEESE_SE_iNS9_4plusIvEE19head_flag_predicateIiEiEE10hipError_tPvRmT2_T3_T4_T5_mT6_T7_P12ihipStream_tbENKUlT_T0_E_clISt17integral_constantIbLb0EESZ_EEDaSU_SV_EUlSU_E_NS1_11comp_targetILNS1_3genE9ELNS1_11target_archE1100ELNS1_3gpuE3ELNS1_3repE0EEENS1_30default_config_static_selectorELNS0_4arch9wavefront6targetE1EEEvT1_.kd
    .uniform_work_group_size: 1
    .uses_dynamic_stack: false
    .vgpr_count:     0
    .vgpr_spill_count: 0
    .wavefront_size: 64
  - .agpr_count:     0
    .args:
      - .offset:         0
        .size:           112
        .value_kind:     by_value
    .group_segment_fixed_size: 0
    .kernarg_segment_align: 8
    .kernarg_segment_size: 112
    .language:       OpenCL C
    .language_version:
      - 2
      - 0
    .max_flat_workgroup_size: 256
    .name:           _ZN7rocprim17ROCPRIM_400000_NS6detail17trampoline_kernelINS0_14default_configENS1_27scan_by_key_config_selectorIiiEEZZNS1_16scan_by_key_implILNS1_25lookback_scan_determinismE0ELb1ES3_N6thrust23THRUST_200600_302600_NS6detail15normal_iteratorINS9_10device_ptrIiEEEESE_SE_iNS9_4plusIvEE19head_flag_predicateIiEiEE10hipError_tPvRmT2_T3_T4_T5_mT6_T7_P12ihipStream_tbENKUlT_T0_E_clISt17integral_constantIbLb0EESZ_EEDaSU_SV_EUlSU_E_NS1_11comp_targetILNS1_3genE8ELNS1_11target_archE1030ELNS1_3gpuE2ELNS1_3repE0EEENS1_30default_config_static_selectorELNS0_4arch9wavefront6targetE1EEEvT1_
    .private_segment_fixed_size: 0
    .sgpr_count:     4
    .sgpr_spill_count: 0
    .symbol:         _ZN7rocprim17ROCPRIM_400000_NS6detail17trampoline_kernelINS0_14default_configENS1_27scan_by_key_config_selectorIiiEEZZNS1_16scan_by_key_implILNS1_25lookback_scan_determinismE0ELb1ES3_N6thrust23THRUST_200600_302600_NS6detail15normal_iteratorINS9_10device_ptrIiEEEESE_SE_iNS9_4plusIvEE19head_flag_predicateIiEiEE10hipError_tPvRmT2_T3_T4_T5_mT6_T7_P12ihipStream_tbENKUlT_T0_E_clISt17integral_constantIbLb0EESZ_EEDaSU_SV_EUlSU_E_NS1_11comp_targetILNS1_3genE8ELNS1_11target_archE1030ELNS1_3gpuE2ELNS1_3repE0EEENS1_30default_config_static_selectorELNS0_4arch9wavefront6targetE1EEEvT1_.kd
    .uniform_work_group_size: 1
    .uses_dynamic_stack: false
    .vgpr_count:     0
    .vgpr_spill_count: 0
    .wavefront_size: 64
  - .agpr_count:     0
    .args:
      - .offset:         0
        .size:           112
        .value_kind:     by_value
    .group_segment_fixed_size: 0
    .kernarg_segment_align: 8
    .kernarg_segment_size: 112
    .language:       OpenCL C
    .language_version:
      - 2
      - 0
    .max_flat_workgroup_size: 256
    .name:           _ZN7rocprim17ROCPRIM_400000_NS6detail17trampoline_kernelINS0_14default_configENS1_27scan_by_key_config_selectorIiiEEZZNS1_16scan_by_key_implILNS1_25lookback_scan_determinismE0ELb1ES3_N6thrust23THRUST_200600_302600_NS6detail15normal_iteratorINS9_10device_ptrIiEEEESE_SE_iNS9_4plusIvEE19head_flag_predicateIiEiEE10hipError_tPvRmT2_T3_T4_T5_mT6_T7_P12ihipStream_tbENKUlT_T0_E_clISt17integral_constantIbLb1EESZ_EEDaSU_SV_EUlSU_E_NS1_11comp_targetILNS1_3genE0ELNS1_11target_archE4294967295ELNS1_3gpuE0ELNS1_3repE0EEENS1_30default_config_static_selectorELNS0_4arch9wavefront6targetE1EEEvT1_
    .private_segment_fixed_size: 0
    .sgpr_count:     4
    .sgpr_spill_count: 0
    .symbol:         _ZN7rocprim17ROCPRIM_400000_NS6detail17trampoline_kernelINS0_14default_configENS1_27scan_by_key_config_selectorIiiEEZZNS1_16scan_by_key_implILNS1_25lookback_scan_determinismE0ELb1ES3_N6thrust23THRUST_200600_302600_NS6detail15normal_iteratorINS9_10device_ptrIiEEEESE_SE_iNS9_4plusIvEE19head_flag_predicateIiEiEE10hipError_tPvRmT2_T3_T4_T5_mT6_T7_P12ihipStream_tbENKUlT_T0_E_clISt17integral_constantIbLb1EESZ_EEDaSU_SV_EUlSU_E_NS1_11comp_targetILNS1_3genE0ELNS1_11target_archE4294967295ELNS1_3gpuE0ELNS1_3repE0EEENS1_30default_config_static_selectorELNS0_4arch9wavefront6targetE1EEEvT1_.kd
    .uniform_work_group_size: 1
    .uses_dynamic_stack: false
    .vgpr_count:     0
    .vgpr_spill_count: 0
    .wavefront_size: 64
  - .agpr_count:     0
    .args:
      - .offset:         0
        .size:           112
        .value_kind:     by_value
    .group_segment_fixed_size: 0
    .kernarg_segment_align: 8
    .kernarg_segment_size: 112
    .language:       OpenCL C
    .language_version:
      - 2
      - 0
    .max_flat_workgroup_size: 256
    .name:           _ZN7rocprim17ROCPRIM_400000_NS6detail17trampoline_kernelINS0_14default_configENS1_27scan_by_key_config_selectorIiiEEZZNS1_16scan_by_key_implILNS1_25lookback_scan_determinismE0ELb1ES3_N6thrust23THRUST_200600_302600_NS6detail15normal_iteratorINS9_10device_ptrIiEEEESE_SE_iNS9_4plusIvEE19head_flag_predicateIiEiEE10hipError_tPvRmT2_T3_T4_T5_mT6_T7_P12ihipStream_tbENKUlT_T0_E_clISt17integral_constantIbLb1EESZ_EEDaSU_SV_EUlSU_E_NS1_11comp_targetILNS1_3genE10ELNS1_11target_archE1201ELNS1_3gpuE5ELNS1_3repE0EEENS1_30default_config_static_selectorELNS0_4arch9wavefront6targetE1EEEvT1_
    .private_segment_fixed_size: 0
    .sgpr_count:     4
    .sgpr_spill_count: 0
    .symbol:         _ZN7rocprim17ROCPRIM_400000_NS6detail17trampoline_kernelINS0_14default_configENS1_27scan_by_key_config_selectorIiiEEZZNS1_16scan_by_key_implILNS1_25lookback_scan_determinismE0ELb1ES3_N6thrust23THRUST_200600_302600_NS6detail15normal_iteratorINS9_10device_ptrIiEEEESE_SE_iNS9_4plusIvEE19head_flag_predicateIiEiEE10hipError_tPvRmT2_T3_T4_T5_mT6_T7_P12ihipStream_tbENKUlT_T0_E_clISt17integral_constantIbLb1EESZ_EEDaSU_SV_EUlSU_E_NS1_11comp_targetILNS1_3genE10ELNS1_11target_archE1201ELNS1_3gpuE5ELNS1_3repE0EEENS1_30default_config_static_selectorELNS0_4arch9wavefront6targetE1EEEvT1_.kd
    .uniform_work_group_size: 1
    .uses_dynamic_stack: false
    .vgpr_count:     0
    .vgpr_spill_count: 0
    .wavefront_size: 64
  - .agpr_count:     0
    .args:
      - .offset:         0
        .size:           112
        .value_kind:     by_value
    .group_segment_fixed_size: 0
    .kernarg_segment_align: 8
    .kernarg_segment_size: 112
    .language:       OpenCL C
    .language_version:
      - 2
      - 0
    .max_flat_workgroup_size: 256
    .name:           _ZN7rocprim17ROCPRIM_400000_NS6detail17trampoline_kernelINS0_14default_configENS1_27scan_by_key_config_selectorIiiEEZZNS1_16scan_by_key_implILNS1_25lookback_scan_determinismE0ELb1ES3_N6thrust23THRUST_200600_302600_NS6detail15normal_iteratorINS9_10device_ptrIiEEEESE_SE_iNS9_4plusIvEE19head_flag_predicateIiEiEE10hipError_tPvRmT2_T3_T4_T5_mT6_T7_P12ihipStream_tbENKUlT_T0_E_clISt17integral_constantIbLb1EESZ_EEDaSU_SV_EUlSU_E_NS1_11comp_targetILNS1_3genE5ELNS1_11target_archE942ELNS1_3gpuE9ELNS1_3repE0EEENS1_30default_config_static_selectorELNS0_4arch9wavefront6targetE1EEEvT1_
    .private_segment_fixed_size: 0
    .sgpr_count:     4
    .sgpr_spill_count: 0
    .symbol:         _ZN7rocprim17ROCPRIM_400000_NS6detail17trampoline_kernelINS0_14default_configENS1_27scan_by_key_config_selectorIiiEEZZNS1_16scan_by_key_implILNS1_25lookback_scan_determinismE0ELb1ES3_N6thrust23THRUST_200600_302600_NS6detail15normal_iteratorINS9_10device_ptrIiEEEESE_SE_iNS9_4plusIvEE19head_flag_predicateIiEiEE10hipError_tPvRmT2_T3_T4_T5_mT6_T7_P12ihipStream_tbENKUlT_T0_E_clISt17integral_constantIbLb1EESZ_EEDaSU_SV_EUlSU_E_NS1_11comp_targetILNS1_3genE5ELNS1_11target_archE942ELNS1_3gpuE9ELNS1_3repE0EEENS1_30default_config_static_selectorELNS0_4arch9wavefront6targetE1EEEvT1_.kd
    .uniform_work_group_size: 1
    .uses_dynamic_stack: false
    .vgpr_count:     0
    .vgpr_spill_count: 0
    .wavefront_size: 64
  - .agpr_count:     0
    .args:
      - .offset:         0
        .size:           112
        .value_kind:     by_value
    .group_segment_fixed_size: 16384
    .kernarg_segment_align: 8
    .kernarg_segment_size: 112
    .language:       OpenCL C
    .language_version:
      - 2
      - 0
    .max_flat_workgroup_size: 256
    .name:           _ZN7rocprim17ROCPRIM_400000_NS6detail17trampoline_kernelINS0_14default_configENS1_27scan_by_key_config_selectorIiiEEZZNS1_16scan_by_key_implILNS1_25lookback_scan_determinismE0ELb1ES3_N6thrust23THRUST_200600_302600_NS6detail15normal_iteratorINS9_10device_ptrIiEEEESE_SE_iNS9_4plusIvEE19head_flag_predicateIiEiEE10hipError_tPvRmT2_T3_T4_T5_mT6_T7_P12ihipStream_tbENKUlT_T0_E_clISt17integral_constantIbLb1EESZ_EEDaSU_SV_EUlSU_E_NS1_11comp_targetILNS1_3genE4ELNS1_11target_archE910ELNS1_3gpuE8ELNS1_3repE0EEENS1_30default_config_static_selectorELNS0_4arch9wavefront6targetE1EEEvT1_
    .private_segment_fixed_size: 0
    .sgpr_count:     64
    .sgpr_spill_count: 0
    .symbol:         _ZN7rocprim17ROCPRIM_400000_NS6detail17trampoline_kernelINS0_14default_configENS1_27scan_by_key_config_selectorIiiEEZZNS1_16scan_by_key_implILNS1_25lookback_scan_determinismE0ELb1ES3_N6thrust23THRUST_200600_302600_NS6detail15normal_iteratorINS9_10device_ptrIiEEEESE_SE_iNS9_4plusIvEE19head_flag_predicateIiEiEE10hipError_tPvRmT2_T3_T4_T5_mT6_T7_P12ihipStream_tbENKUlT_T0_E_clISt17integral_constantIbLb1EESZ_EEDaSU_SV_EUlSU_E_NS1_11comp_targetILNS1_3genE4ELNS1_11target_archE910ELNS1_3gpuE8ELNS1_3repE0EEENS1_30default_config_static_selectorELNS0_4arch9wavefront6targetE1EEEvT1_.kd
    .uniform_work_group_size: 1
    .uses_dynamic_stack: false
    .vgpr_count:     67
    .vgpr_spill_count: 0
    .wavefront_size: 64
  - .agpr_count:     0
    .args:
      - .offset:         0
        .size:           112
        .value_kind:     by_value
    .group_segment_fixed_size: 0
    .kernarg_segment_align: 8
    .kernarg_segment_size: 112
    .language:       OpenCL C
    .language_version:
      - 2
      - 0
    .max_flat_workgroup_size: 256
    .name:           _ZN7rocprim17ROCPRIM_400000_NS6detail17trampoline_kernelINS0_14default_configENS1_27scan_by_key_config_selectorIiiEEZZNS1_16scan_by_key_implILNS1_25lookback_scan_determinismE0ELb1ES3_N6thrust23THRUST_200600_302600_NS6detail15normal_iteratorINS9_10device_ptrIiEEEESE_SE_iNS9_4plusIvEE19head_flag_predicateIiEiEE10hipError_tPvRmT2_T3_T4_T5_mT6_T7_P12ihipStream_tbENKUlT_T0_E_clISt17integral_constantIbLb1EESZ_EEDaSU_SV_EUlSU_E_NS1_11comp_targetILNS1_3genE3ELNS1_11target_archE908ELNS1_3gpuE7ELNS1_3repE0EEENS1_30default_config_static_selectorELNS0_4arch9wavefront6targetE1EEEvT1_
    .private_segment_fixed_size: 0
    .sgpr_count:     4
    .sgpr_spill_count: 0
    .symbol:         _ZN7rocprim17ROCPRIM_400000_NS6detail17trampoline_kernelINS0_14default_configENS1_27scan_by_key_config_selectorIiiEEZZNS1_16scan_by_key_implILNS1_25lookback_scan_determinismE0ELb1ES3_N6thrust23THRUST_200600_302600_NS6detail15normal_iteratorINS9_10device_ptrIiEEEESE_SE_iNS9_4plusIvEE19head_flag_predicateIiEiEE10hipError_tPvRmT2_T3_T4_T5_mT6_T7_P12ihipStream_tbENKUlT_T0_E_clISt17integral_constantIbLb1EESZ_EEDaSU_SV_EUlSU_E_NS1_11comp_targetILNS1_3genE3ELNS1_11target_archE908ELNS1_3gpuE7ELNS1_3repE0EEENS1_30default_config_static_selectorELNS0_4arch9wavefront6targetE1EEEvT1_.kd
    .uniform_work_group_size: 1
    .uses_dynamic_stack: false
    .vgpr_count:     0
    .vgpr_spill_count: 0
    .wavefront_size: 64
  - .agpr_count:     0
    .args:
      - .offset:         0
        .size:           112
        .value_kind:     by_value
    .group_segment_fixed_size: 0
    .kernarg_segment_align: 8
    .kernarg_segment_size: 112
    .language:       OpenCL C
    .language_version:
      - 2
      - 0
    .max_flat_workgroup_size: 256
    .name:           _ZN7rocprim17ROCPRIM_400000_NS6detail17trampoline_kernelINS0_14default_configENS1_27scan_by_key_config_selectorIiiEEZZNS1_16scan_by_key_implILNS1_25lookback_scan_determinismE0ELb1ES3_N6thrust23THRUST_200600_302600_NS6detail15normal_iteratorINS9_10device_ptrIiEEEESE_SE_iNS9_4plusIvEE19head_flag_predicateIiEiEE10hipError_tPvRmT2_T3_T4_T5_mT6_T7_P12ihipStream_tbENKUlT_T0_E_clISt17integral_constantIbLb1EESZ_EEDaSU_SV_EUlSU_E_NS1_11comp_targetILNS1_3genE2ELNS1_11target_archE906ELNS1_3gpuE6ELNS1_3repE0EEENS1_30default_config_static_selectorELNS0_4arch9wavefront6targetE1EEEvT1_
    .private_segment_fixed_size: 0
    .sgpr_count:     4
    .sgpr_spill_count: 0
    .symbol:         _ZN7rocprim17ROCPRIM_400000_NS6detail17trampoline_kernelINS0_14default_configENS1_27scan_by_key_config_selectorIiiEEZZNS1_16scan_by_key_implILNS1_25lookback_scan_determinismE0ELb1ES3_N6thrust23THRUST_200600_302600_NS6detail15normal_iteratorINS9_10device_ptrIiEEEESE_SE_iNS9_4plusIvEE19head_flag_predicateIiEiEE10hipError_tPvRmT2_T3_T4_T5_mT6_T7_P12ihipStream_tbENKUlT_T0_E_clISt17integral_constantIbLb1EESZ_EEDaSU_SV_EUlSU_E_NS1_11comp_targetILNS1_3genE2ELNS1_11target_archE906ELNS1_3gpuE6ELNS1_3repE0EEENS1_30default_config_static_selectorELNS0_4arch9wavefront6targetE1EEEvT1_.kd
    .uniform_work_group_size: 1
    .uses_dynamic_stack: false
    .vgpr_count:     0
    .vgpr_spill_count: 0
    .wavefront_size: 64
  - .agpr_count:     0
    .args:
      - .offset:         0
        .size:           112
        .value_kind:     by_value
    .group_segment_fixed_size: 0
    .kernarg_segment_align: 8
    .kernarg_segment_size: 112
    .language:       OpenCL C
    .language_version:
      - 2
      - 0
    .max_flat_workgroup_size: 256
    .name:           _ZN7rocprim17ROCPRIM_400000_NS6detail17trampoline_kernelINS0_14default_configENS1_27scan_by_key_config_selectorIiiEEZZNS1_16scan_by_key_implILNS1_25lookback_scan_determinismE0ELb1ES3_N6thrust23THRUST_200600_302600_NS6detail15normal_iteratorINS9_10device_ptrIiEEEESE_SE_iNS9_4plusIvEE19head_flag_predicateIiEiEE10hipError_tPvRmT2_T3_T4_T5_mT6_T7_P12ihipStream_tbENKUlT_T0_E_clISt17integral_constantIbLb1EESZ_EEDaSU_SV_EUlSU_E_NS1_11comp_targetILNS1_3genE10ELNS1_11target_archE1200ELNS1_3gpuE4ELNS1_3repE0EEENS1_30default_config_static_selectorELNS0_4arch9wavefront6targetE1EEEvT1_
    .private_segment_fixed_size: 0
    .sgpr_count:     4
    .sgpr_spill_count: 0
    .symbol:         _ZN7rocprim17ROCPRIM_400000_NS6detail17trampoline_kernelINS0_14default_configENS1_27scan_by_key_config_selectorIiiEEZZNS1_16scan_by_key_implILNS1_25lookback_scan_determinismE0ELb1ES3_N6thrust23THRUST_200600_302600_NS6detail15normal_iteratorINS9_10device_ptrIiEEEESE_SE_iNS9_4plusIvEE19head_flag_predicateIiEiEE10hipError_tPvRmT2_T3_T4_T5_mT6_T7_P12ihipStream_tbENKUlT_T0_E_clISt17integral_constantIbLb1EESZ_EEDaSU_SV_EUlSU_E_NS1_11comp_targetILNS1_3genE10ELNS1_11target_archE1200ELNS1_3gpuE4ELNS1_3repE0EEENS1_30default_config_static_selectorELNS0_4arch9wavefront6targetE1EEEvT1_.kd
    .uniform_work_group_size: 1
    .uses_dynamic_stack: false
    .vgpr_count:     0
    .vgpr_spill_count: 0
    .wavefront_size: 64
  - .agpr_count:     0
    .args:
      - .offset:         0
        .size:           112
        .value_kind:     by_value
    .group_segment_fixed_size: 0
    .kernarg_segment_align: 8
    .kernarg_segment_size: 112
    .language:       OpenCL C
    .language_version:
      - 2
      - 0
    .max_flat_workgroup_size: 256
    .name:           _ZN7rocprim17ROCPRIM_400000_NS6detail17trampoline_kernelINS0_14default_configENS1_27scan_by_key_config_selectorIiiEEZZNS1_16scan_by_key_implILNS1_25lookback_scan_determinismE0ELb1ES3_N6thrust23THRUST_200600_302600_NS6detail15normal_iteratorINS9_10device_ptrIiEEEESE_SE_iNS9_4plusIvEE19head_flag_predicateIiEiEE10hipError_tPvRmT2_T3_T4_T5_mT6_T7_P12ihipStream_tbENKUlT_T0_E_clISt17integral_constantIbLb1EESZ_EEDaSU_SV_EUlSU_E_NS1_11comp_targetILNS1_3genE9ELNS1_11target_archE1100ELNS1_3gpuE3ELNS1_3repE0EEENS1_30default_config_static_selectorELNS0_4arch9wavefront6targetE1EEEvT1_
    .private_segment_fixed_size: 0
    .sgpr_count:     4
    .sgpr_spill_count: 0
    .symbol:         _ZN7rocprim17ROCPRIM_400000_NS6detail17trampoline_kernelINS0_14default_configENS1_27scan_by_key_config_selectorIiiEEZZNS1_16scan_by_key_implILNS1_25lookback_scan_determinismE0ELb1ES3_N6thrust23THRUST_200600_302600_NS6detail15normal_iteratorINS9_10device_ptrIiEEEESE_SE_iNS9_4plusIvEE19head_flag_predicateIiEiEE10hipError_tPvRmT2_T3_T4_T5_mT6_T7_P12ihipStream_tbENKUlT_T0_E_clISt17integral_constantIbLb1EESZ_EEDaSU_SV_EUlSU_E_NS1_11comp_targetILNS1_3genE9ELNS1_11target_archE1100ELNS1_3gpuE3ELNS1_3repE0EEENS1_30default_config_static_selectorELNS0_4arch9wavefront6targetE1EEEvT1_.kd
    .uniform_work_group_size: 1
    .uses_dynamic_stack: false
    .vgpr_count:     0
    .vgpr_spill_count: 0
    .wavefront_size: 64
  - .agpr_count:     0
    .args:
      - .offset:         0
        .size:           112
        .value_kind:     by_value
    .group_segment_fixed_size: 0
    .kernarg_segment_align: 8
    .kernarg_segment_size: 112
    .language:       OpenCL C
    .language_version:
      - 2
      - 0
    .max_flat_workgroup_size: 256
    .name:           _ZN7rocprim17ROCPRIM_400000_NS6detail17trampoline_kernelINS0_14default_configENS1_27scan_by_key_config_selectorIiiEEZZNS1_16scan_by_key_implILNS1_25lookback_scan_determinismE0ELb1ES3_N6thrust23THRUST_200600_302600_NS6detail15normal_iteratorINS9_10device_ptrIiEEEESE_SE_iNS9_4plusIvEE19head_flag_predicateIiEiEE10hipError_tPvRmT2_T3_T4_T5_mT6_T7_P12ihipStream_tbENKUlT_T0_E_clISt17integral_constantIbLb1EESZ_EEDaSU_SV_EUlSU_E_NS1_11comp_targetILNS1_3genE8ELNS1_11target_archE1030ELNS1_3gpuE2ELNS1_3repE0EEENS1_30default_config_static_selectorELNS0_4arch9wavefront6targetE1EEEvT1_
    .private_segment_fixed_size: 0
    .sgpr_count:     4
    .sgpr_spill_count: 0
    .symbol:         _ZN7rocprim17ROCPRIM_400000_NS6detail17trampoline_kernelINS0_14default_configENS1_27scan_by_key_config_selectorIiiEEZZNS1_16scan_by_key_implILNS1_25lookback_scan_determinismE0ELb1ES3_N6thrust23THRUST_200600_302600_NS6detail15normal_iteratorINS9_10device_ptrIiEEEESE_SE_iNS9_4plusIvEE19head_flag_predicateIiEiEE10hipError_tPvRmT2_T3_T4_T5_mT6_T7_P12ihipStream_tbENKUlT_T0_E_clISt17integral_constantIbLb1EESZ_EEDaSU_SV_EUlSU_E_NS1_11comp_targetILNS1_3genE8ELNS1_11target_archE1030ELNS1_3gpuE2ELNS1_3repE0EEENS1_30default_config_static_selectorELNS0_4arch9wavefront6targetE1EEEvT1_.kd
    .uniform_work_group_size: 1
    .uses_dynamic_stack: false
    .vgpr_count:     0
    .vgpr_spill_count: 0
    .wavefront_size: 64
  - .agpr_count:     0
    .args:
      - .offset:         0
        .size:           112
        .value_kind:     by_value
    .group_segment_fixed_size: 0
    .kernarg_segment_align: 8
    .kernarg_segment_size: 112
    .language:       OpenCL C
    .language_version:
      - 2
      - 0
    .max_flat_workgroup_size: 256
    .name:           _ZN7rocprim17ROCPRIM_400000_NS6detail17trampoline_kernelINS0_14default_configENS1_27scan_by_key_config_selectorIiiEEZZNS1_16scan_by_key_implILNS1_25lookback_scan_determinismE0ELb1ES3_N6thrust23THRUST_200600_302600_NS6detail15normal_iteratorINS9_10device_ptrIiEEEESE_SE_iNS9_4plusIvEE19head_flag_predicateIiEiEE10hipError_tPvRmT2_T3_T4_T5_mT6_T7_P12ihipStream_tbENKUlT_T0_E_clISt17integral_constantIbLb1EESY_IbLb0EEEEDaSU_SV_EUlSU_E_NS1_11comp_targetILNS1_3genE0ELNS1_11target_archE4294967295ELNS1_3gpuE0ELNS1_3repE0EEENS1_30default_config_static_selectorELNS0_4arch9wavefront6targetE1EEEvT1_
    .private_segment_fixed_size: 0
    .sgpr_count:     4
    .sgpr_spill_count: 0
    .symbol:         _ZN7rocprim17ROCPRIM_400000_NS6detail17trampoline_kernelINS0_14default_configENS1_27scan_by_key_config_selectorIiiEEZZNS1_16scan_by_key_implILNS1_25lookback_scan_determinismE0ELb1ES3_N6thrust23THRUST_200600_302600_NS6detail15normal_iteratorINS9_10device_ptrIiEEEESE_SE_iNS9_4plusIvEE19head_flag_predicateIiEiEE10hipError_tPvRmT2_T3_T4_T5_mT6_T7_P12ihipStream_tbENKUlT_T0_E_clISt17integral_constantIbLb1EESY_IbLb0EEEEDaSU_SV_EUlSU_E_NS1_11comp_targetILNS1_3genE0ELNS1_11target_archE4294967295ELNS1_3gpuE0ELNS1_3repE0EEENS1_30default_config_static_selectorELNS0_4arch9wavefront6targetE1EEEvT1_.kd
    .uniform_work_group_size: 1
    .uses_dynamic_stack: false
    .vgpr_count:     0
    .vgpr_spill_count: 0
    .wavefront_size: 64
  - .agpr_count:     0
    .args:
      - .offset:         0
        .size:           112
        .value_kind:     by_value
    .group_segment_fixed_size: 0
    .kernarg_segment_align: 8
    .kernarg_segment_size: 112
    .language:       OpenCL C
    .language_version:
      - 2
      - 0
    .max_flat_workgroup_size: 256
    .name:           _ZN7rocprim17ROCPRIM_400000_NS6detail17trampoline_kernelINS0_14default_configENS1_27scan_by_key_config_selectorIiiEEZZNS1_16scan_by_key_implILNS1_25lookback_scan_determinismE0ELb1ES3_N6thrust23THRUST_200600_302600_NS6detail15normal_iteratorINS9_10device_ptrIiEEEESE_SE_iNS9_4plusIvEE19head_flag_predicateIiEiEE10hipError_tPvRmT2_T3_T4_T5_mT6_T7_P12ihipStream_tbENKUlT_T0_E_clISt17integral_constantIbLb1EESY_IbLb0EEEEDaSU_SV_EUlSU_E_NS1_11comp_targetILNS1_3genE10ELNS1_11target_archE1201ELNS1_3gpuE5ELNS1_3repE0EEENS1_30default_config_static_selectorELNS0_4arch9wavefront6targetE1EEEvT1_
    .private_segment_fixed_size: 0
    .sgpr_count:     4
    .sgpr_spill_count: 0
    .symbol:         _ZN7rocprim17ROCPRIM_400000_NS6detail17trampoline_kernelINS0_14default_configENS1_27scan_by_key_config_selectorIiiEEZZNS1_16scan_by_key_implILNS1_25lookback_scan_determinismE0ELb1ES3_N6thrust23THRUST_200600_302600_NS6detail15normal_iteratorINS9_10device_ptrIiEEEESE_SE_iNS9_4plusIvEE19head_flag_predicateIiEiEE10hipError_tPvRmT2_T3_T4_T5_mT6_T7_P12ihipStream_tbENKUlT_T0_E_clISt17integral_constantIbLb1EESY_IbLb0EEEEDaSU_SV_EUlSU_E_NS1_11comp_targetILNS1_3genE10ELNS1_11target_archE1201ELNS1_3gpuE5ELNS1_3repE0EEENS1_30default_config_static_selectorELNS0_4arch9wavefront6targetE1EEEvT1_.kd
    .uniform_work_group_size: 1
    .uses_dynamic_stack: false
    .vgpr_count:     0
    .vgpr_spill_count: 0
    .wavefront_size: 64
  - .agpr_count:     0
    .args:
      - .offset:         0
        .size:           112
        .value_kind:     by_value
    .group_segment_fixed_size: 0
    .kernarg_segment_align: 8
    .kernarg_segment_size: 112
    .language:       OpenCL C
    .language_version:
      - 2
      - 0
    .max_flat_workgroup_size: 256
    .name:           _ZN7rocprim17ROCPRIM_400000_NS6detail17trampoline_kernelINS0_14default_configENS1_27scan_by_key_config_selectorIiiEEZZNS1_16scan_by_key_implILNS1_25lookback_scan_determinismE0ELb1ES3_N6thrust23THRUST_200600_302600_NS6detail15normal_iteratorINS9_10device_ptrIiEEEESE_SE_iNS9_4plusIvEE19head_flag_predicateIiEiEE10hipError_tPvRmT2_T3_T4_T5_mT6_T7_P12ihipStream_tbENKUlT_T0_E_clISt17integral_constantIbLb1EESY_IbLb0EEEEDaSU_SV_EUlSU_E_NS1_11comp_targetILNS1_3genE5ELNS1_11target_archE942ELNS1_3gpuE9ELNS1_3repE0EEENS1_30default_config_static_selectorELNS0_4arch9wavefront6targetE1EEEvT1_
    .private_segment_fixed_size: 0
    .sgpr_count:     4
    .sgpr_spill_count: 0
    .symbol:         _ZN7rocprim17ROCPRIM_400000_NS6detail17trampoline_kernelINS0_14default_configENS1_27scan_by_key_config_selectorIiiEEZZNS1_16scan_by_key_implILNS1_25lookback_scan_determinismE0ELb1ES3_N6thrust23THRUST_200600_302600_NS6detail15normal_iteratorINS9_10device_ptrIiEEEESE_SE_iNS9_4plusIvEE19head_flag_predicateIiEiEE10hipError_tPvRmT2_T3_T4_T5_mT6_T7_P12ihipStream_tbENKUlT_T0_E_clISt17integral_constantIbLb1EESY_IbLb0EEEEDaSU_SV_EUlSU_E_NS1_11comp_targetILNS1_3genE5ELNS1_11target_archE942ELNS1_3gpuE9ELNS1_3repE0EEENS1_30default_config_static_selectorELNS0_4arch9wavefront6targetE1EEEvT1_.kd
    .uniform_work_group_size: 1
    .uses_dynamic_stack: false
    .vgpr_count:     0
    .vgpr_spill_count: 0
    .wavefront_size: 64
  - .agpr_count:     0
    .args:
      - .offset:         0
        .size:           112
        .value_kind:     by_value
    .group_segment_fixed_size: 16384
    .kernarg_segment_align: 8
    .kernarg_segment_size: 112
    .language:       OpenCL C
    .language_version:
      - 2
      - 0
    .max_flat_workgroup_size: 256
    .name:           _ZN7rocprim17ROCPRIM_400000_NS6detail17trampoline_kernelINS0_14default_configENS1_27scan_by_key_config_selectorIiiEEZZNS1_16scan_by_key_implILNS1_25lookback_scan_determinismE0ELb1ES3_N6thrust23THRUST_200600_302600_NS6detail15normal_iteratorINS9_10device_ptrIiEEEESE_SE_iNS9_4plusIvEE19head_flag_predicateIiEiEE10hipError_tPvRmT2_T3_T4_T5_mT6_T7_P12ihipStream_tbENKUlT_T0_E_clISt17integral_constantIbLb1EESY_IbLb0EEEEDaSU_SV_EUlSU_E_NS1_11comp_targetILNS1_3genE4ELNS1_11target_archE910ELNS1_3gpuE8ELNS1_3repE0EEENS1_30default_config_static_selectorELNS0_4arch9wavefront6targetE1EEEvT1_
    .private_segment_fixed_size: 0
    .sgpr_count:     64
    .sgpr_spill_count: 0
    .symbol:         _ZN7rocprim17ROCPRIM_400000_NS6detail17trampoline_kernelINS0_14default_configENS1_27scan_by_key_config_selectorIiiEEZZNS1_16scan_by_key_implILNS1_25lookback_scan_determinismE0ELb1ES3_N6thrust23THRUST_200600_302600_NS6detail15normal_iteratorINS9_10device_ptrIiEEEESE_SE_iNS9_4plusIvEE19head_flag_predicateIiEiEE10hipError_tPvRmT2_T3_T4_T5_mT6_T7_P12ihipStream_tbENKUlT_T0_E_clISt17integral_constantIbLb1EESY_IbLb0EEEEDaSU_SV_EUlSU_E_NS1_11comp_targetILNS1_3genE4ELNS1_11target_archE910ELNS1_3gpuE8ELNS1_3repE0EEENS1_30default_config_static_selectorELNS0_4arch9wavefront6targetE1EEEvT1_.kd
    .uniform_work_group_size: 1
    .uses_dynamic_stack: false
    .vgpr_count:     65
    .vgpr_spill_count: 0
    .wavefront_size: 64
  - .agpr_count:     0
    .args:
      - .offset:         0
        .size:           112
        .value_kind:     by_value
    .group_segment_fixed_size: 0
    .kernarg_segment_align: 8
    .kernarg_segment_size: 112
    .language:       OpenCL C
    .language_version:
      - 2
      - 0
    .max_flat_workgroup_size: 256
    .name:           _ZN7rocprim17ROCPRIM_400000_NS6detail17trampoline_kernelINS0_14default_configENS1_27scan_by_key_config_selectorIiiEEZZNS1_16scan_by_key_implILNS1_25lookback_scan_determinismE0ELb1ES3_N6thrust23THRUST_200600_302600_NS6detail15normal_iteratorINS9_10device_ptrIiEEEESE_SE_iNS9_4plusIvEE19head_flag_predicateIiEiEE10hipError_tPvRmT2_T3_T4_T5_mT6_T7_P12ihipStream_tbENKUlT_T0_E_clISt17integral_constantIbLb1EESY_IbLb0EEEEDaSU_SV_EUlSU_E_NS1_11comp_targetILNS1_3genE3ELNS1_11target_archE908ELNS1_3gpuE7ELNS1_3repE0EEENS1_30default_config_static_selectorELNS0_4arch9wavefront6targetE1EEEvT1_
    .private_segment_fixed_size: 0
    .sgpr_count:     4
    .sgpr_spill_count: 0
    .symbol:         _ZN7rocprim17ROCPRIM_400000_NS6detail17trampoline_kernelINS0_14default_configENS1_27scan_by_key_config_selectorIiiEEZZNS1_16scan_by_key_implILNS1_25lookback_scan_determinismE0ELb1ES3_N6thrust23THRUST_200600_302600_NS6detail15normal_iteratorINS9_10device_ptrIiEEEESE_SE_iNS9_4plusIvEE19head_flag_predicateIiEiEE10hipError_tPvRmT2_T3_T4_T5_mT6_T7_P12ihipStream_tbENKUlT_T0_E_clISt17integral_constantIbLb1EESY_IbLb0EEEEDaSU_SV_EUlSU_E_NS1_11comp_targetILNS1_3genE3ELNS1_11target_archE908ELNS1_3gpuE7ELNS1_3repE0EEENS1_30default_config_static_selectorELNS0_4arch9wavefront6targetE1EEEvT1_.kd
    .uniform_work_group_size: 1
    .uses_dynamic_stack: false
    .vgpr_count:     0
    .vgpr_spill_count: 0
    .wavefront_size: 64
  - .agpr_count:     0
    .args:
      - .offset:         0
        .size:           112
        .value_kind:     by_value
    .group_segment_fixed_size: 0
    .kernarg_segment_align: 8
    .kernarg_segment_size: 112
    .language:       OpenCL C
    .language_version:
      - 2
      - 0
    .max_flat_workgroup_size: 256
    .name:           _ZN7rocprim17ROCPRIM_400000_NS6detail17trampoline_kernelINS0_14default_configENS1_27scan_by_key_config_selectorIiiEEZZNS1_16scan_by_key_implILNS1_25lookback_scan_determinismE0ELb1ES3_N6thrust23THRUST_200600_302600_NS6detail15normal_iteratorINS9_10device_ptrIiEEEESE_SE_iNS9_4plusIvEE19head_flag_predicateIiEiEE10hipError_tPvRmT2_T3_T4_T5_mT6_T7_P12ihipStream_tbENKUlT_T0_E_clISt17integral_constantIbLb1EESY_IbLb0EEEEDaSU_SV_EUlSU_E_NS1_11comp_targetILNS1_3genE2ELNS1_11target_archE906ELNS1_3gpuE6ELNS1_3repE0EEENS1_30default_config_static_selectorELNS0_4arch9wavefront6targetE1EEEvT1_
    .private_segment_fixed_size: 0
    .sgpr_count:     4
    .sgpr_spill_count: 0
    .symbol:         _ZN7rocprim17ROCPRIM_400000_NS6detail17trampoline_kernelINS0_14default_configENS1_27scan_by_key_config_selectorIiiEEZZNS1_16scan_by_key_implILNS1_25lookback_scan_determinismE0ELb1ES3_N6thrust23THRUST_200600_302600_NS6detail15normal_iteratorINS9_10device_ptrIiEEEESE_SE_iNS9_4plusIvEE19head_flag_predicateIiEiEE10hipError_tPvRmT2_T3_T4_T5_mT6_T7_P12ihipStream_tbENKUlT_T0_E_clISt17integral_constantIbLb1EESY_IbLb0EEEEDaSU_SV_EUlSU_E_NS1_11comp_targetILNS1_3genE2ELNS1_11target_archE906ELNS1_3gpuE6ELNS1_3repE0EEENS1_30default_config_static_selectorELNS0_4arch9wavefront6targetE1EEEvT1_.kd
    .uniform_work_group_size: 1
    .uses_dynamic_stack: false
    .vgpr_count:     0
    .vgpr_spill_count: 0
    .wavefront_size: 64
  - .agpr_count:     0
    .args:
      - .offset:         0
        .size:           112
        .value_kind:     by_value
    .group_segment_fixed_size: 0
    .kernarg_segment_align: 8
    .kernarg_segment_size: 112
    .language:       OpenCL C
    .language_version:
      - 2
      - 0
    .max_flat_workgroup_size: 256
    .name:           _ZN7rocprim17ROCPRIM_400000_NS6detail17trampoline_kernelINS0_14default_configENS1_27scan_by_key_config_selectorIiiEEZZNS1_16scan_by_key_implILNS1_25lookback_scan_determinismE0ELb1ES3_N6thrust23THRUST_200600_302600_NS6detail15normal_iteratorINS9_10device_ptrIiEEEESE_SE_iNS9_4plusIvEE19head_flag_predicateIiEiEE10hipError_tPvRmT2_T3_T4_T5_mT6_T7_P12ihipStream_tbENKUlT_T0_E_clISt17integral_constantIbLb1EESY_IbLb0EEEEDaSU_SV_EUlSU_E_NS1_11comp_targetILNS1_3genE10ELNS1_11target_archE1200ELNS1_3gpuE4ELNS1_3repE0EEENS1_30default_config_static_selectorELNS0_4arch9wavefront6targetE1EEEvT1_
    .private_segment_fixed_size: 0
    .sgpr_count:     4
    .sgpr_spill_count: 0
    .symbol:         _ZN7rocprim17ROCPRIM_400000_NS6detail17trampoline_kernelINS0_14default_configENS1_27scan_by_key_config_selectorIiiEEZZNS1_16scan_by_key_implILNS1_25lookback_scan_determinismE0ELb1ES3_N6thrust23THRUST_200600_302600_NS6detail15normal_iteratorINS9_10device_ptrIiEEEESE_SE_iNS9_4plusIvEE19head_flag_predicateIiEiEE10hipError_tPvRmT2_T3_T4_T5_mT6_T7_P12ihipStream_tbENKUlT_T0_E_clISt17integral_constantIbLb1EESY_IbLb0EEEEDaSU_SV_EUlSU_E_NS1_11comp_targetILNS1_3genE10ELNS1_11target_archE1200ELNS1_3gpuE4ELNS1_3repE0EEENS1_30default_config_static_selectorELNS0_4arch9wavefront6targetE1EEEvT1_.kd
    .uniform_work_group_size: 1
    .uses_dynamic_stack: false
    .vgpr_count:     0
    .vgpr_spill_count: 0
    .wavefront_size: 64
  - .agpr_count:     0
    .args:
      - .offset:         0
        .size:           112
        .value_kind:     by_value
    .group_segment_fixed_size: 0
    .kernarg_segment_align: 8
    .kernarg_segment_size: 112
    .language:       OpenCL C
    .language_version:
      - 2
      - 0
    .max_flat_workgroup_size: 256
    .name:           _ZN7rocprim17ROCPRIM_400000_NS6detail17trampoline_kernelINS0_14default_configENS1_27scan_by_key_config_selectorIiiEEZZNS1_16scan_by_key_implILNS1_25lookback_scan_determinismE0ELb1ES3_N6thrust23THRUST_200600_302600_NS6detail15normal_iteratorINS9_10device_ptrIiEEEESE_SE_iNS9_4plusIvEE19head_flag_predicateIiEiEE10hipError_tPvRmT2_T3_T4_T5_mT6_T7_P12ihipStream_tbENKUlT_T0_E_clISt17integral_constantIbLb1EESY_IbLb0EEEEDaSU_SV_EUlSU_E_NS1_11comp_targetILNS1_3genE9ELNS1_11target_archE1100ELNS1_3gpuE3ELNS1_3repE0EEENS1_30default_config_static_selectorELNS0_4arch9wavefront6targetE1EEEvT1_
    .private_segment_fixed_size: 0
    .sgpr_count:     4
    .sgpr_spill_count: 0
    .symbol:         _ZN7rocprim17ROCPRIM_400000_NS6detail17trampoline_kernelINS0_14default_configENS1_27scan_by_key_config_selectorIiiEEZZNS1_16scan_by_key_implILNS1_25lookback_scan_determinismE0ELb1ES3_N6thrust23THRUST_200600_302600_NS6detail15normal_iteratorINS9_10device_ptrIiEEEESE_SE_iNS9_4plusIvEE19head_flag_predicateIiEiEE10hipError_tPvRmT2_T3_T4_T5_mT6_T7_P12ihipStream_tbENKUlT_T0_E_clISt17integral_constantIbLb1EESY_IbLb0EEEEDaSU_SV_EUlSU_E_NS1_11comp_targetILNS1_3genE9ELNS1_11target_archE1100ELNS1_3gpuE3ELNS1_3repE0EEENS1_30default_config_static_selectorELNS0_4arch9wavefront6targetE1EEEvT1_.kd
    .uniform_work_group_size: 1
    .uses_dynamic_stack: false
    .vgpr_count:     0
    .vgpr_spill_count: 0
    .wavefront_size: 64
  - .agpr_count:     0
    .args:
      - .offset:         0
        .size:           112
        .value_kind:     by_value
    .group_segment_fixed_size: 0
    .kernarg_segment_align: 8
    .kernarg_segment_size: 112
    .language:       OpenCL C
    .language_version:
      - 2
      - 0
    .max_flat_workgroup_size: 256
    .name:           _ZN7rocprim17ROCPRIM_400000_NS6detail17trampoline_kernelINS0_14default_configENS1_27scan_by_key_config_selectorIiiEEZZNS1_16scan_by_key_implILNS1_25lookback_scan_determinismE0ELb1ES3_N6thrust23THRUST_200600_302600_NS6detail15normal_iteratorINS9_10device_ptrIiEEEESE_SE_iNS9_4plusIvEE19head_flag_predicateIiEiEE10hipError_tPvRmT2_T3_T4_T5_mT6_T7_P12ihipStream_tbENKUlT_T0_E_clISt17integral_constantIbLb1EESY_IbLb0EEEEDaSU_SV_EUlSU_E_NS1_11comp_targetILNS1_3genE8ELNS1_11target_archE1030ELNS1_3gpuE2ELNS1_3repE0EEENS1_30default_config_static_selectorELNS0_4arch9wavefront6targetE1EEEvT1_
    .private_segment_fixed_size: 0
    .sgpr_count:     4
    .sgpr_spill_count: 0
    .symbol:         _ZN7rocprim17ROCPRIM_400000_NS6detail17trampoline_kernelINS0_14default_configENS1_27scan_by_key_config_selectorIiiEEZZNS1_16scan_by_key_implILNS1_25lookback_scan_determinismE0ELb1ES3_N6thrust23THRUST_200600_302600_NS6detail15normal_iteratorINS9_10device_ptrIiEEEESE_SE_iNS9_4plusIvEE19head_flag_predicateIiEiEE10hipError_tPvRmT2_T3_T4_T5_mT6_T7_P12ihipStream_tbENKUlT_T0_E_clISt17integral_constantIbLb1EESY_IbLb0EEEEDaSU_SV_EUlSU_E_NS1_11comp_targetILNS1_3genE8ELNS1_11target_archE1030ELNS1_3gpuE2ELNS1_3repE0EEENS1_30default_config_static_selectorELNS0_4arch9wavefront6targetE1EEEvT1_.kd
    .uniform_work_group_size: 1
    .uses_dynamic_stack: false
    .vgpr_count:     0
    .vgpr_spill_count: 0
    .wavefront_size: 64
  - .agpr_count:     0
    .args:
      - .offset:         0
        .size:           112
        .value_kind:     by_value
    .group_segment_fixed_size: 0
    .kernarg_segment_align: 8
    .kernarg_segment_size: 112
    .language:       OpenCL C
    .language_version:
      - 2
      - 0
    .max_flat_workgroup_size: 256
    .name:           _ZN7rocprim17ROCPRIM_400000_NS6detail17trampoline_kernelINS0_14default_configENS1_27scan_by_key_config_selectorIiiEEZZNS1_16scan_by_key_implILNS1_25lookback_scan_determinismE0ELb1ES3_N6thrust23THRUST_200600_302600_NS6detail15normal_iteratorINS9_10device_ptrIiEEEESE_SE_iNS9_4plusIvEE19head_flag_predicateIiEiEE10hipError_tPvRmT2_T3_T4_T5_mT6_T7_P12ihipStream_tbENKUlT_T0_E_clISt17integral_constantIbLb0EESY_IbLb1EEEEDaSU_SV_EUlSU_E_NS1_11comp_targetILNS1_3genE0ELNS1_11target_archE4294967295ELNS1_3gpuE0ELNS1_3repE0EEENS1_30default_config_static_selectorELNS0_4arch9wavefront6targetE1EEEvT1_
    .private_segment_fixed_size: 0
    .sgpr_count:     4
    .sgpr_spill_count: 0
    .symbol:         _ZN7rocprim17ROCPRIM_400000_NS6detail17trampoline_kernelINS0_14default_configENS1_27scan_by_key_config_selectorIiiEEZZNS1_16scan_by_key_implILNS1_25lookback_scan_determinismE0ELb1ES3_N6thrust23THRUST_200600_302600_NS6detail15normal_iteratorINS9_10device_ptrIiEEEESE_SE_iNS9_4plusIvEE19head_flag_predicateIiEiEE10hipError_tPvRmT2_T3_T4_T5_mT6_T7_P12ihipStream_tbENKUlT_T0_E_clISt17integral_constantIbLb0EESY_IbLb1EEEEDaSU_SV_EUlSU_E_NS1_11comp_targetILNS1_3genE0ELNS1_11target_archE4294967295ELNS1_3gpuE0ELNS1_3repE0EEENS1_30default_config_static_selectorELNS0_4arch9wavefront6targetE1EEEvT1_.kd
    .uniform_work_group_size: 1
    .uses_dynamic_stack: false
    .vgpr_count:     0
    .vgpr_spill_count: 0
    .wavefront_size: 64
  - .agpr_count:     0
    .args:
      - .offset:         0
        .size:           112
        .value_kind:     by_value
    .group_segment_fixed_size: 0
    .kernarg_segment_align: 8
    .kernarg_segment_size: 112
    .language:       OpenCL C
    .language_version:
      - 2
      - 0
    .max_flat_workgroup_size: 256
    .name:           _ZN7rocprim17ROCPRIM_400000_NS6detail17trampoline_kernelINS0_14default_configENS1_27scan_by_key_config_selectorIiiEEZZNS1_16scan_by_key_implILNS1_25lookback_scan_determinismE0ELb1ES3_N6thrust23THRUST_200600_302600_NS6detail15normal_iteratorINS9_10device_ptrIiEEEESE_SE_iNS9_4plusIvEE19head_flag_predicateIiEiEE10hipError_tPvRmT2_T3_T4_T5_mT6_T7_P12ihipStream_tbENKUlT_T0_E_clISt17integral_constantIbLb0EESY_IbLb1EEEEDaSU_SV_EUlSU_E_NS1_11comp_targetILNS1_3genE10ELNS1_11target_archE1201ELNS1_3gpuE5ELNS1_3repE0EEENS1_30default_config_static_selectorELNS0_4arch9wavefront6targetE1EEEvT1_
    .private_segment_fixed_size: 0
    .sgpr_count:     4
    .sgpr_spill_count: 0
    .symbol:         _ZN7rocprim17ROCPRIM_400000_NS6detail17trampoline_kernelINS0_14default_configENS1_27scan_by_key_config_selectorIiiEEZZNS1_16scan_by_key_implILNS1_25lookback_scan_determinismE0ELb1ES3_N6thrust23THRUST_200600_302600_NS6detail15normal_iteratorINS9_10device_ptrIiEEEESE_SE_iNS9_4plusIvEE19head_flag_predicateIiEiEE10hipError_tPvRmT2_T3_T4_T5_mT6_T7_P12ihipStream_tbENKUlT_T0_E_clISt17integral_constantIbLb0EESY_IbLb1EEEEDaSU_SV_EUlSU_E_NS1_11comp_targetILNS1_3genE10ELNS1_11target_archE1201ELNS1_3gpuE5ELNS1_3repE0EEENS1_30default_config_static_selectorELNS0_4arch9wavefront6targetE1EEEvT1_.kd
    .uniform_work_group_size: 1
    .uses_dynamic_stack: false
    .vgpr_count:     0
    .vgpr_spill_count: 0
    .wavefront_size: 64
  - .agpr_count:     0
    .args:
      - .offset:         0
        .size:           112
        .value_kind:     by_value
    .group_segment_fixed_size: 0
    .kernarg_segment_align: 8
    .kernarg_segment_size: 112
    .language:       OpenCL C
    .language_version:
      - 2
      - 0
    .max_flat_workgroup_size: 256
    .name:           _ZN7rocprim17ROCPRIM_400000_NS6detail17trampoline_kernelINS0_14default_configENS1_27scan_by_key_config_selectorIiiEEZZNS1_16scan_by_key_implILNS1_25lookback_scan_determinismE0ELb1ES3_N6thrust23THRUST_200600_302600_NS6detail15normal_iteratorINS9_10device_ptrIiEEEESE_SE_iNS9_4plusIvEE19head_flag_predicateIiEiEE10hipError_tPvRmT2_T3_T4_T5_mT6_T7_P12ihipStream_tbENKUlT_T0_E_clISt17integral_constantIbLb0EESY_IbLb1EEEEDaSU_SV_EUlSU_E_NS1_11comp_targetILNS1_3genE5ELNS1_11target_archE942ELNS1_3gpuE9ELNS1_3repE0EEENS1_30default_config_static_selectorELNS0_4arch9wavefront6targetE1EEEvT1_
    .private_segment_fixed_size: 0
    .sgpr_count:     4
    .sgpr_spill_count: 0
    .symbol:         _ZN7rocprim17ROCPRIM_400000_NS6detail17trampoline_kernelINS0_14default_configENS1_27scan_by_key_config_selectorIiiEEZZNS1_16scan_by_key_implILNS1_25lookback_scan_determinismE0ELb1ES3_N6thrust23THRUST_200600_302600_NS6detail15normal_iteratorINS9_10device_ptrIiEEEESE_SE_iNS9_4plusIvEE19head_flag_predicateIiEiEE10hipError_tPvRmT2_T3_T4_T5_mT6_T7_P12ihipStream_tbENKUlT_T0_E_clISt17integral_constantIbLb0EESY_IbLb1EEEEDaSU_SV_EUlSU_E_NS1_11comp_targetILNS1_3genE5ELNS1_11target_archE942ELNS1_3gpuE9ELNS1_3repE0EEENS1_30default_config_static_selectorELNS0_4arch9wavefront6targetE1EEEvT1_.kd
    .uniform_work_group_size: 1
    .uses_dynamic_stack: false
    .vgpr_count:     0
    .vgpr_spill_count: 0
    .wavefront_size: 64
  - .agpr_count:     0
    .args:
      - .offset:         0
        .size:           112
        .value_kind:     by_value
    .group_segment_fixed_size: 16384
    .kernarg_segment_align: 8
    .kernarg_segment_size: 112
    .language:       OpenCL C
    .language_version:
      - 2
      - 0
    .max_flat_workgroup_size: 256
    .name:           _ZN7rocprim17ROCPRIM_400000_NS6detail17trampoline_kernelINS0_14default_configENS1_27scan_by_key_config_selectorIiiEEZZNS1_16scan_by_key_implILNS1_25lookback_scan_determinismE0ELb1ES3_N6thrust23THRUST_200600_302600_NS6detail15normal_iteratorINS9_10device_ptrIiEEEESE_SE_iNS9_4plusIvEE19head_flag_predicateIiEiEE10hipError_tPvRmT2_T3_T4_T5_mT6_T7_P12ihipStream_tbENKUlT_T0_E_clISt17integral_constantIbLb0EESY_IbLb1EEEEDaSU_SV_EUlSU_E_NS1_11comp_targetILNS1_3genE4ELNS1_11target_archE910ELNS1_3gpuE8ELNS1_3repE0EEENS1_30default_config_static_selectorELNS0_4arch9wavefront6targetE1EEEvT1_
    .private_segment_fixed_size: 0
    .sgpr_count:     64
    .sgpr_spill_count: 0
    .symbol:         _ZN7rocprim17ROCPRIM_400000_NS6detail17trampoline_kernelINS0_14default_configENS1_27scan_by_key_config_selectorIiiEEZZNS1_16scan_by_key_implILNS1_25lookback_scan_determinismE0ELb1ES3_N6thrust23THRUST_200600_302600_NS6detail15normal_iteratorINS9_10device_ptrIiEEEESE_SE_iNS9_4plusIvEE19head_flag_predicateIiEiEE10hipError_tPvRmT2_T3_T4_T5_mT6_T7_P12ihipStream_tbENKUlT_T0_E_clISt17integral_constantIbLb0EESY_IbLb1EEEEDaSU_SV_EUlSU_E_NS1_11comp_targetILNS1_3genE4ELNS1_11target_archE910ELNS1_3gpuE8ELNS1_3repE0EEENS1_30default_config_static_selectorELNS0_4arch9wavefront6targetE1EEEvT1_.kd
    .uniform_work_group_size: 1
    .uses_dynamic_stack: false
    .vgpr_count:     67
    .vgpr_spill_count: 0
    .wavefront_size: 64
  - .agpr_count:     0
    .args:
      - .offset:         0
        .size:           112
        .value_kind:     by_value
    .group_segment_fixed_size: 0
    .kernarg_segment_align: 8
    .kernarg_segment_size: 112
    .language:       OpenCL C
    .language_version:
      - 2
      - 0
    .max_flat_workgroup_size: 256
    .name:           _ZN7rocprim17ROCPRIM_400000_NS6detail17trampoline_kernelINS0_14default_configENS1_27scan_by_key_config_selectorIiiEEZZNS1_16scan_by_key_implILNS1_25lookback_scan_determinismE0ELb1ES3_N6thrust23THRUST_200600_302600_NS6detail15normal_iteratorINS9_10device_ptrIiEEEESE_SE_iNS9_4plusIvEE19head_flag_predicateIiEiEE10hipError_tPvRmT2_T3_T4_T5_mT6_T7_P12ihipStream_tbENKUlT_T0_E_clISt17integral_constantIbLb0EESY_IbLb1EEEEDaSU_SV_EUlSU_E_NS1_11comp_targetILNS1_3genE3ELNS1_11target_archE908ELNS1_3gpuE7ELNS1_3repE0EEENS1_30default_config_static_selectorELNS0_4arch9wavefront6targetE1EEEvT1_
    .private_segment_fixed_size: 0
    .sgpr_count:     4
    .sgpr_spill_count: 0
    .symbol:         _ZN7rocprim17ROCPRIM_400000_NS6detail17trampoline_kernelINS0_14default_configENS1_27scan_by_key_config_selectorIiiEEZZNS1_16scan_by_key_implILNS1_25lookback_scan_determinismE0ELb1ES3_N6thrust23THRUST_200600_302600_NS6detail15normal_iteratorINS9_10device_ptrIiEEEESE_SE_iNS9_4plusIvEE19head_flag_predicateIiEiEE10hipError_tPvRmT2_T3_T4_T5_mT6_T7_P12ihipStream_tbENKUlT_T0_E_clISt17integral_constantIbLb0EESY_IbLb1EEEEDaSU_SV_EUlSU_E_NS1_11comp_targetILNS1_3genE3ELNS1_11target_archE908ELNS1_3gpuE7ELNS1_3repE0EEENS1_30default_config_static_selectorELNS0_4arch9wavefront6targetE1EEEvT1_.kd
    .uniform_work_group_size: 1
    .uses_dynamic_stack: false
    .vgpr_count:     0
    .vgpr_spill_count: 0
    .wavefront_size: 64
  - .agpr_count:     0
    .args:
      - .offset:         0
        .size:           112
        .value_kind:     by_value
    .group_segment_fixed_size: 0
    .kernarg_segment_align: 8
    .kernarg_segment_size: 112
    .language:       OpenCL C
    .language_version:
      - 2
      - 0
    .max_flat_workgroup_size: 256
    .name:           _ZN7rocprim17ROCPRIM_400000_NS6detail17trampoline_kernelINS0_14default_configENS1_27scan_by_key_config_selectorIiiEEZZNS1_16scan_by_key_implILNS1_25lookback_scan_determinismE0ELb1ES3_N6thrust23THRUST_200600_302600_NS6detail15normal_iteratorINS9_10device_ptrIiEEEESE_SE_iNS9_4plusIvEE19head_flag_predicateIiEiEE10hipError_tPvRmT2_T3_T4_T5_mT6_T7_P12ihipStream_tbENKUlT_T0_E_clISt17integral_constantIbLb0EESY_IbLb1EEEEDaSU_SV_EUlSU_E_NS1_11comp_targetILNS1_3genE2ELNS1_11target_archE906ELNS1_3gpuE6ELNS1_3repE0EEENS1_30default_config_static_selectorELNS0_4arch9wavefront6targetE1EEEvT1_
    .private_segment_fixed_size: 0
    .sgpr_count:     4
    .sgpr_spill_count: 0
    .symbol:         _ZN7rocprim17ROCPRIM_400000_NS6detail17trampoline_kernelINS0_14default_configENS1_27scan_by_key_config_selectorIiiEEZZNS1_16scan_by_key_implILNS1_25lookback_scan_determinismE0ELb1ES3_N6thrust23THRUST_200600_302600_NS6detail15normal_iteratorINS9_10device_ptrIiEEEESE_SE_iNS9_4plusIvEE19head_flag_predicateIiEiEE10hipError_tPvRmT2_T3_T4_T5_mT6_T7_P12ihipStream_tbENKUlT_T0_E_clISt17integral_constantIbLb0EESY_IbLb1EEEEDaSU_SV_EUlSU_E_NS1_11comp_targetILNS1_3genE2ELNS1_11target_archE906ELNS1_3gpuE6ELNS1_3repE0EEENS1_30default_config_static_selectorELNS0_4arch9wavefront6targetE1EEEvT1_.kd
    .uniform_work_group_size: 1
    .uses_dynamic_stack: false
    .vgpr_count:     0
    .vgpr_spill_count: 0
    .wavefront_size: 64
  - .agpr_count:     0
    .args:
      - .offset:         0
        .size:           112
        .value_kind:     by_value
    .group_segment_fixed_size: 0
    .kernarg_segment_align: 8
    .kernarg_segment_size: 112
    .language:       OpenCL C
    .language_version:
      - 2
      - 0
    .max_flat_workgroup_size: 256
    .name:           _ZN7rocprim17ROCPRIM_400000_NS6detail17trampoline_kernelINS0_14default_configENS1_27scan_by_key_config_selectorIiiEEZZNS1_16scan_by_key_implILNS1_25lookback_scan_determinismE0ELb1ES3_N6thrust23THRUST_200600_302600_NS6detail15normal_iteratorINS9_10device_ptrIiEEEESE_SE_iNS9_4plusIvEE19head_flag_predicateIiEiEE10hipError_tPvRmT2_T3_T4_T5_mT6_T7_P12ihipStream_tbENKUlT_T0_E_clISt17integral_constantIbLb0EESY_IbLb1EEEEDaSU_SV_EUlSU_E_NS1_11comp_targetILNS1_3genE10ELNS1_11target_archE1200ELNS1_3gpuE4ELNS1_3repE0EEENS1_30default_config_static_selectorELNS0_4arch9wavefront6targetE1EEEvT1_
    .private_segment_fixed_size: 0
    .sgpr_count:     4
    .sgpr_spill_count: 0
    .symbol:         _ZN7rocprim17ROCPRIM_400000_NS6detail17trampoline_kernelINS0_14default_configENS1_27scan_by_key_config_selectorIiiEEZZNS1_16scan_by_key_implILNS1_25lookback_scan_determinismE0ELb1ES3_N6thrust23THRUST_200600_302600_NS6detail15normal_iteratorINS9_10device_ptrIiEEEESE_SE_iNS9_4plusIvEE19head_flag_predicateIiEiEE10hipError_tPvRmT2_T3_T4_T5_mT6_T7_P12ihipStream_tbENKUlT_T0_E_clISt17integral_constantIbLb0EESY_IbLb1EEEEDaSU_SV_EUlSU_E_NS1_11comp_targetILNS1_3genE10ELNS1_11target_archE1200ELNS1_3gpuE4ELNS1_3repE0EEENS1_30default_config_static_selectorELNS0_4arch9wavefront6targetE1EEEvT1_.kd
    .uniform_work_group_size: 1
    .uses_dynamic_stack: false
    .vgpr_count:     0
    .vgpr_spill_count: 0
    .wavefront_size: 64
  - .agpr_count:     0
    .args:
      - .offset:         0
        .size:           112
        .value_kind:     by_value
    .group_segment_fixed_size: 0
    .kernarg_segment_align: 8
    .kernarg_segment_size: 112
    .language:       OpenCL C
    .language_version:
      - 2
      - 0
    .max_flat_workgroup_size: 256
    .name:           _ZN7rocprim17ROCPRIM_400000_NS6detail17trampoline_kernelINS0_14default_configENS1_27scan_by_key_config_selectorIiiEEZZNS1_16scan_by_key_implILNS1_25lookback_scan_determinismE0ELb1ES3_N6thrust23THRUST_200600_302600_NS6detail15normal_iteratorINS9_10device_ptrIiEEEESE_SE_iNS9_4plusIvEE19head_flag_predicateIiEiEE10hipError_tPvRmT2_T3_T4_T5_mT6_T7_P12ihipStream_tbENKUlT_T0_E_clISt17integral_constantIbLb0EESY_IbLb1EEEEDaSU_SV_EUlSU_E_NS1_11comp_targetILNS1_3genE9ELNS1_11target_archE1100ELNS1_3gpuE3ELNS1_3repE0EEENS1_30default_config_static_selectorELNS0_4arch9wavefront6targetE1EEEvT1_
    .private_segment_fixed_size: 0
    .sgpr_count:     4
    .sgpr_spill_count: 0
    .symbol:         _ZN7rocprim17ROCPRIM_400000_NS6detail17trampoline_kernelINS0_14default_configENS1_27scan_by_key_config_selectorIiiEEZZNS1_16scan_by_key_implILNS1_25lookback_scan_determinismE0ELb1ES3_N6thrust23THRUST_200600_302600_NS6detail15normal_iteratorINS9_10device_ptrIiEEEESE_SE_iNS9_4plusIvEE19head_flag_predicateIiEiEE10hipError_tPvRmT2_T3_T4_T5_mT6_T7_P12ihipStream_tbENKUlT_T0_E_clISt17integral_constantIbLb0EESY_IbLb1EEEEDaSU_SV_EUlSU_E_NS1_11comp_targetILNS1_3genE9ELNS1_11target_archE1100ELNS1_3gpuE3ELNS1_3repE0EEENS1_30default_config_static_selectorELNS0_4arch9wavefront6targetE1EEEvT1_.kd
    .uniform_work_group_size: 1
    .uses_dynamic_stack: false
    .vgpr_count:     0
    .vgpr_spill_count: 0
    .wavefront_size: 64
  - .agpr_count:     0
    .args:
      - .offset:         0
        .size:           112
        .value_kind:     by_value
    .group_segment_fixed_size: 0
    .kernarg_segment_align: 8
    .kernarg_segment_size: 112
    .language:       OpenCL C
    .language_version:
      - 2
      - 0
    .max_flat_workgroup_size: 256
    .name:           _ZN7rocprim17ROCPRIM_400000_NS6detail17trampoline_kernelINS0_14default_configENS1_27scan_by_key_config_selectorIiiEEZZNS1_16scan_by_key_implILNS1_25lookback_scan_determinismE0ELb1ES3_N6thrust23THRUST_200600_302600_NS6detail15normal_iteratorINS9_10device_ptrIiEEEESE_SE_iNS9_4plusIvEE19head_flag_predicateIiEiEE10hipError_tPvRmT2_T3_T4_T5_mT6_T7_P12ihipStream_tbENKUlT_T0_E_clISt17integral_constantIbLb0EESY_IbLb1EEEEDaSU_SV_EUlSU_E_NS1_11comp_targetILNS1_3genE8ELNS1_11target_archE1030ELNS1_3gpuE2ELNS1_3repE0EEENS1_30default_config_static_selectorELNS0_4arch9wavefront6targetE1EEEvT1_
    .private_segment_fixed_size: 0
    .sgpr_count:     4
    .sgpr_spill_count: 0
    .symbol:         _ZN7rocprim17ROCPRIM_400000_NS6detail17trampoline_kernelINS0_14default_configENS1_27scan_by_key_config_selectorIiiEEZZNS1_16scan_by_key_implILNS1_25lookback_scan_determinismE0ELb1ES3_N6thrust23THRUST_200600_302600_NS6detail15normal_iteratorINS9_10device_ptrIiEEEESE_SE_iNS9_4plusIvEE19head_flag_predicateIiEiEE10hipError_tPvRmT2_T3_T4_T5_mT6_T7_P12ihipStream_tbENKUlT_T0_E_clISt17integral_constantIbLb0EESY_IbLb1EEEEDaSU_SV_EUlSU_E_NS1_11comp_targetILNS1_3genE8ELNS1_11target_archE1030ELNS1_3gpuE2ELNS1_3repE0EEENS1_30default_config_static_selectorELNS0_4arch9wavefront6targetE1EEEvT1_.kd
    .uniform_work_group_size: 1
    .uses_dynamic_stack: false
    .vgpr_count:     0
    .vgpr_spill_count: 0
    .wavefront_size: 64
amdhsa.target:   amdgcn-amd-amdhsa--gfx90a
amdhsa.version:
  - 1
  - 2
...

	.end_amdgpu_metadata
